;; amdgpu-corpus repo=pytorch/pytorch kind=compiled arch=gfx1250 opt=O3
	.amdgcn_target "amdgcn-amd-amdhsa--gfx1250"
	.amdhsa_code_object_version 6
	.section	.text._ZN2at6native12_GLOBAL__N_125multi_tensor_apply_kernelINS1_18TensorListMetadataILi4EEENS1_24PointwiseOpScalarFunctorIhLi4ELi3ELi3EEEJSt10multipliesIhEhEEEvT_T0_DpT1_,"axG",@progbits,_ZN2at6native12_GLOBAL__N_125multi_tensor_apply_kernelINS1_18TensorListMetadataILi4EEENS1_24PointwiseOpScalarFunctorIhLi4ELi3ELi3EEEJSt10multipliesIhEhEEEvT_T0_DpT1_,comdat
	.globl	_ZN2at6native12_GLOBAL__N_125multi_tensor_apply_kernelINS1_18TensorListMetadataILi4EEENS1_24PointwiseOpScalarFunctorIhLi4ELi3ELi3EEEJSt10multipliesIhEhEEEvT_T0_DpT1_ ; -- Begin function _ZN2at6native12_GLOBAL__N_125multi_tensor_apply_kernelINS1_18TensorListMetadataILi4EEENS1_24PointwiseOpScalarFunctorIhLi4ELi3ELi3EEEJSt10multipliesIhEhEEEvT_T0_DpT1_
	.p2align	8
	.type	_ZN2at6native12_GLOBAL__N_125multi_tensor_apply_kernelINS1_18TensorListMetadataILi4EEENS1_24PointwiseOpScalarFunctorIhLi4ELi3ELi3EEEJSt10multipliesIhEhEEEvT_T0_DpT1_,@function
_ZN2at6native12_GLOBAL__N_125multi_tensor_apply_kernelINS1_18TensorListMetadataILi4EEENS1_24PointwiseOpScalarFunctorIhLi4ELi3ELi3EEEJSt10multipliesIhEhEEEvT_T0_DpT1_: ; @_ZN2at6native12_GLOBAL__N_125multi_tensor_apply_kernelINS1_18TensorListMetadataILi4EEENS1_24PointwiseOpScalarFunctorIhLi4ELi3ELi3EEEJSt10multipliesIhEhEEEvT_T0_DpT1_
; %bb.0:
	s_bfe_u32 s2, ttmp6, 0x4000c
	s_and_b32 s3, ttmp6, 15
	s_add_co_i32 s2, s2, 1
	s_getreg_b32 s4, hwreg(HW_REG_IB_STS2, 6, 4)
	s_mul_i32 s2, ttmp9, s2
	s_delay_alu instid0(SALU_CYCLE_1)
	s_add_co_i32 s3, s3, s2
	s_cmp_eq_u32 s4, 0
	s_cselect_b32 s2, ttmp9, s3
	s_mov_b32 s3, 0
	s_load_u8 s15, s[0:1], s2 offset:0x5a0
	s_add_nc_u64 s[4:5], s[0:1], s[2:3]
	s_mul_u64 s[6:7], s[2:3], 3
	s_delay_alu instid0(SALU_CYCLE_1)
	s_add_nc_u64 s[4:5], s[4:5], s[6:7]
	s_load_b32 s14, s[4:5], 0x6e0
	s_wait_kmcnt 0x0
	s_clause 0x4
	s_load_b64 s[6:7], s[0:1], s15 offset:0x120 scale_offset
	s_load_b64 s[8:9], s[0:1], s15 offset:0x240 scale_offset
	;; [unrolled: 1-line block ×5, first 2 shown]
	s_wait_xcnt 0x0
	s_ashr_i32 s15, s14, 31
	s_delay_alu instid0(SALU_CYCLE_1)
	s_lshl_b64 s[14:15], s[14:15], 16
	s_wait_kmcnt 0x0
	s_add_nc_u64 s[4:5], s[6:7], s[14:15]
	s_add_nc_u64 s[18:19], s[12:13], s[14:15]
	s_and_b32 s2, s4, 3
	s_add_nc_u64 s[4:5], s[8:9], s[14:15]
	s_cmp_eq_u64 s[2:3], 0
	s_load_b32 s5, s[0:1], 0xbe8
	s_cselect_b32 s20, -1, 0
	s_or_b32 s2, s10, s4
	s_delay_alu instid0(SALU_CYCLE_1) | instskip(NEXT) | instid1(SALU_CYCLE_1)
	s_and_b32 s2, s2, 3
	s_cmp_eq_u32 s2, 0
	s_cselect_b32 s4, -1, 0
	s_or_b64 s[18:19], s[16:17], s[18:19]
	s_and_b32 s4, s4, s20
	s_and_b32 s2, s18, 3
	s_sub_nc_u64 s[16:17], s[16:17], s[14:15]
	s_cmp_eq_u64 s[2:3], 0
	s_cselect_b32 s2, -1, 0
	s_delay_alu instid0(SALU_CYCLE_1) | instskip(NEXT) | instid1(SALU_CYCLE_1)
	s_and_b32 s2, s4, s2
	s_and_b32 vcc_lo, exec_lo, s2
	s_mov_b32 s2, -1
	s_cbranch_vccnz .LBB0_29
; %bb.1:
	v_cmp_lt_i64_e64 s2, s[16:17], 1
	s_and_b32 vcc_lo, exec_lo, s2
	s_cbranch_vccnz .LBB0_28
; %bb.2:
	s_load_b32 s2, s[0:1], 0xbfc
	v_min_i64 v[2:3], 0x10000, s[16:17]
	v_min_u64 v[4:5], 0x10000, s[16:17]
	v_mov_b32_e32 v1, 0
	s_mov_b32 s19, 0
	s_delay_alu instid0(SALU_CYCLE_1) | instskip(SKIP_1) | instid1(VALU_DEP_1)
	s_mov_b32 s3, s19
	s_mov_b32 s21, s19
	v_add_nc_u64_e32 v[14:15], s[14:15], v[0:1]
	s_delay_alu instid0(VALU_DEP_1)
	v_add_nc_u64_e32 v[6:7], s[12:13], v[14:15]
	v_add_nc_u64_e32 v[8:9], s[6:7], v[14:15]
	;; [unrolled: 1-line block ×4, first 2 shown]
	s_wait_kmcnt 0x0
	s_and_b32 s18, s2, 0xffff
	s_delay_alu instid0(SALU_CYCLE_1)
	s_lshl_b32 s2, s18, 1
	s_mul_i32 s20, s18, 3
	v_add_nc_u64_e32 v[24:25], s[18:19], v[14:15]
	s_add_nc_u64 s[22:23], s[14:15], s[20:21]
	v_add_nc_u64_e32 v[14:15], s[20:21], v[0:1]
	s_add_nc_u64 s[20:21], s[14:15], s[2:3]
	v_add_nc_u64_e32 v[32:33], s[22:23], v[0:1]
	v_add_nc_u64_e32 v[40:41], s[20:21], v[0:1]
	;; [unrolled: 1-line block ×16, first 2 shown]
	s_lshl_b32 s18, s18, 2
	s_mov_b64 s[20:21], 0
	s_lshr_b32 s22, s5, 16
	s_branch .LBB0_4
.LBB0_3:                                ;   in Loop: Header=BB0_4 Depth=1
	s_wait_xcnt 0x0
	s_or_b32 exec_lo, exec_lo, s2
	s_add_nc_u64 s[20:21], s[20:21], s[18:19]
	s_delay_alu instid0(SALU_CYCLE_1)
	v_cmp_lt_i64_e32 vcc_lo, s[20:21], v[2:3]
	s_cbranch_vccz .LBB0_28
.LBB0_4:                                ; =>This Inner Loop Header: Depth=1
	s_wait_loadcnt 0x0
	v_add_nc_u64_e32 v[44:45], s[20:21], v[0:1]
	s_delay_alu instid0(VALU_DEP_1)
	v_cmp_lt_u64_e32 vcc_lo, v[44:45], v[4:5]
	v_dual_mov_b32 v45, 0 :: v_dual_mov_b32 v44, 0
	s_and_saveexec_b32 s2, vcc_lo
	s_cbranch_execz .LBB0_6
; %bb.5:                                ;   in Loop: Header=BB0_4 Depth=1
	v_add_nc_u64_e32 v[46:47], s[20:21], v[6:7]
	v_add_nc_u64_e32 v[48:49], s[20:21], v[8:9]
	global_load_u8 v44, v[46:47], off
	global_load_u8 v45, v[48:49], off
.LBB0_6:                                ;   in Loop: Header=BB0_4 Depth=1
	s_wait_xcnt 0x0
	s_or_b32 exec_lo, exec_lo, s2
	v_dual_mov_b32 v46, 0 :: v_dual_mov_b32 v47, 0
	s_and_saveexec_b32 s2, vcc_lo
	s_cbranch_execz .LBB0_8
; %bb.7:                                ;   in Loop: Header=BB0_4 Depth=1
	v_add_nc_u64_e32 v[48:49], s[20:21], v[10:11]
	global_load_u8 v47, v[48:49], off
.LBB0_8:                                ;   in Loop: Header=BB0_4 Depth=1
	s_wait_xcnt 0x0
	s_or_b32 exec_lo, exec_lo, s2
	v_add_nc_u64_e32 v[48:49], s[20:21], v[42:43]
	s_delay_alu instid0(VALU_DEP_1)
	v_cmp_lt_u64_e64 s2, v[48:49], v[4:5]
	v_mov_b32_e32 v48, 0
	s_and_saveexec_b32 s3, s2
	s_cbranch_execz .LBB0_10
; %bb.9:                                ;   in Loop: Header=BB0_4 Depth=1
	v_add_nc_u64_e32 v[50:51], s[20:21], v[18:19]
	v_add_nc_u64_e32 v[52:53], s[20:21], v[20:21]
	global_load_u8 v48, v[50:51], off
	global_load_u8 v46, v[52:53], off
.LBB0_10:                               ;   in Loop: Header=BB0_4 Depth=1
	s_wait_xcnt 0x0
	s_or_b32 exec_lo, exec_lo, s3
	v_dual_mov_b32 v49, 0 :: v_dual_mov_b32 v50, 0
	s_and_saveexec_b32 s3, s2
	s_cbranch_execz .LBB0_12
; %bb.11:                               ;   in Loop: Header=BB0_4 Depth=1
	v_add_nc_u64_e32 v[50:51], s[20:21], v[22:23]
	global_load_u8 v50, v[50:51], off
.LBB0_12:                               ;   in Loop: Header=BB0_4 Depth=1
	s_wait_xcnt 0x0
	s_or_b32 exec_lo, exec_lo, s3
	v_add_nc_u64_e32 v[52:53], s[20:21], v[16:17]
	v_mov_b32_e32 v51, 0
	s_delay_alu instid0(VALU_DEP_2)
	v_cmp_lt_u64_e64 s3, v[52:53], v[4:5]
	s_and_saveexec_b32 s4, s3
	s_cbranch_execz .LBB0_14
; %bb.13:                               ;   in Loop: Header=BB0_4 Depth=1
	v_add_nc_u64_e32 v[52:53], s[20:21], v[34:35]
	v_add_nc_u64_e32 v[54:55], s[20:21], v[36:37]
	global_load_u8 v51, v[52:53], off
	global_load_u8 v49, v[54:55], off
.LBB0_14:                               ;   in Loop: Header=BB0_4 Depth=1
	s_wait_xcnt 0x0
	s_or_b32 exec_lo, exec_lo, s4
	v_dual_mov_b32 v52, 0 :: v_dual_mov_b32 v53, 0
	s_and_saveexec_b32 s4, s3
	s_cbranch_execz .LBB0_16
; %bb.15:                               ;   in Loop: Header=BB0_4 Depth=1
	v_add_nc_u64_e32 v[54:55], s[20:21], v[38:39]
	global_load_u8 v53, v[54:55], off
.LBB0_16:                               ;   in Loop: Header=BB0_4 Depth=1
	s_wait_xcnt 0x0
	s_or_b32 exec_lo, exec_lo, s4
	v_add_nc_u64_e32 v[54:55], s[20:21], v[14:15]
	s_delay_alu instid0(VALU_DEP_1)
	v_cmp_lt_u64_e64 s4, v[54:55], v[4:5]
	v_mov_b32_e32 v54, 0
	s_and_saveexec_b32 s23, s4
	s_cbranch_execnz .LBB0_22
; %bb.17:                               ;   in Loop: Header=BB0_4 Depth=1
	s_or_b32 exec_lo, exec_lo, s23
	v_mov_b32_e32 v55, 0
	s_and_saveexec_b32 s23, s4
	s_cbranch_execnz .LBB0_23
.LBB0_18:                               ;   in Loop: Header=BB0_4 Depth=1
	s_or_b32 exec_lo, exec_lo, s23
	s_and_saveexec_b32 s23, vcc_lo
	s_cbranch_execnz .LBB0_24
.LBB0_19:                               ;   in Loop: Header=BB0_4 Depth=1
	s_or_b32 exec_lo, exec_lo, s23
	s_and_saveexec_b32 s23, s2
	s_cbranch_execnz .LBB0_25
.LBB0_20:                               ;   in Loop: Header=BB0_4 Depth=1
	s_or_b32 exec_lo, exec_lo, s23
	s_and_saveexec_b32 s2, s3
	s_cbranch_execnz .LBB0_26
.LBB0_21:                               ;   in Loop: Header=BB0_4 Depth=1
	s_or_b32 exec_lo, exec_lo, s2
	s_and_saveexec_b32 s2, s4
	s_cbranch_execz .LBB0_3
	s_branch .LBB0_27
.LBB0_22:                               ;   in Loop: Header=BB0_4 Depth=1
	v_add_nc_u64_e32 v[56:57], s[20:21], v[26:27]
	v_add_nc_u64_e32 v[58:59], s[20:21], v[28:29]
	global_load_u8 v54, v[56:57], off
	global_load_u8 v52, v[58:59], off
	s_wait_xcnt 0x0
	s_or_b32 exec_lo, exec_lo, s23
	v_mov_b32_e32 v55, 0
	s_and_saveexec_b32 s23, s4
	s_cbranch_execz .LBB0_18
.LBB0_23:                               ;   in Loop: Header=BB0_4 Depth=1
	v_add_nc_u64_e32 v[56:57], s[20:21], v[30:31]
	global_load_u8 v55, v[56:57], off
	s_wait_xcnt 0x0
	s_or_b32 exec_lo, exec_lo, s23
	s_and_saveexec_b32 s23, vcc_lo
	s_cbranch_execz .LBB0_19
.LBB0_24:                               ;   in Loop: Header=BB0_4 Depth=1
	s_wait_loadcnt 0x0
	v_mul_lo_u16 v45, v45, s22
	v_add_nc_u64_e32 v[56:57], s[20:21], v[12:13]
	s_delay_alu instid0(VALU_DEP_2)
	v_mad_u16 v44, v45, v47, v44
	global_store_b8 v[56:57], v44, off
	s_wait_xcnt 0x0
	s_or_b32 exec_lo, exec_lo, s23
	s_and_saveexec_b32 s23, s2
	s_cbranch_execz .LBB0_20
.LBB0_25:                               ;   in Loop: Header=BB0_4 Depth=1
	s_wait_loadcnt 0x0
	v_mul_lo_u16 v46, v46, s22
	v_add_nc_u64_e32 v[44:45], s[20:21], v[24:25]
	s_delay_alu instid0(VALU_DEP_2)
	v_mad_u16 v46, v46, v50, v48
	global_store_b8 v[44:45], v46, off
	s_wait_xcnt 0x0
	s_or_b32 exec_lo, exec_lo, s23
	s_and_saveexec_b32 s2, s3
	s_cbranch_execz .LBB0_21
.LBB0_26:                               ;   in Loop: Header=BB0_4 Depth=1
	s_wait_loadcnt 0x0
	v_mul_lo_u16 v46, v49, s22
	v_add_nc_u64_e32 v[44:45], s[20:21], v[40:41]
	s_delay_alu instid0(VALU_DEP_2)
	v_mad_u16 v46, v46, v53, v51
	global_store_b8 v[44:45], v46, off
	s_wait_xcnt 0x0
	s_or_b32 exec_lo, exec_lo, s2
	s_and_saveexec_b32 s2, s4
	s_cbranch_execz .LBB0_3
.LBB0_27:                               ;   in Loop: Header=BB0_4 Depth=1
	s_wait_loadcnt 0x0
	v_mul_lo_u16 v46, v52, s22
	v_add_nc_u64_e32 v[44:45], s[20:21], v[32:33]
	s_delay_alu instid0(VALU_DEP_2)
	v_mad_u16 v46, v46, v55, v54
	global_store_b8 v[44:45], v46, off
	s_branch .LBB0_3
.LBB0_28:
	s_mov_b32 s2, 0
.LBB0_29:
	s_delay_alu instid0(SALU_CYCLE_1)
	s_and_not1_b32 vcc_lo, exec_lo, s2
	s_cbranch_vccnz .LBB0_33
; %bb.30:
	v_min_i64 v[2:3], 0x10000, s[16:17]
	v_dual_mov_b32 v5, 0 :: v_dual_lshlrev_b32 v4, 2, v0
	s_mov_b32 s2, exec_lo
	s_delay_alu instid0(VALU_DEP_1)
	v_cmpx_lt_i64_e64 v[4:5], v[2:3]
	s_cbranch_execz .LBB0_33
; %bb.31:
	s_wait_xcnt 0x0
	s_load_b32 s0, s[0:1], 0xbfc
	v_mov_b32_e32 v1, v5
	v_add_nc_u64_e32 v[4:5], s[14:15], v[4:5]
	s_wait_xcnt 0x0
	s_mov_b32 s1, 0
	s_wait_kmcnt 0x0
	s_lshr_b32 s4, s5, 16
	s_mov_b32 s3, s1
	s_mov_b32 s5, s1
	s_and_b32 s0, s0, 0xffff
	s_delay_alu instid0(SALU_CYCLE_1)
	s_lshl_b32 s2, s0, 2
.LBB0_32:                               ; =>This Inner Loop Header: Depth=1
	v_add_nc_u64_e32 v[6:7], s[6:7], v[4:5]
	v_add_nc_u64_e32 v[8:9], s[12:13], v[4:5]
	v_add_nc_u64_e32 v[10:11], s[8:9], v[4:5]
	v_add_nc_u64_e32 v[0:1], s[0:1], v[0:1]
	global_load_b32 v12, v[6:7], off
	global_load_b32 v13, v[8:9], off
	;; [unrolled: 1-line block ×3, first 2 shown]
	s_wait_loadcnt 0x2
	s_wait_xcnt 0x1
	v_mul_lo_u16 v8, s4, v12
	s_wait_loadcnt 0x1
	v_dual_lshrrev_b32 v6, 8, v13 :: v_dual_lshrrev_b32 v7, 8, v12
	s_wait_loadcnt 0x0
	v_dual_lshrrev_b32 v9, 8, v14 :: v_dual_lshrrev_b32 v10, 16, v12
	v_dual_lshrrev_b32 v11, 16, v13 :: v_dual_lshrrev_b32 v15, 16, v14
	v_dual_lshrrev_b32 v12, 24, v12 :: v_dual_lshrrev_b32 v16, 24, v13
	v_mul_lo_u16 v7, s4, v7
	s_delay_alu instid0(VALU_DEP_4) | instskip(SKIP_1) | instid1(VALU_DEP_4)
	v_mul_lo_u16 v10, s4, v10
	v_lshrrev_b32_e32 v17, 24, v14
	v_mul_lo_u16 v12, s4, v12
	v_mad_u16 v8, v8, v14, v13
	v_mad_u16 v9, v7, v9, v6
	;; [unrolled: 1-line block ×3, first 2 shown]
	v_lshlrev_b64_e32 v[6:7], 2, v[0:1]
	v_mad_u16 v11, v12, v17, v16
	s_delay_alu instid0(VALU_DEP_4) | instskip(NEXT) | instid1(VALU_DEP_4)
	v_and_b32_e32 v9, 0xff, v9
	v_and_b32_e32 v10, 0xff, v10
	s_delay_alu instid0(VALU_DEP_3) | instskip(SKIP_1) | instid1(VALU_DEP_4)
	v_lshlrev_b32_e32 v11, 24, v11
	v_cmp_ge_i64_e32 vcc_lo, v[6:7], v[2:3]
	v_perm_b32 v8, v9, v8, 0x6050400
	s_delay_alu instid0(VALU_DEP_4) | instskip(SKIP_2) | instid1(VALU_DEP_3)
	v_lshlrev_b32_e32 v9, 16, v10
	v_add_nc_u64_e32 v[6:7], s[10:11], v[4:5]
	v_add_nc_u64_e32 v[4:5], s[2:3], v[4:5]
	v_or3_b32 v8, v8, v9, v11
	s_or_b32 s5, vcc_lo, s5
	global_store_b32 v[6:7], v8, off
	s_wait_xcnt 0x0
	s_and_not1_b32 exec_lo, exec_lo, s5
	s_cbranch_execnz .LBB0_32
.LBB0_33:
	s_endpgm
	.section	.rodata,"a",@progbits
	.p2align	6, 0x0
	.amdhsa_kernel _ZN2at6native12_GLOBAL__N_125multi_tensor_apply_kernelINS1_18TensorListMetadataILi4EEENS1_24PointwiseOpScalarFunctorIhLi4ELi3ELi3EEEJSt10multipliesIhEhEEEvT_T0_DpT1_
		.amdhsa_group_segment_fixed_size 0
		.amdhsa_private_segment_fixed_size 0
		.amdhsa_kernarg_size 3312
		.amdhsa_user_sgpr_count 2
		.amdhsa_user_sgpr_dispatch_ptr 0
		.amdhsa_user_sgpr_queue_ptr 0
		.amdhsa_user_sgpr_kernarg_segment_ptr 1
		.amdhsa_user_sgpr_dispatch_id 0
		.amdhsa_user_sgpr_kernarg_preload_length 0
		.amdhsa_user_sgpr_kernarg_preload_offset 0
		.amdhsa_user_sgpr_private_segment_size 0
		.amdhsa_wavefront_size32 1
		.amdhsa_uses_dynamic_stack 0
		.amdhsa_enable_private_segment 0
		.amdhsa_system_sgpr_workgroup_id_x 1
		.amdhsa_system_sgpr_workgroup_id_y 0
		.amdhsa_system_sgpr_workgroup_id_z 0
		.amdhsa_system_sgpr_workgroup_info 0
		.amdhsa_system_vgpr_workitem_id 0
		.amdhsa_next_free_vgpr 60
		.amdhsa_next_free_sgpr 24
		.amdhsa_named_barrier_count 0
		.amdhsa_reserve_vcc 1
		.amdhsa_float_round_mode_32 0
		.amdhsa_float_round_mode_16_64 0
		.amdhsa_float_denorm_mode_32 3
		.amdhsa_float_denorm_mode_16_64 3
		.amdhsa_fp16_overflow 0
		.amdhsa_memory_ordered 1
		.amdhsa_forward_progress 1
		.amdhsa_inst_pref_size 13
		.amdhsa_round_robin_scheduling 0
		.amdhsa_exception_fp_ieee_invalid_op 0
		.amdhsa_exception_fp_denorm_src 0
		.amdhsa_exception_fp_ieee_div_zero 0
		.amdhsa_exception_fp_ieee_overflow 0
		.amdhsa_exception_fp_ieee_underflow 0
		.amdhsa_exception_fp_ieee_inexact 0
		.amdhsa_exception_int_div_zero 0
	.end_amdhsa_kernel
	.section	.text._ZN2at6native12_GLOBAL__N_125multi_tensor_apply_kernelINS1_18TensorListMetadataILi4EEENS1_24PointwiseOpScalarFunctorIhLi4ELi3ELi3EEEJSt10multipliesIhEhEEEvT_T0_DpT1_,"axG",@progbits,_ZN2at6native12_GLOBAL__N_125multi_tensor_apply_kernelINS1_18TensorListMetadataILi4EEENS1_24PointwiseOpScalarFunctorIhLi4ELi3ELi3EEEJSt10multipliesIhEhEEEvT_T0_DpT1_,comdat
.Lfunc_end0:
	.size	_ZN2at6native12_GLOBAL__N_125multi_tensor_apply_kernelINS1_18TensorListMetadataILi4EEENS1_24PointwiseOpScalarFunctorIhLi4ELi3ELi3EEEJSt10multipliesIhEhEEEvT_T0_DpT1_, .Lfunc_end0-_ZN2at6native12_GLOBAL__N_125multi_tensor_apply_kernelINS1_18TensorListMetadataILi4EEENS1_24PointwiseOpScalarFunctorIhLi4ELi3ELi3EEEJSt10multipliesIhEhEEEvT_T0_DpT1_
                                        ; -- End function
	.set _ZN2at6native12_GLOBAL__N_125multi_tensor_apply_kernelINS1_18TensorListMetadataILi4EEENS1_24PointwiseOpScalarFunctorIhLi4ELi3ELi3EEEJSt10multipliesIhEhEEEvT_T0_DpT1_.num_vgpr, 60
	.set _ZN2at6native12_GLOBAL__N_125multi_tensor_apply_kernelINS1_18TensorListMetadataILi4EEENS1_24PointwiseOpScalarFunctorIhLi4ELi3ELi3EEEJSt10multipliesIhEhEEEvT_T0_DpT1_.num_agpr, 0
	.set _ZN2at6native12_GLOBAL__N_125multi_tensor_apply_kernelINS1_18TensorListMetadataILi4EEENS1_24PointwiseOpScalarFunctorIhLi4ELi3ELi3EEEJSt10multipliesIhEhEEEvT_T0_DpT1_.numbered_sgpr, 24
	.set _ZN2at6native12_GLOBAL__N_125multi_tensor_apply_kernelINS1_18TensorListMetadataILi4EEENS1_24PointwiseOpScalarFunctorIhLi4ELi3ELi3EEEJSt10multipliesIhEhEEEvT_T0_DpT1_.num_named_barrier, 0
	.set _ZN2at6native12_GLOBAL__N_125multi_tensor_apply_kernelINS1_18TensorListMetadataILi4EEENS1_24PointwiseOpScalarFunctorIhLi4ELi3ELi3EEEJSt10multipliesIhEhEEEvT_T0_DpT1_.private_seg_size, 0
	.set _ZN2at6native12_GLOBAL__N_125multi_tensor_apply_kernelINS1_18TensorListMetadataILi4EEENS1_24PointwiseOpScalarFunctorIhLi4ELi3ELi3EEEJSt10multipliesIhEhEEEvT_T0_DpT1_.uses_vcc, 1
	.set _ZN2at6native12_GLOBAL__N_125multi_tensor_apply_kernelINS1_18TensorListMetadataILi4EEENS1_24PointwiseOpScalarFunctorIhLi4ELi3ELi3EEEJSt10multipliesIhEhEEEvT_T0_DpT1_.uses_flat_scratch, 0
	.set _ZN2at6native12_GLOBAL__N_125multi_tensor_apply_kernelINS1_18TensorListMetadataILi4EEENS1_24PointwiseOpScalarFunctorIhLi4ELi3ELi3EEEJSt10multipliesIhEhEEEvT_T0_DpT1_.has_dyn_sized_stack, 0
	.set _ZN2at6native12_GLOBAL__N_125multi_tensor_apply_kernelINS1_18TensorListMetadataILi4EEENS1_24PointwiseOpScalarFunctorIhLi4ELi3ELi3EEEJSt10multipliesIhEhEEEvT_T0_DpT1_.has_recursion, 0
	.set _ZN2at6native12_GLOBAL__N_125multi_tensor_apply_kernelINS1_18TensorListMetadataILi4EEENS1_24PointwiseOpScalarFunctorIhLi4ELi3ELi3EEEJSt10multipliesIhEhEEEvT_T0_DpT1_.has_indirect_call, 0
	.section	.AMDGPU.csdata,"",@progbits
; Kernel info:
; codeLenInByte = 1604
; TotalNumSgprs: 26
; NumVgprs: 60
; ScratchSize: 0
; MemoryBound: 0
; FloatMode: 240
; IeeeMode: 1
; LDSByteSize: 0 bytes/workgroup (compile time only)
; SGPRBlocks: 0
; VGPRBlocks: 3
; NumSGPRsForWavesPerEU: 26
; NumVGPRsForWavesPerEU: 60
; NamedBarCnt: 0
; Occupancy: 16
; WaveLimiterHint : 0
; COMPUTE_PGM_RSRC2:SCRATCH_EN: 0
; COMPUTE_PGM_RSRC2:USER_SGPR: 2
; COMPUTE_PGM_RSRC2:TRAP_HANDLER: 0
; COMPUTE_PGM_RSRC2:TGID_X_EN: 1
; COMPUTE_PGM_RSRC2:TGID_Y_EN: 0
; COMPUTE_PGM_RSRC2:TGID_Z_EN: 0
; COMPUTE_PGM_RSRC2:TIDIG_COMP_CNT: 0
	.section	.text._ZN2at6native12_GLOBAL__N_125multi_tensor_apply_kernelINS1_18TensorListMetadataILi4EEENS1_24PointwiseOpScalarFunctorIaLi4ELi3ELi3EEEJSt10multipliesIaEaEEEvT_T0_DpT1_,"axG",@progbits,_ZN2at6native12_GLOBAL__N_125multi_tensor_apply_kernelINS1_18TensorListMetadataILi4EEENS1_24PointwiseOpScalarFunctorIaLi4ELi3ELi3EEEJSt10multipliesIaEaEEEvT_T0_DpT1_,comdat
	.globl	_ZN2at6native12_GLOBAL__N_125multi_tensor_apply_kernelINS1_18TensorListMetadataILi4EEENS1_24PointwiseOpScalarFunctorIaLi4ELi3ELi3EEEJSt10multipliesIaEaEEEvT_T0_DpT1_ ; -- Begin function _ZN2at6native12_GLOBAL__N_125multi_tensor_apply_kernelINS1_18TensorListMetadataILi4EEENS1_24PointwiseOpScalarFunctorIaLi4ELi3ELi3EEEJSt10multipliesIaEaEEEvT_T0_DpT1_
	.p2align	8
	.type	_ZN2at6native12_GLOBAL__N_125multi_tensor_apply_kernelINS1_18TensorListMetadataILi4EEENS1_24PointwiseOpScalarFunctorIaLi4ELi3ELi3EEEJSt10multipliesIaEaEEEvT_T0_DpT1_,@function
_ZN2at6native12_GLOBAL__N_125multi_tensor_apply_kernelINS1_18TensorListMetadataILi4EEENS1_24PointwiseOpScalarFunctorIaLi4ELi3ELi3EEEJSt10multipliesIaEaEEEvT_T0_DpT1_: ; @_ZN2at6native12_GLOBAL__N_125multi_tensor_apply_kernelINS1_18TensorListMetadataILi4EEENS1_24PointwiseOpScalarFunctorIaLi4ELi3ELi3EEEJSt10multipliesIaEaEEEvT_T0_DpT1_
; %bb.0:
	s_bfe_u32 s2, ttmp6, 0x4000c
	s_and_b32 s3, ttmp6, 15
	s_add_co_i32 s2, s2, 1
	s_getreg_b32 s4, hwreg(HW_REG_IB_STS2, 6, 4)
	s_mul_i32 s2, ttmp9, s2
	s_delay_alu instid0(SALU_CYCLE_1)
	s_add_co_i32 s3, s3, s2
	s_cmp_eq_u32 s4, 0
	s_cselect_b32 s2, ttmp9, s3
	s_mov_b32 s3, 0
	s_load_u8 s15, s[0:1], s2 offset:0x5a0
	s_add_nc_u64 s[4:5], s[0:1], s[2:3]
	s_mul_u64 s[6:7], s[2:3], 3
	s_delay_alu instid0(SALU_CYCLE_1)
	s_add_nc_u64 s[4:5], s[4:5], s[6:7]
	s_load_b32 s14, s[4:5], 0x6e0
	s_wait_kmcnt 0x0
	s_clause 0x4
	s_load_b64 s[6:7], s[0:1], s15 offset:0x120 scale_offset
	s_load_b64 s[8:9], s[0:1], s15 offset:0x240 scale_offset
	;; [unrolled: 1-line block ×5, first 2 shown]
	s_wait_xcnt 0x0
	s_ashr_i32 s15, s14, 31
	s_delay_alu instid0(SALU_CYCLE_1)
	s_lshl_b64 s[14:15], s[14:15], 16
	s_wait_kmcnt 0x0
	s_add_nc_u64 s[4:5], s[6:7], s[14:15]
	s_add_nc_u64 s[18:19], s[12:13], s[14:15]
	s_and_b32 s2, s4, 3
	s_add_nc_u64 s[4:5], s[8:9], s[14:15]
	s_cmp_eq_u64 s[2:3], 0
	s_load_b32 s5, s[0:1], 0xbe8
	s_cselect_b32 s20, -1, 0
	s_or_b32 s2, s10, s4
	s_delay_alu instid0(SALU_CYCLE_1) | instskip(NEXT) | instid1(SALU_CYCLE_1)
	s_and_b32 s2, s2, 3
	s_cmp_eq_u32 s2, 0
	s_cselect_b32 s4, -1, 0
	s_or_b64 s[18:19], s[16:17], s[18:19]
	s_and_b32 s4, s4, s20
	s_and_b32 s2, s18, 3
	s_sub_nc_u64 s[16:17], s[16:17], s[14:15]
	s_cmp_eq_u64 s[2:3], 0
	s_cselect_b32 s2, -1, 0
	s_delay_alu instid0(SALU_CYCLE_1) | instskip(NEXT) | instid1(SALU_CYCLE_1)
	s_and_b32 s2, s4, s2
	s_and_b32 vcc_lo, exec_lo, s2
	s_mov_b32 s2, -1
	s_cbranch_vccnz .LBB1_29
; %bb.1:
	v_cmp_lt_i64_e64 s2, s[16:17], 1
	s_and_b32 vcc_lo, exec_lo, s2
	s_cbranch_vccnz .LBB1_28
; %bb.2:
	s_load_b32 s2, s[0:1], 0xbfc
	v_min_i64 v[2:3], 0x10000, s[16:17]
	v_min_u64 v[4:5], 0x10000, s[16:17]
	v_mov_b32_e32 v1, 0
	s_mov_b32 s19, 0
	s_delay_alu instid0(SALU_CYCLE_1) | instskip(SKIP_1) | instid1(VALU_DEP_1)
	s_mov_b32 s3, s19
	s_mov_b32 s21, s19
	v_add_nc_u64_e32 v[14:15], s[14:15], v[0:1]
	s_delay_alu instid0(VALU_DEP_1)
	v_add_nc_u64_e32 v[6:7], s[12:13], v[14:15]
	v_add_nc_u64_e32 v[8:9], s[6:7], v[14:15]
	v_add_nc_u64_e32 v[10:11], s[8:9], v[14:15]
	v_add_nc_u64_e32 v[12:13], s[10:11], v[14:15]
	s_wait_kmcnt 0x0
	s_and_b32 s18, s2, 0xffff
	s_delay_alu instid0(SALU_CYCLE_1)
	s_lshl_b32 s2, s18, 1
	s_mul_i32 s20, s18, 3
	v_add_nc_u64_e32 v[24:25], s[18:19], v[14:15]
	s_add_nc_u64 s[22:23], s[14:15], s[20:21]
	v_add_nc_u64_e32 v[14:15], s[20:21], v[0:1]
	s_add_nc_u64 s[20:21], s[14:15], s[2:3]
	v_add_nc_u64_e32 v[32:33], s[22:23], v[0:1]
	v_add_nc_u64_e32 v[40:41], s[20:21], v[0:1]
	;; [unrolled: 1-line block ×16, first 2 shown]
	s_lshl_b32 s18, s18, 2
	s_mov_b64 s[20:21], 0
	s_lshr_b32 s22, s5, 16
	s_branch .LBB1_4
.LBB1_3:                                ;   in Loop: Header=BB1_4 Depth=1
	s_wait_xcnt 0x0
	s_or_b32 exec_lo, exec_lo, s2
	s_add_nc_u64 s[20:21], s[20:21], s[18:19]
	s_delay_alu instid0(SALU_CYCLE_1)
	v_cmp_lt_i64_e32 vcc_lo, s[20:21], v[2:3]
	s_cbranch_vccz .LBB1_28
.LBB1_4:                                ; =>This Inner Loop Header: Depth=1
	s_wait_loadcnt 0x0
	v_add_nc_u64_e32 v[44:45], s[20:21], v[0:1]
	s_delay_alu instid0(VALU_DEP_1)
	v_cmp_lt_u64_e32 vcc_lo, v[44:45], v[4:5]
	v_dual_mov_b32 v45, 0 :: v_dual_mov_b32 v44, 0
	s_and_saveexec_b32 s2, vcc_lo
	s_cbranch_execz .LBB1_6
; %bb.5:                                ;   in Loop: Header=BB1_4 Depth=1
	v_add_nc_u64_e32 v[46:47], s[20:21], v[6:7]
	v_add_nc_u64_e32 v[48:49], s[20:21], v[8:9]
	global_load_u8 v44, v[46:47], off
	global_load_u8 v45, v[48:49], off
.LBB1_6:                                ;   in Loop: Header=BB1_4 Depth=1
	s_wait_xcnt 0x0
	s_or_b32 exec_lo, exec_lo, s2
	v_dual_mov_b32 v46, 0 :: v_dual_mov_b32 v47, 0
	s_and_saveexec_b32 s2, vcc_lo
	s_cbranch_execz .LBB1_8
; %bb.7:                                ;   in Loop: Header=BB1_4 Depth=1
	v_add_nc_u64_e32 v[48:49], s[20:21], v[10:11]
	global_load_u8 v47, v[48:49], off
.LBB1_8:                                ;   in Loop: Header=BB1_4 Depth=1
	s_wait_xcnt 0x0
	s_or_b32 exec_lo, exec_lo, s2
	v_add_nc_u64_e32 v[48:49], s[20:21], v[42:43]
	s_delay_alu instid0(VALU_DEP_1)
	v_cmp_lt_u64_e64 s2, v[48:49], v[4:5]
	v_mov_b32_e32 v48, 0
	s_and_saveexec_b32 s3, s2
	s_cbranch_execz .LBB1_10
; %bb.9:                                ;   in Loop: Header=BB1_4 Depth=1
	v_add_nc_u64_e32 v[50:51], s[20:21], v[18:19]
	v_add_nc_u64_e32 v[52:53], s[20:21], v[20:21]
	global_load_u8 v48, v[50:51], off
	global_load_u8 v46, v[52:53], off
.LBB1_10:                               ;   in Loop: Header=BB1_4 Depth=1
	s_wait_xcnt 0x0
	s_or_b32 exec_lo, exec_lo, s3
	v_dual_mov_b32 v49, 0 :: v_dual_mov_b32 v50, 0
	s_and_saveexec_b32 s3, s2
	s_cbranch_execz .LBB1_12
; %bb.11:                               ;   in Loop: Header=BB1_4 Depth=1
	v_add_nc_u64_e32 v[50:51], s[20:21], v[22:23]
	global_load_u8 v50, v[50:51], off
.LBB1_12:                               ;   in Loop: Header=BB1_4 Depth=1
	s_wait_xcnt 0x0
	s_or_b32 exec_lo, exec_lo, s3
	v_add_nc_u64_e32 v[52:53], s[20:21], v[16:17]
	v_mov_b32_e32 v51, 0
	s_delay_alu instid0(VALU_DEP_2)
	v_cmp_lt_u64_e64 s3, v[52:53], v[4:5]
	s_and_saveexec_b32 s4, s3
	s_cbranch_execz .LBB1_14
; %bb.13:                               ;   in Loop: Header=BB1_4 Depth=1
	v_add_nc_u64_e32 v[52:53], s[20:21], v[34:35]
	v_add_nc_u64_e32 v[54:55], s[20:21], v[36:37]
	global_load_u8 v51, v[52:53], off
	global_load_u8 v49, v[54:55], off
.LBB1_14:                               ;   in Loop: Header=BB1_4 Depth=1
	s_wait_xcnt 0x0
	s_or_b32 exec_lo, exec_lo, s4
	v_dual_mov_b32 v52, 0 :: v_dual_mov_b32 v53, 0
	s_and_saveexec_b32 s4, s3
	s_cbranch_execz .LBB1_16
; %bb.15:                               ;   in Loop: Header=BB1_4 Depth=1
	v_add_nc_u64_e32 v[54:55], s[20:21], v[38:39]
	global_load_u8 v53, v[54:55], off
.LBB1_16:                               ;   in Loop: Header=BB1_4 Depth=1
	s_wait_xcnt 0x0
	s_or_b32 exec_lo, exec_lo, s4
	v_add_nc_u64_e32 v[54:55], s[20:21], v[14:15]
	s_delay_alu instid0(VALU_DEP_1)
	v_cmp_lt_u64_e64 s4, v[54:55], v[4:5]
	v_mov_b32_e32 v54, 0
	s_and_saveexec_b32 s23, s4
	s_cbranch_execnz .LBB1_22
; %bb.17:                               ;   in Loop: Header=BB1_4 Depth=1
	s_or_b32 exec_lo, exec_lo, s23
	v_mov_b32_e32 v55, 0
	s_and_saveexec_b32 s23, s4
	s_cbranch_execnz .LBB1_23
.LBB1_18:                               ;   in Loop: Header=BB1_4 Depth=1
	s_or_b32 exec_lo, exec_lo, s23
	s_and_saveexec_b32 s23, vcc_lo
	s_cbranch_execnz .LBB1_24
.LBB1_19:                               ;   in Loop: Header=BB1_4 Depth=1
	s_or_b32 exec_lo, exec_lo, s23
	s_and_saveexec_b32 s23, s2
	s_cbranch_execnz .LBB1_25
.LBB1_20:                               ;   in Loop: Header=BB1_4 Depth=1
	s_or_b32 exec_lo, exec_lo, s23
	s_and_saveexec_b32 s2, s3
	s_cbranch_execnz .LBB1_26
.LBB1_21:                               ;   in Loop: Header=BB1_4 Depth=1
	s_or_b32 exec_lo, exec_lo, s2
	s_and_saveexec_b32 s2, s4
	s_cbranch_execz .LBB1_3
	s_branch .LBB1_27
.LBB1_22:                               ;   in Loop: Header=BB1_4 Depth=1
	v_add_nc_u64_e32 v[56:57], s[20:21], v[26:27]
	v_add_nc_u64_e32 v[58:59], s[20:21], v[28:29]
	global_load_u8 v54, v[56:57], off
	global_load_u8 v52, v[58:59], off
	s_wait_xcnt 0x0
	s_or_b32 exec_lo, exec_lo, s23
	v_mov_b32_e32 v55, 0
	s_and_saveexec_b32 s23, s4
	s_cbranch_execz .LBB1_18
.LBB1_23:                               ;   in Loop: Header=BB1_4 Depth=1
	v_add_nc_u64_e32 v[56:57], s[20:21], v[30:31]
	global_load_u8 v55, v[56:57], off
	s_wait_xcnt 0x0
	s_or_b32 exec_lo, exec_lo, s23
	s_and_saveexec_b32 s23, vcc_lo
	s_cbranch_execz .LBB1_19
.LBB1_24:                               ;   in Loop: Header=BB1_4 Depth=1
	s_wait_loadcnt 0x0
	v_mul_lo_u16 v45, v45, s22
	v_add_nc_u64_e32 v[56:57], s[20:21], v[12:13]
	s_delay_alu instid0(VALU_DEP_2)
	v_mad_u16 v44, v45, v47, v44
	global_store_b8 v[56:57], v44, off
	s_wait_xcnt 0x0
	s_or_b32 exec_lo, exec_lo, s23
	s_and_saveexec_b32 s23, s2
	s_cbranch_execz .LBB1_20
.LBB1_25:                               ;   in Loop: Header=BB1_4 Depth=1
	s_wait_loadcnt 0x0
	v_mul_lo_u16 v46, v46, s22
	v_add_nc_u64_e32 v[44:45], s[20:21], v[24:25]
	s_delay_alu instid0(VALU_DEP_2)
	v_mad_u16 v46, v46, v50, v48
	global_store_b8 v[44:45], v46, off
	s_wait_xcnt 0x0
	s_or_b32 exec_lo, exec_lo, s23
	s_and_saveexec_b32 s2, s3
	s_cbranch_execz .LBB1_21
.LBB1_26:                               ;   in Loop: Header=BB1_4 Depth=1
	s_wait_loadcnt 0x0
	v_mul_lo_u16 v46, v49, s22
	v_add_nc_u64_e32 v[44:45], s[20:21], v[40:41]
	s_delay_alu instid0(VALU_DEP_2)
	v_mad_u16 v46, v46, v53, v51
	global_store_b8 v[44:45], v46, off
	s_wait_xcnt 0x0
	s_or_b32 exec_lo, exec_lo, s2
	s_and_saveexec_b32 s2, s4
	s_cbranch_execz .LBB1_3
.LBB1_27:                               ;   in Loop: Header=BB1_4 Depth=1
	s_wait_loadcnt 0x0
	v_mul_lo_u16 v46, v52, s22
	v_add_nc_u64_e32 v[44:45], s[20:21], v[32:33]
	s_delay_alu instid0(VALU_DEP_2)
	v_mad_u16 v46, v46, v55, v54
	global_store_b8 v[44:45], v46, off
	s_branch .LBB1_3
.LBB1_28:
	s_mov_b32 s2, 0
.LBB1_29:
	s_delay_alu instid0(SALU_CYCLE_1)
	s_and_not1_b32 vcc_lo, exec_lo, s2
	s_cbranch_vccnz .LBB1_33
; %bb.30:
	v_min_i64 v[2:3], 0x10000, s[16:17]
	v_dual_mov_b32 v5, 0 :: v_dual_lshlrev_b32 v4, 2, v0
	s_mov_b32 s2, exec_lo
	s_delay_alu instid0(VALU_DEP_1)
	v_cmpx_lt_i64_e64 v[4:5], v[2:3]
	s_cbranch_execz .LBB1_33
; %bb.31:
	s_wait_xcnt 0x0
	s_load_b32 s0, s[0:1], 0xbfc
	v_mov_b32_e32 v1, v5
	v_add_nc_u64_e32 v[4:5], s[14:15], v[4:5]
	s_wait_xcnt 0x0
	s_mov_b32 s1, 0
	s_wait_kmcnt 0x0
	s_lshr_b32 s4, s5, 16
	s_mov_b32 s3, s1
	s_mov_b32 s5, s1
	s_and_b32 s0, s0, 0xffff
	s_delay_alu instid0(SALU_CYCLE_1)
	s_lshl_b32 s2, s0, 2
.LBB1_32:                               ; =>This Inner Loop Header: Depth=1
	v_add_nc_u64_e32 v[6:7], s[6:7], v[4:5]
	v_add_nc_u64_e32 v[8:9], s[12:13], v[4:5]
	;; [unrolled: 1-line block ×4, first 2 shown]
	global_load_b32 v12, v[6:7], off
	global_load_b32 v13, v[8:9], off
	global_load_b32 v14, v[10:11], off
	s_wait_loadcnt 0x2
	s_wait_xcnt 0x1
	v_mul_lo_u16 v8, s4, v12
	s_wait_loadcnt 0x1
	v_dual_lshrrev_b32 v6, 8, v13 :: v_dual_lshrrev_b32 v7, 8, v12
	s_wait_loadcnt 0x0
	v_dual_lshrrev_b32 v9, 8, v14 :: v_dual_lshrrev_b32 v10, 16, v12
	v_dual_lshrrev_b32 v11, 16, v13 :: v_dual_lshrrev_b32 v15, 16, v14
	;; [unrolled: 1-line block ×3, first 2 shown]
	v_mul_lo_u16 v7, s4, v7
	s_delay_alu instid0(VALU_DEP_4) | instskip(SKIP_1) | instid1(VALU_DEP_4)
	v_mul_lo_u16 v10, s4, v10
	v_lshrrev_b32_e32 v17, 24, v14
	v_mul_lo_u16 v12, s4, v12
	v_mad_u16 v8, v8, v14, v13
	v_mad_u16 v9, v7, v9, v6
	;; [unrolled: 1-line block ×3, first 2 shown]
	v_lshlrev_b64_e32 v[6:7], 2, v[0:1]
	v_mad_u16 v11, v12, v17, v16
	s_delay_alu instid0(VALU_DEP_4) | instskip(NEXT) | instid1(VALU_DEP_4)
	v_and_b32_e32 v9, 0xff, v9
	v_and_b32_e32 v10, 0xff, v10
	s_delay_alu instid0(VALU_DEP_3) | instskip(SKIP_1) | instid1(VALU_DEP_4)
	v_lshlrev_b32_e32 v11, 24, v11
	v_cmp_ge_i64_e32 vcc_lo, v[6:7], v[2:3]
	v_perm_b32 v8, v9, v8, 0x6050400
	s_delay_alu instid0(VALU_DEP_4) | instskip(SKIP_2) | instid1(VALU_DEP_3)
	v_lshlrev_b32_e32 v9, 16, v10
	v_add_nc_u64_e32 v[6:7], s[10:11], v[4:5]
	v_add_nc_u64_e32 v[4:5], s[2:3], v[4:5]
	v_or3_b32 v8, v8, v9, v11
	s_or_b32 s5, vcc_lo, s5
	global_store_b32 v[6:7], v8, off
	s_wait_xcnt 0x0
	s_and_not1_b32 exec_lo, exec_lo, s5
	s_cbranch_execnz .LBB1_32
.LBB1_33:
	s_endpgm
	.section	.rodata,"a",@progbits
	.p2align	6, 0x0
	.amdhsa_kernel _ZN2at6native12_GLOBAL__N_125multi_tensor_apply_kernelINS1_18TensorListMetadataILi4EEENS1_24PointwiseOpScalarFunctorIaLi4ELi3ELi3EEEJSt10multipliesIaEaEEEvT_T0_DpT1_
		.amdhsa_group_segment_fixed_size 0
		.amdhsa_private_segment_fixed_size 0
		.amdhsa_kernarg_size 3312
		.amdhsa_user_sgpr_count 2
		.amdhsa_user_sgpr_dispatch_ptr 0
		.amdhsa_user_sgpr_queue_ptr 0
		.amdhsa_user_sgpr_kernarg_segment_ptr 1
		.amdhsa_user_sgpr_dispatch_id 0
		.amdhsa_user_sgpr_kernarg_preload_length 0
		.amdhsa_user_sgpr_kernarg_preload_offset 0
		.amdhsa_user_sgpr_private_segment_size 0
		.amdhsa_wavefront_size32 1
		.amdhsa_uses_dynamic_stack 0
		.amdhsa_enable_private_segment 0
		.amdhsa_system_sgpr_workgroup_id_x 1
		.amdhsa_system_sgpr_workgroup_id_y 0
		.amdhsa_system_sgpr_workgroup_id_z 0
		.amdhsa_system_sgpr_workgroup_info 0
		.amdhsa_system_vgpr_workitem_id 0
		.amdhsa_next_free_vgpr 60
		.amdhsa_next_free_sgpr 24
		.amdhsa_named_barrier_count 0
		.amdhsa_reserve_vcc 1
		.amdhsa_float_round_mode_32 0
		.amdhsa_float_round_mode_16_64 0
		.amdhsa_float_denorm_mode_32 3
		.amdhsa_float_denorm_mode_16_64 3
		.amdhsa_fp16_overflow 0
		.amdhsa_memory_ordered 1
		.amdhsa_forward_progress 1
		.amdhsa_inst_pref_size 13
		.amdhsa_round_robin_scheduling 0
		.amdhsa_exception_fp_ieee_invalid_op 0
		.amdhsa_exception_fp_denorm_src 0
		.amdhsa_exception_fp_ieee_div_zero 0
		.amdhsa_exception_fp_ieee_overflow 0
		.amdhsa_exception_fp_ieee_underflow 0
		.amdhsa_exception_fp_ieee_inexact 0
		.amdhsa_exception_int_div_zero 0
	.end_amdhsa_kernel
	.section	.text._ZN2at6native12_GLOBAL__N_125multi_tensor_apply_kernelINS1_18TensorListMetadataILi4EEENS1_24PointwiseOpScalarFunctorIaLi4ELi3ELi3EEEJSt10multipliesIaEaEEEvT_T0_DpT1_,"axG",@progbits,_ZN2at6native12_GLOBAL__N_125multi_tensor_apply_kernelINS1_18TensorListMetadataILi4EEENS1_24PointwiseOpScalarFunctorIaLi4ELi3ELi3EEEJSt10multipliesIaEaEEEvT_T0_DpT1_,comdat
.Lfunc_end1:
	.size	_ZN2at6native12_GLOBAL__N_125multi_tensor_apply_kernelINS1_18TensorListMetadataILi4EEENS1_24PointwiseOpScalarFunctorIaLi4ELi3ELi3EEEJSt10multipliesIaEaEEEvT_T0_DpT1_, .Lfunc_end1-_ZN2at6native12_GLOBAL__N_125multi_tensor_apply_kernelINS1_18TensorListMetadataILi4EEENS1_24PointwiseOpScalarFunctorIaLi4ELi3ELi3EEEJSt10multipliesIaEaEEEvT_T0_DpT1_
                                        ; -- End function
	.set _ZN2at6native12_GLOBAL__N_125multi_tensor_apply_kernelINS1_18TensorListMetadataILi4EEENS1_24PointwiseOpScalarFunctorIaLi4ELi3ELi3EEEJSt10multipliesIaEaEEEvT_T0_DpT1_.num_vgpr, 60
	.set _ZN2at6native12_GLOBAL__N_125multi_tensor_apply_kernelINS1_18TensorListMetadataILi4EEENS1_24PointwiseOpScalarFunctorIaLi4ELi3ELi3EEEJSt10multipliesIaEaEEEvT_T0_DpT1_.num_agpr, 0
	.set _ZN2at6native12_GLOBAL__N_125multi_tensor_apply_kernelINS1_18TensorListMetadataILi4EEENS1_24PointwiseOpScalarFunctorIaLi4ELi3ELi3EEEJSt10multipliesIaEaEEEvT_T0_DpT1_.numbered_sgpr, 24
	.set _ZN2at6native12_GLOBAL__N_125multi_tensor_apply_kernelINS1_18TensorListMetadataILi4EEENS1_24PointwiseOpScalarFunctorIaLi4ELi3ELi3EEEJSt10multipliesIaEaEEEvT_T0_DpT1_.num_named_barrier, 0
	.set _ZN2at6native12_GLOBAL__N_125multi_tensor_apply_kernelINS1_18TensorListMetadataILi4EEENS1_24PointwiseOpScalarFunctorIaLi4ELi3ELi3EEEJSt10multipliesIaEaEEEvT_T0_DpT1_.private_seg_size, 0
	.set _ZN2at6native12_GLOBAL__N_125multi_tensor_apply_kernelINS1_18TensorListMetadataILi4EEENS1_24PointwiseOpScalarFunctorIaLi4ELi3ELi3EEEJSt10multipliesIaEaEEEvT_T0_DpT1_.uses_vcc, 1
	.set _ZN2at6native12_GLOBAL__N_125multi_tensor_apply_kernelINS1_18TensorListMetadataILi4EEENS1_24PointwiseOpScalarFunctorIaLi4ELi3ELi3EEEJSt10multipliesIaEaEEEvT_T0_DpT1_.uses_flat_scratch, 0
	.set _ZN2at6native12_GLOBAL__N_125multi_tensor_apply_kernelINS1_18TensorListMetadataILi4EEENS1_24PointwiseOpScalarFunctorIaLi4ELi3ELi3EEEJSt10multipliesIaEaEEEvT_T0_DpT1_.has_dyn_sized_stack, 0
	.set _ZN2at6native12_GLOBAL__N_125multi_tensor_apply_kernelINS1_18TensorListMetadataILi4EEENS1_24PointwiseOpScalarFunctorIaLi4ELi3ELi3EEEJSt10multipliesIaEaEEEvT_T0_DpT1_.has_recursion, 0
	.set _ZN2at6native12_GLOBAL__N_125multi_tensor_apply_kernelINS1_18TensorListMetadataILi4EEENS1_24PointwiseOpScalarFunctorIaLi4ELi3ELi3EEEJSt10multipliesIaEaEEEvT_T0_DpT1_.has_indirect_call, 0
	.section	.AMDGPU.csdata,"",@progbits
; Kernel info:
; codeLenInByte = 1604
; TotalNumSgprs: 26
; NumVgprs: 60
; ScratchSize: 0
; MemoryBound: 0
; FloatMode: 240
; IeeeMode: 1
; LDSByteSize: 0 bytes/workgroup (compile time only)
; SGPRBlocks: 0
; VGPRBlocks: 3
; NumSGPRsForWavesPerEU: 26
; NumVGPRsForWavesPerEU: 60
; NamedBarCnt: 0
; Occupancy: 16
; WaveLimiterHint : 0
; COMPUTE_PGM_RSRC2:SCRATCH_EN: 0
; COMPUTE_PGM_RSRC2:USER_SGPR: 2
; COMPUTE_PGM_RSRC2:TRAP_HANDLER: 0
; COMPUTE_PGM_RSRC2:TGID_X_EN: 1
; COMPUTE_PGM_RSRC2:TGID_Y_EN: 0
; COMPUTE_PGM_RSRC2:TGID_Z_EN: 0
; COMPUTE_PGM_RSRC2:TIDIG_COMP_CNT: 0
	.section	.text._ZN2at6native12_GLOBAL__N_125multi_tensor_apply_kernelINS1_18TensorListMetadataILi4EEENS1_24PointwiseOpScalarFunctorIiLi4ELi3ELi3EEEJSt10multipliesIiEiEEEvT_T0_DpT1_,"axG",@progbits,_ZN2at6native12_GLOBAL__N_125multi_tensor_apply_kernelINS1_18TensorListMetadataILi4EEENS1_24PointwiseOpScalarFunctorIiLi4ELi3ELi3EEEJSt10multipliesIiEiEEEvT_T0_DpT1_,comdat
	.globl	_ZN2at6native12_GLOBAL__N_125multi_tensor_apply_kernelINS1_18TensorListMetadataILi4EEENS1_24PointwiseOpScalarFunctorIiLi4ELi3ELi3EEEJSt10multipliesIiEiEEEvT_T0_DpT1_ ; -- Begin function _ZN2at6native12_GLOBAL__N_125multi_tensor_apply_kernelINS1_18TensorListMetadataILi4EEENS1_24PointwiseOpScalarFunctorIiLi4ELi3ELi3EEEJSt10multipliesIiEiEEEvT_T0_DpT1_
	.p2align	8
	.type	_ZN2at6native12_GLOBAL__N_125multi_tensor_apply_kernelINS1_18TensorListMetadataILi4EEENS1_24PointwiseOpScalarFunctorIiLi4ELi3ELi3EEEJSt10multipliesIiEiEEEvT_T0_DpT1_,@function
_ZN2at6native12_GLOBAL__N_125multi_tensor_apply_kernelINS1_18TensorListMetadataILi4EEENS1_24PointwiseOpScalarFunctorIiLi4ELi3ELi3EEEJSt10multipliesIiEiEEEvT_T0_DpT1_: ; @_ZN2at6native12_GLOBAL__N_125multi_tensor_apply_kernelINS1_18TensorListMetadataILi4EEENS1_24PointwiseOpScalarFunctorIiLi4ELi3ELi3EEEJSt10multipliesIiEiEEEvT_T0_DpT1_
; %bb.0:
	s_bfe_u32 s2, ttmp6, 0x4000c
	s_and_b32 s3, ttmp6, 15
	s_add_co_i32 s2, s2, 1
	s_getreg_b32 s4, hwreg(HW_REG_IB_STS2, 6, 4)
	s_mul_i32 s2, ttmp9, s2
	s_load_b32 s24, s[0:1], 0xbec
	s_add_co_i32 s3, s3, s2
	s_cmp_eq_u32 s4, 0
	s_cselect_b32 s2, ttmp9, s3
	s_mov_b32 s3, 0
	s_load_u8 s14, s[0:1], s2 offset:0x5a0
	s_add_nc_u64 s[4:5], s[0:1], s[2:3]
	s_mul_u64 s[6:7], s[2:3], 3
	s_delay_alu instid0(SALU_CYCLE_1)
	s_add_nc_u64 s[4:5], s[4:5], s[6:7]
	s_load_b32 s16, s[4:5], 0x6e0
	s_wait_kmcnt 0x0
	s_clause 0x4
	s_load_b64 s[10:11], s[0:1], s14 offset:0x120 scale_offset
	s_load_b64 s[12:13], s[0:1], s14 offset:0x0 scale_offset
	;; [unrolled: 1-line block ×5, first 2 shown]
	s_ashr_i32 s17, s16, 31
	s_wait_xcnt 0x0
	s_lshl_b64 s[14:15], s[16:17], 18
	s_wait_kmcnt 0x0
	s_add_nc_u64 s[4:5], s[10:11], s[14:15]
	s_add_nc_u64 s[20:21], s[6:7], s[14:15]
	s_and_b32 s2, s4, 15
	s_and_b64 s[4:5], s[12:13], 15
	s_cmp_eq_u64 s[2:3], 0
	s_cselect_b32 s21, -1, 0
	s_or_b32 s2, s8, s20
	s_delay_alu instid0(SALU_CYCLE_1) | instskip(NEXT) | instid1(SALU_CYCLE_1)
	s_and_b32 s2, s2, 15
	s_cmp_eq_u32 s2, 0
	s_cselect_b32 s20, -1, 0
	s_and_b32 s2, s18, 3
	s_and_b32 s20, s20, s21
	s_or_b64 s[2:3], s[4:5], s[2:3]
	s_lshl_b64 s[4:5], s[16:17], 16
	s_cmp_eq_u64 s[2:3], 0
	s_sub_nc_u64 s[16:17], s[18:19], s[4:5]
	s_cselect_b32 s2, -1, 0
	s_delay_alu instid0(SALU_CYCLE_1) | instskip(NEXT) | instid1(SALU_CYCLE_1)
	s_and_b32 s2, s20, s2
	s_and_b32 vcc_lo, exec_lo, s2
	s_mov_b32 s2, -1
	s_cbranch_vccnz .LBB2_29
; %bb.1:
	v_cmp_lt_i64_e64 s2, s[16:17], 1
	s_and_b32 vcc_lo, exec_lo, s2
	s_cbranch_vccnz .LBB2_28
; %bb.2:
	s_load_b32 s2, s[0:1], 0xbfc
	v_min_i64 v[2:3], 0x10000, s[16:17]
	v_min_u64 v[4:5], 0x10000, s[16:17]
	v_dual_mov_b32 v1, 0 :: v_dual_lshlrev_b32 v14, 2, v0
	s_mov_b32 s21, 0
	s_mov_b64 s[22:23], 0
	s_mov_b32 s19, s21
	s_delay_alu instid0(VALU_DEP_1) | instskip(SKIP_2) | instid1(VALU_DEP_1)
	v_dual_mov_b32 v15, v1 :: v_dual_mov_b32 v43, v1
	s_mov_b32 s3, s21
	s_mov_b32 s5, s21
	v_add_nc_u64_e32 v[6:7], s[12:13], v[14:15]
	v_add_nc_u64_e32 v[8:9], s[10:11], v[14:15]
	;; [unrolled: 1-line block ×3, first 2 shown]
	s_wait_kmcnt 0x0
	s_and_b32 s20, s2, 0xffff
	s_delay_alu instid0(SALU_CYCLE_1)
	v_add_nc_u64_e32 v[12:13], s[20:21], v[0:1]
	v_mad_nc_u64_u32 v[34:35], s20, 12, v[14:15]
	s_lshl_b32 s18, s20, 3
	s_mul_i32 s4, s20, 3
	v_add_nc_u64_e32 v[26:27], s[18:19], v[14:15]
	s_lshl_b32 s2, s20, 1
	v_add_nc_u64_e32 v[14:15], s[8:9], v[14:15]
	v_lshlrev_b32_e32 v42, 2, v12
	v_add_nc_u64_e32 v[16:17], s[4:5], v[0:1]
	v_add_nc_u64_e32 v[18:19], s[2:3], v[0:1]
	s_lshl_b32 s18, s20, 2
	v_add_nc_u64_e32 v[20:21], s[12:13], v[26:27]
	v_add_nc_u64_e32 v[22:23], s[10:11], v[26:27]
	;; [unrolled: 1-line block ×12, first 2 shown]
	s_lshl_b32 s20, s20, 4
	s_branch .LBB2_4
.LBB2_3:                                ;   in Loop: Header=BB2_4 Depth=1
	s_wait_xcnt 0x0
	s_or_b32 exec_lo, exec_lo, s2
	s_add_nc_u64 s[22:23], s[22:23], s[18:19]
	v_add_nc_u64_e32 v[6:7], s[20:21], v[6:7]
	v_cmp_lt_i64_e32 vcc_lo, s[22:23], v[2:3]
	v_add_nc_u64_e32 v[8:9], s[20:21], v[8:9]
	v_add_nc_u64_e32 v[10:11], s[20:21], v[10:11]
	;; [unrolled: 1-line block ×15, first 2 shown]
	s_cbranch_vccz .LBB2_28
.LBB2_4:                                ; =>This Inner Loop Header: Depth=1
	s_wait_loadcnt 0x0
	v_add_nc_u64_e32 v[44:45], s[22:23], v[0:1]
	s_delay_alu instid0(VALU_DEP_1)
	v_cmp_lt_u64_e32 vcc_lo, v[44:45], v[4:5]
	v_dual_mov_b32 v45, 0 :: v_dual_mov_b32 v44, 0
	s_and_saveexec_b32 s2, vcc_lo
	s_cbranch_execz .LBB2_6
; %bb.5:                                ;   in Loop: Header=BB2_4 Depth=1
	v_add_nc_u64_e32 v[46:47], s[14:15], v[6:7]
	v_add_nc_u64_e32 v[48:49], s[14:15], v[8:9]
	global_load_b32 v44, v[46:47], off
	global_load_b32 v45, v[48:49], off
.LBB2_6:                                ;   in Loop: Header=BB2_4 Depth=1
	s_wait_xcnt 0x0
	s_or_b32 exec_lo, exec_lo, s2
	v_dual_mov_b32 v46, 0 :: v_dual_mov_b32 v47, 0
	s_and_saveexec_b32 s2, vcc_lo
	s_cbranch_execz .LBB2_8
; %bb.7:                                ;   in Loop: Header=BB2_4 Depth=1
	v_add_nc_u64_e32 v[48:49], s[14:15], v[10:11]
	global_load_b32 v47, v[48:49], off
.LBB2_8:                                ;   in Loop: Header=BB2_4 Depth=1
	s_wait_xcnt 0x0
	s_or_b32 exec_lo, exec_lo, s2
	v_add_nc_u64_e32 v[48:49], s[22:23], v[12:13]
	s_delay_alu instid0(VALU_DEP_1)
	v_cmp_lt_u64_e64 s2, v[48:49], v[4:5]
	v_mov_b32_e32 v48, 0
	s_and_saveexec_b32 s3, s2
	s_cbranch_execz .LBB2_10
; %bb.9:                                ;   in Loop: Header=BB2_4 Depth=1
	v_add_nc_u64_e32 v[50:51], s[14:15], v[36:37]
	v_add_nc_u64_e32 v[52:53], s[14:15], v[38:39]
	global_load_b32 v48, v[50:51], off
	global_load_b32 v46, v[52:53], off
.LBB2_10:                               ;   in Loop: Header=BB2_4 Depth=1
	s_wait_xcnt 0x0
	s_or_b32 exec_lo, exec_lo, s3
	v_dual_mov_b32 v49, 0 :: v_dual_mov_b32 v50, 0
	s_and_saveexec_b32 s3, s2
	s_cbranch_execz .LBB2_12
; %bb.11:                               ;   in Loop: Header=BB2_4 Depth=1
	v_add_nc_u64_e32 v[50:51], s[14:15], v[40:41]
	global_load_b32 v50, v[50:51], off
.LBB2_12:                               ;   in Loop: Header=BB2_4 Depth=1
	s_wait_xcnt 0x0
	s_or_b32 exec_lo, exec_lo, s3
	v_add_nc_u64_e32 v[52:53], s[22:23], v[18:19]
	v_mov_b32_e32 v51, 0
	s_delay_alu instid0(VALU_DEP_2)
	v_cmp_lt_u64_e64 s3, v[52:53], v[4:5]
	s_and_saveexec_b32 s4, s3
	s_cbranch_execz .LBB2_14
; %bb.13:                               ;   in Loop: Header=BB2_4 Depth=1
	v_add_nc_u64_e32 v[52:53], s[14:15], v[20:21]
	v_add_nc_u64_e32 v[54:55], s[14:15], v[22:23]
	global_load_b32 v51, v[52:53], off
	global_load_b32 v49, v[54:55], off
.LBB2_14:                               ;   in Loop: Header=BB2_4 Depth=1
	s_wait_xcnt 0x0
	s_or_b32 exec_lo, exec_lo, s4
	v_dual_mov_b32 v52, 0 :: v_dual_mov_b32 v53, 0
	s_and_saveexec_b32 s4, s3
	s_cbranch_execz .LBB2_16
; %bb.15:                               ;   in Loop: Header=BB2_4 Depth=1
	v_add_nc_u64_e32 v[54:55], s[14:15], v[24:25]
	global_load_b32 v53, v[54:55], off
.LBB2_16:                               ;   in Loop: Header=BB2_4 Depth=1
	s_wait_xcnt 0x0
	s_or_b32 exec_lo, exec_lo, s4
	v_add_nc_u64_e32 v[54:55], s[22:23], v[16:17]
	s_delay_alu instid0(VALU_DEP_1)
	v_cmp_lt_u64_e64 s4, v[54:55], v[4:5]
	v_mov_b32_e32 v54, 0
	s_and_saveexec_b32 s5, s4
	s_cbranch_execnz .LBB2_22
; %bb.17:                               ;   in Loop: Header=BB2_4 Depth=1
	s_or_b32 exec_lo, exec_lo, s5
	v_mov_b32_e32 v55, 0
	s_and_saveexec_b32 s5, s4
	s_cbranch_execnz .LBB2_23
.LBB2_18:                               ;   in Loop: Header=BB2_4 Depth=1
	s_or_b32 exec_lo, exec_lo, s5
	s_and_saveexec_b32 s5, vcc_lo
	s_cbranch_execnz .LBB2_24
.LBB2_19:                               ;   in Loop: Header=BB2_4 Depth=1
	s_or_b32 exec_lo, exec_lo, s5
	s_and_saveexec_b32 s5, s2
	s_cbranch_execnz .LBB2_25
.LBB2_20:                               ;   in Loop: Header=BB2_4 Depth=1
	s_or_b32 exec_lo, exec_lo, s5
	s_and_saveexec_b32 s2, s3
	s_cbranch_execnz .LBB2_26
.LBB2_21:                               ;   in Loop: Header=BB2_4 Depth=1
	s_or_b32 exec_lo, exec_lo, s2
	s_and_saveexec_b32 s2, s4
	s_cbranch_execz .LBB2_3
	s_branch .LBB2_27
.LBB2_22:                               ;   in Loop: Header=BB2_4 Depth=1
	v_add_nc_u64_e32 v[56:57], s[14:15], v[28:29]
	v_add_nc_u64_e32 v[58:59], s[14:15], v[30:31]
	global_load_b32 v54, v[56:57], off
	global_load_b32 v52, v[58:59], off
	s_wait_xcnt 0x0
	s_or_b32 exec_lo, exec_lo, s5
	v_mov_b32_e32 v55, 0
	s_and_saveexec_b32 s5, s4
	s_cbranch_execz .LBB2_18
.LBB2_23:                               ;   in Loop: Header=BB2_4 Depth=1
	v_add_nc_u64_e32 v[56:57], s[14:15], v[32:33]
	global_load_b32 v55, v[56:57], off
	s_wait_xcnt 0x0
	s_or_b32 exec_lo, exec_lo, s5
	s_and_saveexec_b32 s5, vcc_lo
	s_cbranch_execz .LBB2_19
.LBB2_24:                               ;   in Loop: Header=BB2_4 Depth=1
	s_wait_loadcnt 0x0
	v_mul_lo_u32 v45, v45, s24
	s_delay_alu instid0(VALU_DEP_1)
	v_mad_u32 v47, v45, v47, v44
	v_add_nc_u64_e32 v[44:45], s[14:15], v[14:15]
	global_store_b32 v[44:45], v47, off
	s_wait_xcnt 0x0
	s_or_b32 exec_lo, exec_lo, s5
	s_and_saveexec_b32 s5, s2
	s_cbranch_execz .LBB2_20
.LBB2_25:                               ;   in Loop: Header=BB2_4 Depth=1
	s_wait_loadcnt 0x0
	v_mul_lo_u32 v44, v46, s24
	s_delay_alu instid0(VALU_DEP_1)
	v_mad_u32 v46, v44, v50, v48
	v_add_nc_u64_e32 v[44:45], s[14:15], v[42:43]
	global_store_b32 v[44:45], v46, off
	s_wait_xcnt 0x0
	s_or_b32 exec_lo, exec_lo, s5
	s_and_saveexec_b32 s2, s3
	s_cbranch_execz .LBB2_21
.LBB2_26:                               ;   in Loop: Header=BB2_4 Depth=1
	s_wait_loadcnt 0x0
	v_mul_lo_u32 v44, v49, s24
	s_delay_alu instid0(VALU_DEP_1)
	v_mad_u32 v46, v44, v53, v51
	v_add_nc_u64_e32 v[44:45], s[14:15], v[26:27]
	global_store_b32 v[44:45], v46, off
	s_wait_xcnt 0x0
	s_or_b32 exec_lo, exec_lo, s2
	s_and_saveexec_b32 s2, s4
	s_cbranch_execz .LBB2_3
.LBB2_27:                               ;   in Loop: Header=BB2_4 Depth=1
	s_wait_loadcnt 0x0
	v_mul_lo_u32 v44, v52, s24
	s_delay_alu instid0(VALU_DEP_1)
	v_mad_u32 v46, v44, v55, v54
	v_add_nc_u64_e32 v[44:45], s[14:15], v[34:35]
	global_store_b32 v[44:45], v46, off
	s_branch .LBB2_3
.LBB2_28:
	s_mov_b32 s2, 0
.LBB2_29:
	s_delay_alu instid0(SALU_CYCLE_1)
	s_and_not1_b32 vcc_lo, exec_lo, s2
	s_cbranch_vccnz .LBB2_33
; %bb.30:
	v_min_i64 v[2:3], 0x10000, s[16:17]
	v_dual_mov_b32 v5, 0 :: v_dual_lshlrev_b32 v4, 2, v0
	s_mov_b32 s2, exec_lo
	s_delay_alu instid0(VALU_DEP_1)
	v_cmpx_lt_i64_e64 v[4:5], v[2:3]
	s_cbranch_execz .LBB2_33
; %bb.31:
	s_load_b32 s0, s[0:1], 0xbfc
	v_dual_mov_b32 v1, v5 :: v_dual_lshlrev_b32 v4, 4, v0
	s_wait_xcnt 0x0
	s_mov_b32 s1, 0
	s_mov_b32 s16, s24
	s_add_nc_u64 s[2:3], s[12:13], 8
	v_add_nc_u64_e32 v[4:5], s[14:15], v[4:5]
	s_add_nc_u64 s[4:5], s[10:11], 8
	s_mov_b32 s11, s1
	s_mov_b32 s12, s1
	s_wait_kmcnt 0x0
	s_and_b32 s0, s0, 0xffff
	s_delay_alu instid0(SALU_CYCLE_1)
	s_lshl_b32 s10, s0, 4
.LBB2_32:                               ; =>This Inner Loop Header: Depth=1
	v_add_nc_u64_e32 v[6:7], s[4:5], v[4:5]
	v_add_nc_u64_e32 v[18:19], s[2:3], v[4:5]
	;; [unrolled: 1-line block ×4, first 2 shown]
	global_load_b128 v[6:9], v[6:7], off offset:-8
	global_load_b128 v[10:13], v[18:19], off offset:-8
	global_load_b128 v[14:17], v[20:21], off
	s_wait_xcnt 0x1
	v_lshlrev_b64_e32 v[18:19], 2, v[0:1]
	s_delay_alu instid0(VALU_DEP_1)
	v_cmp_ge_i64_e32 vcc_lo, v[18:19], v[2:3]
	s_or_b32 s12, vcc_lo, s12
	s_wait_loadcnt 0x2
	v_mul_lo_u32 v7, v7, s16
	v_mul_lo_u32 v6, v6, s24
	;; [unrolled: 1-line block ×4, first 2 shown]
	s_wait_loadcnt 0x0
	s_delay_alu instid0(VALU_DEP_4) | instskip(NEXT) | instid1(VALU_DEP_4)
	v_mad_u32 v7, v7, v15, v11
	v_mad_u32 v6, v6, v14, v10
	s_delay_alu instid0(VALU_DEP_4) | instskip(NEXT) | instid1(VALU_DEP_4)
	v_mad_u32 v9, v9, v17, v13
	v_mad_u32 v8, v8, v16, v12
	v_add_nc_u64_e32 v[10:11], s[8:9], v[4:5]
	v_add_nc_u64_e32 v[4:5], s[10:11], v[4:5]
	global_store_b128 v[10:11], v[6:9], off
	s_wait_xcnt 0x0
	s_and_not1_b32 exec_lo, exec_lo, s12
	s_cbranch_execnz .LBB2_32
.LBB2_33:
	s_endpgm
	.section	.rodata,"a",@progbits
	.p2align	6, 0x0
	.amdhsa_kernel _ZN2at6native12_GLOBAL__N_125multi_tensor_apply_kernelINS1_18TensorListMetadataILi4EEENS1_24PointwiseOpScalarFunctorIiLi4ELi3ELi3EEEJSt10multipliesIiEiEEEvT_T0_DpT1_
		.amdhsa_group_segment_fixed_size 0
		.amdhsa_private_segment_fixed_size 0
		.amdhsa_kernarg_size 3312
		.amdhsa_user_sgpr_count 2
		.amdhsa_user_sgpr_dispatch_ptr 0
		.amdhsa_user_sgpr_queue_ptr 0
		.amdhsa_user_sgpr_kernarg_segment_ptr 1
		.amdhsa_user_sgpr_dispatch_id 0
		.amdhsa_user_sgpr_kernarg_preload_length 0
		.amdhsa_user_sgpr_kernarg_preload_offset 0
		.amdhsa_user_sgpr_private_segment_size 0
		.amdhsa_wavefront_size32 1
		.amdhsa_uses_dynamic_stack 0
		.amdhsa_enable_private_segment 0
		.amdhsa_system_sgpr_workgroup_id_x 1
		.amdhsa_system_sgpr_workgroup_id_y 0
		.amdhsa_system_sgpr_workgroup_id_z 0
		.amdhsa_system_sgpr_workgroup_info 0
		.amdhsa_system_vgpr_workitem_id 0
		.amdhsa_next_free_vgpr 60
		.amdhsa_next_free_sgpr 25
		.amdhsa_named_barrier_count 0
		.amdhsa_reserve_vcc 1
		.amdhsa_float_round_mode_32 0
		.amdhsa_float_round_mode_16_64 0
		.amdhsa_float_denorm_mode_32 3
		.amdhsa_float_denorm_mode_16_64 3
		.amdhsa_fp16_overflow 0
		.amdhsa_memory_ordered 1
		.amdhsa_forward_progress 1
		.amdhsa_inst_pref_size 13
		.amdhsa_round_robin_scheduling 0
		.amdhsa_exception_fp_ieee_invalid_op 0
		.amdhsa_exception_fp_denorm_src 0
		.amdhsa_exception_fp_ieee_div_zero 0
		.amdhsa_exception_fp_ieee_overflow 0
		.amdhsa_exception_fp_ieee_underflow 0
		.amdhsa_exception_fp_ieee_inexact 0
		.amdhsa_exception_int_div_zero 0
	.end_amdhsa_kernel
	.section	.text._ZN2at6native12_GLOBAL__N_125multi_tensor_apply_kernelINS1_18TensorListMetadataILi4EEENS1_24PointwiseOpScalarFunctorIiLi4ELi3ELi3EEEJSt10multipliesIiEiEEEvT_T0_DpT1_,"axG",@progbits,_ZN2at6native12_GLOBAL__N_125multi_tensor_apply_kernelINS1_18TensorListMetadataILi4EEENS1_24PointwiseOpScalarFunctorIiLi4ELi3ELi3EEEJSt10multipliesIiEiEEEvT_T0_DpT1_,comdat
.Lfunc_end2:
	.size	_ZN2at6native12_GLOBAL__N_125multi_tensor_apply_kernelINS1_18TensorListMetadataILi4EEENS1_24PointwiseOpScalarFunctorIiLi4ELi3ELi3EEEJSt10multipliesIiEiEEEvT_T0_DpT1_, .Lfunc_end2-_ZN2at6native12_GLOBAL__N_125multi_tensor_apply_kernelINS1_18TensorListMetadataILi4EEENS1_24PointwiseOpScalarFunctorIiLi4ELi3ELi3EEEJSt10multipliesIiEiEEEvT_T0_DpT1_
                                        ; -- End function
	.set _ZN2at6native12_GLOBAL__N_125multi_tensor_apply_kernelINS1_18TensorListMetadataILi4EEENS1_24PointwiseOpScalarFunctorIiLi4ELi3ELi3EEEJSt10multipliesIiEiEEEvT_T0_DpT1_.num_vgpr, 60
	.set _ZN2at6native12_GLOBAL__N_125multi_tensor_apply_kernelINS1_18TensorListMetadataILi4EEENS1_24PointwiseOpScalarFunctorIiLi4ELi3ELi3EEEJSt10multipliesIiEiEEEvT_T0_DpT1_.num_agpr, 0
	.set _ZN2at6native12_GLOBAL__N_125multi_tensor_apply_kernelINS1_18TensorListMetadataILi4EEENS1_24PointwiseOpScalarFunctorIiLi4ELi3ELi3EEEJSt10multipliesIiEiEEEvT_T0_DpT1_.numbered_sgpr, 25
	.set _ZN2at6native12_GLOBAL__N_125multi_tensor_apply_kernelINS1_18TensorListMetadataILi4EEENS1_24PointwiseOpScalarFunctorIiLi4ELi3ELi3EEEJSt10multipliesIiEiEEEvT_T0_DpT1_.num_named_barrier, 0
	.set _ZN2at6native12_GLOBAL__N_125multi_tensor_apply_kernelINS1_18TensorListMetadataILi4EEENS1_24PointwiseOpScalarFunctorIiLi4ELi3ELi3EEEJSt10multipliesIiEiEEEvT_T0_DpT1_.private_seg_size, 0
	.set _ZN2at6native12_GLOBAL__N_125multi_tensor_apply_kernelINS1_18TensorListMetadataILi4EEENS1_24PointwiseOpScalarFunctorIiLi4ELi3ELi3EEEJSt10multipliesIiEiEEEvT_T0_DpT1_.uses_vcc, 1
	.set _ZN2at6native12_GLOBAL__N_125multi_tensor_apply_kernelINS1_18TensorListMetadataILi4EEENS1_24PointwiseOpScalarFunctorIiLi4ELi3ELi3EEEJSt10multipliesIiEiEEEvT_T0_DpT1_.uses_flat_scratch, 0
	.set _ZN2at6native12_GLOBAL__N_125multi_tensor_apply_kernelINS1_18TensorListMetadataILi4EEENS1_24PointwiseOpScalarFunctorIiLi4ELi3ELi3EEEJSt10multipliesIiEiEEEvT_T0_DpT1_.has_dyn_sized_stack, 0
	.set _ZN2at6native12_GLOBAL__N_125multi_tensor_apply_kernelINS1_18TensorListMetadataILi4EEENS1_24PointwiseOpScalarFunctorIiLi4ELi3ELi3EEEJSt10multipliesIiEiEEEvT_T0_DpT1_.has_recursion, 0
	.set _ZN2at6native12_GLOBAL__N_125multi_tensor_apply_kernelINS1_18TensorListMetadataILi4EEENS1_24PointwiseOpScalarFunctorIiLi4ELi3ELi3EEEJSt10multipliesIiEiEEEvT_T0_DpT1_.has_indirect_call, 0
	.section	.AMDGPU.csdata,"",@progbits
; Kernel info:
; codeLenInByte = 1576
; TotalNumSgprs: 27
; NumVgprs: 60
; ScratchSize: 0
; MemoryBound: 0
; FloatMode: 240
; IeeeMode: 1
; LDSByteSize: 0 bytes/workgroup (compile time only)
; SGPRBlocks: 0
; VGPRBlocks: 3
; NumSGPRsForWavesPerEU: 27
; NumVGPRsForWavesPerEU: 60
; NamedBarCnt: 0
; Occupancy: 16
; WaveLimiterHint : 0
; COMPUTE_PGM_RSRC2:SCRATCH_EN: 0
; COMPUTE_PGM_RSRC2:USER_SGPR: 2
; COMPUTE_PGM_RSRC2:TRAP_HANDLER: 0
; COMPUTE_PGM_RSRC2:TGID_X_EN: 1
; COMPUTE_PGM_RSRC2:TGID_Y_EN: 0
; COMPUTE_PGM_RSRC2:TGID_Z_EN: 0
; COMPUTE_PGM_RSRC2:TIDIG_COMP_CNT: 0
	.section	.text._ZN2at6native12_GLOBAL__N_125multi_tensor_apply_kernelINS1_18TensorListMetadataILi4EEENS1_24PointwiseOpScalarFunctorIlLi4ELi3ELi3EEEJSt10multipliesIlElEEEvT_T0_DpT1_,"axG",@progbits,_ZN2at6native12_GLOBAL__N_125multi_tensor_apply_kernelINS1_18TensorListMetadataILi4EEENS1_24PointwiseOpScalarFunctorIlLi4ELi3ELi3EEEJSt10multipliesIlElEEEvT_T0_DpT1_,comdat
	.globl	_ZN2at6native12_GLOBAL__N_125multi_tensor_apply_kernelINS1_18TensorListMetadataILi4EEENS1_24PointwiseOpScalarFunctorIlLi4ELi3ELi3EEEJSt10multipliesIlElEEEvT_T0_DpT1_ ; -- Begin function _ZN2at6native12_GLOBAL__N_125multi_tensor_apply_kernelINS1_18TensorListMetadataILi4EEENS1_24PointwiseOpScalarFunctorIlLi4ELi3ELi3EEEJSt10multipliesIlElEEEvT_T0_DpT1_
	.p2align	8
	.type	_ZN2at6native12_GLOBAL__N_125multi_tensor_apply_kernelINS1_18TensorListMetadataILi4EEENS1_24PointwiseOpScalarFunctorIlLi4ELi3ELi3EEEJSt10multipliesIlElEEEvT_T0_DpT1_,@function
_ZN2at6native12_GLOBAL__N_125multi_tensor_apply_kernelINS1_18TensorListMetadataILi4EEENS1_24PointwiseOpScalarFunctorIlLi4ELi3ELi3EEEJSt10multipliesIlElEEEvT_T0_DpT1_: ; @_ZN2at6native12_GLOBAL__N_125multi_tensor_apply_kernelINS1_18TensorListMetadataILi4EEENS1_24PointwiseOpScalarFunctorIlLi4ELi3ELi3EEEJSt10multipliesIlElEEEvT_T0_DpT1_
; %bb.0:
	s_bfe_u32 s2, ttmp6, 0x4000c
	s_and_b32 s3, ttmp6, 15
	s_add_co_i32 s2, s2, 1
	s_getreg_b32 s4, hwreg(HW_REG_IB_STS2, 6, 4)
	s_mul_i32 s2, ttmp9, s2
	s_mov_b32 s19, 0
	s_add_co_i32 s3, s3, s2
	s_cmp_eq_u32 s4, 0
	s_load_b64 s[14:15], s[0:1], 0xbf0
	s_cselect_b32 s18, ttmp9, s3
	s_load_u8 s8, s[0:1], s18 offset:0x5a0
	s_add_nc_u64 s[2:3], s[0:1], s[18:19]
	s_mul_u64 s[4:5], s[18:19], 3
	s_delay_alu instid0(SALU_CYCLE_1)
	s_add_nc_u64 s[6:7], s[2:3], s[4:5]
	s_load_b32 s24, s[6:7], 0x6e0
	s_wait_kmcnt 0x0
	s_clause 0x4
	s_load_b64 s[2:3], s[0:1], s8 offset:0x0 scale_offset
	s_load_b64 s[4:5], s[0:1], s8 offset:0x120 scale_offset
	;; [unrolled: 1-line block ×5, first 2 shown]
	s_ashr_i32 s25, s24, 31
	s_delay_alu instid0(SALU_CYCLE_1)
	s_lshl_b64 s[16:17], s[24:25], 19
	s_wait_kmcnt 0x0
	s_add_nc_u64 s[8:9], s[4:5], s[16:17]
	s_add_nc_u64 s[6:7], s[2:3], s[16:17]
	s_and_b32 s18, s8, 31
	s_and_b64 s[28:29], s[6:7], 31
	s_add_nc_u64 s[10:11], s[20:21], s[16:17]
	s_cmp_eq_u64 s[18:19], 0
	s_add_nc_u64 s[12:13], s[22:23], s[16:17]
	s_cselect_b32 s30, -1, 0
	s_or_b32 s18, s12, s10
	s_delay_alu instid0(SALU_CYCLE_1) | instskip(NEXT) | instid1(SALU_CYCLE_1)
	s_and_b32 s18, s18, 31
	s_cmp_eq_u32 s18, 0
	s_cselect_b32 s31, -1, 0
	s_and_b32 s18, s26, 3
	s_and_b32 s30, s31, s30
	s_or_b64 s[18:19], s[28:29], s[18:19]
	s_lshl_b64 s[24:25], s[24:25], 16
	s_cmp_eq_u64 s[18:19], 0
	s_cselect_b32 s18, -1, 0
	s_delay_alu instid0(SALU_CYCLE_1)
	s_and_b32 s28, s30, s18
	s_sub_nc_u64 s[18:19], s[26:27], s[24:25]
	s_and_b32 vcc_lo, exec_lo, s28
	s_mov_b32 s24, -1
	s_cbranch_vccnz .LBB3_29
; %bb.1:
	v_cmp_lt_i64_e64 s24, s[18:19], 1
	s_and_b32 vcc_lo, exec_lo, s24
	s_cbranch_vccnz .LBB3_28
; %bb.2:
	s_load_b32 s24, s[0:1], 0xc04
	v_min_i64 v[2:3], 0x10000, s[18:19]
	v_min_u64 v[4:5], 0x10000, s[18:19]
	v_dual_mov_b32 v1, 0 :: v_dual_lshlrev_b32 v14, 3, v0
	s_mov_b32 s25, 0
	s_delay_alu instid0(SALU_CYCLE_1) | instskip(NEXT) | instid1(VALU_DEP_1)
	s_mov_b32 s31, s25
	v_dual_mov_b32 v15, v1 :: v_dual_mov_b32 v43, v1
	s_mov_b32 s27, s25
	s_mov_b32 s29, s25
	s_delay_alu instid0(VALU_DEP_1) | instskip(SKIP_4) | instid1(SALU_CYCLE_1)
	v_add_nc_u64_e32 v[6:7], s[2:3], v[14:15]
	v_add_nc_u64_e32 v[8:9], s[4:5], v[14:15]
	;; [unrolled: 1-line block ×3, first 2 shown]
	s_wait_kmcnt 0x0
	s_and_b32 s24, s24, 0xffff
	v_add_nc_u64_e32 v[12:13], s[24:25], v[0:1]
	v_mad_nc_u64_u32 v[34:35], s24, 24, v[14:15]
	s_lshl_b32 s30, s24, 4
	s_mul_i32 s28, s24, 3
	v_add_nc_u64_e32 v[26:27], s[30:31], v[14:15]
	s_lshl_b32 s26, s24, 1
	v_add_nc_u64_e32 v[14:15], s[22:23], v[14:15]
	v_lshlrev_b32_e32 v42, 3, v12
	v_add_nc_u64_e32 v[16:17], s[28:29], v[0:1]
	v_add_nc_u64_e32 v[18:19], s[26:27], v[0:1]
	;; [unrolled: 1-line block ×14, first 2 shown]
	s_lshl_b32 s20, s24, 2
	s_mov_b32 s21, s25
	s_lshl_b32 s22, s24, 5
	s_mov_b32 s23, s25
	s_mov_b64 s[24:25], 0
	s_branch .LBB3_4
.LBB3_3:                                ;   in Loop: Header=BB3_4 Depth=1
	s_wait_xcnt 0x0
	s_or_b32 exec_lo, exec_lo, s2
	s_add_nc_u64 s[24:25], s[24:25], s[20:21]
	v_add_nc_u64_e32 v[6:7], s[22:23], v[6:7]
	v_cmp_lt_i64_e32 vcc_lo, s[24:25], v[2:3]
	v_add_nc_u64_e32 v[8:9], s[22:23], v[8:9]
	v_add_nc_u64_e32 v[10:11], s[22:23], v[10:11]
	;; [unrolled: 1-line block ×15, first 2 shown]
	s_cbranch_vccz .LBB3_28
.LBB3_4:                                ; =>This Inner Loop Header: Depth=1
	s_wait_loadcnt 0x1
	v_add_nc_u64_e32 v[48:49], s[24:25], v[0:1]
	s_wait_loadcnt 0x0
	v_mov_b64_e32 v[44:45], 0
	v_mov_b64_e32 v[46:47], 0
	s_delay_alu instid0(VALU_DEP_3)
	v_cmp_lt_u64_e32 vcc_lo, v[48:49], v[4:5]
	v_mov_b64_e32 v[48:49], 0
	s_and_saveexec_b32 s2, vcc_lo
	s_cbranch_execz .LBB3_6
; %bb.5:                                ;   in Loop: Header=BB3_4 Depth=1
	v_add_nc_u64_e32 v[50:51], s[16:17], v[6:7]
	v_add_nc_u64_e32 v[52:53], s[16:17], v[8:9]
	global_load_b64 v[48:49], v[50:51], off
	global_load_b64 v[46:47], v[52:53], off
.LBB3_6:                                ;   in Loop: Header=BB3_4 Depth=1
	s_wait_xcnt 0x0
	s_or_b32 exec_lo, exec_lo, s2
	s_and_saveexec_b32 s2, vcc_lo
	s_cbranch_execz .LBB3_8
; %bb.7:                                ;   in Loop: Header=BB3_4 Depth=1
	v_add_nc_u64_e32 v[44:45], s[16:17], v[10:11]
	global_load_b64 v[44:45], v[44:45], off
.LBB3_8:                                ;   in Loop: Header=BB3_4 Depth=1
	s_wait_xcnt 0x0
	s_or_b32 exec_lo, exec_lo, s2
	v_add_nc_u64_e32 v[54:55], s[24:25], v[12:13]
	v_mov_b64_e32 v[50:51], 0
	v_mov_b64_e32 v[52:53], 0
	s_delay_alu instid0(VALU_DEP_3)
	v_cmp_lt_u64_e64 s2, v[54:55], v[4:5]
	v_mov_b64_e32 v[54:55], 0
	s_and_saveexec_b32 s3, s2
	s_cbranch_execz .LBB3_10
; %bb.9:                                ;   in Loop: Header=BB3_4 Depth=1
	v_add_nc_u64_e32 v[56:57], s[16:17], v[36:37]
	v_add_nc_u64_e32 v[58:59], s[16:17], v[38:39]
	global_load_b64 v[54:55], v[56:57], off
	global_load_b64 v[52:53], v[58:59], off
.LBB3_10:                               ;   in Loop: Header=BB3_4 Depth=1
	s_wait_xcnt 0x0
	s_or_b32 exec_lo, exec_lo, s3
	s_and_saveexec_b32 s3, s2
	s_cbranch_execz .LBB3_12
; %bb.11:                               ;   in Loop: Header=BB3_4 Depth=1
	v_add_nc_u64_e32 v[50:51], s[16:17], v[40:41]
	global_load_b64 v[50:51], v[50:51], off
.LBB3_12:                               ;   in Loop: Header=BB3_4 Depth=1
	s_wait_xcnt 0x0
	s_or_b32 exec_lo, exec_lo, s3
	v_add_nc_u64_e32 v[60:61], s[24:25], v[18:19]
	v_mov_b64_e32 v[56:57], 0
	v_mov_b64_e32 v[58:59], 0
	s_delay_alu instid0(VALU_DEP_3)
	v_cmp_lt_u64_e64 s3, v[60:61], v[4:5]
	v_mov_b64_e32 v[60:61], 0
	s_and_saveexec_b32 s4, s3
	s_cbranch_execz .LBB3_14
; %bb.13:                               ;   in Loop: Header=BB3_4 Depth=1
	v_add_nc_u64_e32 v[62:63], s[16:17], v[20:21]
	v_add_nc_u64_e32 v[64:65], s[16:17], v[22:23]
	global_load_b64 v[60:61], v[62:63], off
	global_load_b64 v[58:59], v[64:65], off
.LBB3_14:                               ;   in Loop: Header=BB3_4 Depth=1
	s_wait_xcnt 0x0
	s_or_b32 exec_lo, exec_lo, s4
	s_and_saveexec_b32 s4, s3
	s_cbranch_execz .LBB3_16
; %bb.15:                               ;   in Loop: Header=BB3_4 Depth=1
	v_add_nc_u64_e32 v[56:57], s[16:17], v[24:25]
	global_load_b64 v[56:57], v[56:57], off
.LBB3_16:                               ;   in Loop: Header=BB3_4 Depth=1
	s_wait_xcnt 0x0
	s_or_b32 exec_lo, exec_lo, s4
	v_add_nc_u64_e32 v[66:67], s[24:25], v[16:17]
	v_mov_b64_e32 v[62:63], 0
	v_mov_b64_e32 v[64:65], 0
	s_delay_alu instid0(VALU_DEP_3)
	v_cmp_lt_u64_e64 s4, v[66:67], v[4:5]
	v_mov_b64_e32 v[66:67], 0
	s_and_saveexec_b32 s5, s4
	s_cbranch_execnz .LBB3_22
; %bb.17:                               ;   in Loop: Header=BB3_4 Depth=1
	s_or_b32 exec_lo, exec_lo, s5
	s_and_saveexec_b32 s5, s4
	s_cbranch_execnz .LBB3_23
.LBB3_18:                               ;   in Loop: Header=BB3_4 Depth=1
	s_or_b32 exec_lo, exec_lo, s5
	s_and_saveexec_b32 s5, vcc_lo
	s_cbranch_execnz .LBB3_24
.LBB3_19:                               ;   in Loop: Header=BB3_4 Depth=1
	s_or_b32 exec_lo, exec_lo, s5
	s_and_saveexec_b32 s5, s2
	s_cbranch_execnz .LBB3_25
.LBB3_20:                               ;   in Loop: Header=BB3_4 Depth=1
	s_or_b32 exec_lo, exec_lo, s5
	s_and_saveexec_b32 s2, s3
	s_cbranch_execnz .LBB3_26
.LBB3_21:                               ;   in Loop: Header=BB3_4 Depth=1
	s_or_b32 exec_lo, exec_lo, s2
	s_and_saveexec_b32 s2, s4
	s_cbranch_execz .LBB3_3
	s_branch .LBB3_27
.LBB3_22:                               ;   in Loop: Header=BB3_4 Depth=1
	v_add_nc_u64_e32 v[68:69], s[16:17], v[28:29]
	v_add_nc_u64_e32 v[70:71], s[16:17], v[30:31]
	global_load_b64 v[66:67], v[68:69], off
	global_load_b64 v[64:65], v[70:71], off
	s_wait_xcnt 0x0
	s_or_b32 exec_lo, exec_lo, s5
	s_and_saveexec_b32 s5, s4
	s_cbranch_execz .LBB3_18
.LBB3_23:                               ;   in Loop: Header=BB3_4 Depth=1
	v_add_nc_u64_e32 v[62:63], s[16:17], v[32:33]
	global_load_b64 v[62:63], v[62:63], off
	s_wait_xcnt 0x0
	s_or_b32 exec_lo, exec_lo, s5
	s_and_saveexec_b32 s5, vcc_lo
	s_cbranch_execz .LBB3_19
.LBB3_24:                               ;   in Loop: Header=BB3_4 Depth=1
	s_wait_loadcnt 0x0
	v_mul_u64_e32 v[46:47], s[14:15], v[46:47]
	s_delay_alu instid0(VALU_DEP_1) | instskip(NEXT) | instid1(VALU_DEP_1)
	v_mad_nc_u64_u32 v[48:49], v46, v44, v[48:49]
	v_mad_u32 v44, v47, v44, v49
	s_delay_alu instid0(VALU_DEP_1)
	v_mad_u32 v49, v46, v45, v44
	v_add_nc_u64_e32 v[44:45], s[16:17], v[14:15]
	global_store_b64 v[44:45], v[48:49], off
	s_wait_xcnt 0x0
	s_or_b32 exec_lo, exec_lo, s5
	s_and_saveexec_b32 s5, s2
	s_cbranch_execz .LBB3_20
.LBB3_25:                               ;   in Loop: Header=BB3_4 Depth=1
	s_wait_loadcnt 0x0
	v_mul_u64_e32 v[44:45], s[14:15], v[52:53]
	s_delay_alu instid0(VALU_DEP_1) | instskip(NEXT) | instid1(VALU_DEP_1)
	v_mad_nc_u64_u32 v[46:47], v44, v50, v[54:55]
	v_mad_u32 v45, v45, v50, v47
	s_delay_alu instid0(VALU_DEP_1)
	v_mad_u32 v47, v44, v51, v45
	v_add_nc_u64_e32 v[44:45], s[16:17], v[42:43]
	global_store_b64 v[44:45], v[46:47], off
	s_wait_xcnt 0x0
	s_or_b32 exec_lo, exec_lo, s5
	s_and_saveexec_b32 s2, s3
	s_cbranch_execz .LBB3_21
.LBB3_26:                               ;   in Loop: Header=BB3_4 Depth=1
	s_wait_loadcnt 0x0
	v_mul_u64_e32 v[44:45], s[14:15], v[58:59]
	s_delay_alu instid0(VALU_DEP_1) | instskip(NEXT) | instid1(VALU_DEP_1)
	v_mad_nc_u64_u32 v[46:47], v44, v56, v[60:61]
	v_mad_u32 v45, v45, v56, v47
	s_delay_alu instid0(VALU_DEP_1)
	v_mad_u32 v47, v44, v57, v45
	v_add_nc_u64_e32 v[44:45], s[16:17], v[26:27]
	global_store_b64 v[44:45], v[46:47], off
	s_wait_xcnt 0x0
	s_or_b32 exec_lo, exec_lo, s2
	s_and_saveexec_b32 s2, s4
	s_cbranch_execz .LBB3_3
.LBB3_27:                               ;   in Loop: Header=BB3_4 Depth=1
	s_wait_loadcnt 0x0
	v_mul_u64_e32 v[44:45], s[14:15], v[64:65]
	s_delay_alu instid0(VALU_DEP_1) | instskip(NEXT) | instid1(VALU_DEP_1)
	v_mad_nc_u64_u32 v[46:47], v44, v62, v[66:67]
	v_mad_u32 v45, v45, v62, v47
	s_delay_alu instid0(VALU_DEP_1)
	v_mad_u32 v47, v44, v63, v45
	v_add_nc_u64_e32 v[44:45], s[16:17], v[34:35]
	global_store_b64 v[44:45], v[46:47], off
	s_branch .LBB3_3
.LBB3_28:
	s_mov_b32 s24, 0
.LBB3_29:
	s_delay_alu instid0(SALU_CYCLE_1)
	s_and_not1_b32 vcc_lo, exec_lo, s24
	s_cbranch_vccnz .LBB3_33
; %bb.30:
	v_min_i64 v[2:3], 0x10000, s[18:19]
	v_dual_mov_b32 v5, 0 :: v_dual_lshlrev_b32 v4, 2, v0
	s_mov_b32 s2, exec_lo
	s_delay_alu instid0(VALU_DEP_1)
	v_cmpx_lt_i64_e64 v[4:5], v[2:3]
	s_cbranch_execz .LBB3_33
; %bb.31:
	s_load_b32 s0, s[0:1], 0xc04
	v_dual_mov_b32 v1, v5 :: v_dual_lshlrev_b32 v4, 5, v0
	s_wait_xcnt 0x0
	s_mov_b32 s1, 0
	s_delay_alu instid0(SALU_CYCLE_1) | instskip(SKIP_3) | instid1(SALU_CYCLE_1)
	s_mov_b32 s3, s1
	s_mov_b32 s4, s1
	s_wait_kmcnt 0x0
	s_and_b32 s0, s0, 0xffff
	s_lshl_b32 s2, s0, 5
.LBB3_32:                               ; =>This Inner Loop Header: Depth=1
	v_add_nc_u64_e32 v[14:15], s[8:9], v[4:5]
	v_add_nc_u64_e32 v[30:31], s[10:11], v[4:5]
	;; [unrolled: 1-line block ×4, first 2 shown]
	s_add_nc_u64 s[6:7], s[6:7], s[2:3]
	s_add_nc_u64 s[10:11], s[10:11], s[2:3]
	;; [unrolled: 1-line block ×3, first 2 shown]
	s_clause 0x1
	global_load_b128 v[6:9], v[14:15], off
	global_load_b128 v[10:13], v[14:15], off offset:16
	global_load_b128 v[14:17], v[30:31], off
	s_clause 0x1
	global_load_b128 v[18:21], v[32:33], off
	global_load_b128 v[22:25], v[32:33], off offset:16
	global_load_b128 v[26:29], v[30:31], off offset:16
	s_wait_loadcnt 0x5
	s_wait_xcnt 0x0
	v_mul_u64_e32 v[30:31], s[14:15], v[6:7]
	v_mul_u64_e32 v[32:33], s[14:15], v[8:9]
	s_wait_loadcnt 0x4
	v_mul_u64_e32 v[34:35], s[14:15], v[10:11]
	v_mul_u64_e32 v[36:37], s[14:15], v[12:13]
	s_wait_loadcnt 0x2
	s_delay_alu instid0(VALU_DEP_4) | instskip(NEXT) | instid1(VALU_DEP_4)
	v_mad_nc_u64_u32 v[6:7], v30, v14, v[18:19]
	v_mad_nc_u64_u32 v[8:9], v32, v16, v[20:21]
	s_wait_loadcnt 0x0
	s_delay_alu instid0(VALU_DEP_4) | instskip(NEXT) | instid1(VALU_DEP_4)
	v_mad_nc_u64_u32 v[10:11], v34, v26, v[22:23]
	v_mad_nc_u64_u32 v[12:13], v36, v28, v[24:25]
	v_lshlrev_b64_e32 v[18:19], 2, v[0:1]
	s_delay_alu instid0(VALU_DEP_1)
	v_cmp_ge_i64_e32 vcc_lo, v[18:19], v[2:3]
	v_mad_u32 v7, v31, v14, v7
	v_mad_u32 v9, v33, v16, v9
	;; [unrolled: 1-line block ×4, first 2 shown]
	s_or_b32 s4, vcc_lo, s4
	s_delay_alu instid0(VALU_DEP_4) | instskip(NEXT) | instid1(VALU_DEP_4)
	v_mad_u32 v7, v30, v15, v7
	v_mad_u32 v9, v32, v17, v9
	s_delay_alu instid0(VALU_DEP_4) | instskip(NEXT) | instid1(VALU_DEP_4)
	v_mad_u32 v11, v34, v27, v11
	v_mad_u32 v13, v36, v29, v13
	v_add_nc_u64_e32 v[14:15], s[12:13], v[4:5]
	s_add_nc_u64 s[12:13], s[12:13], s[2:3]
	s_clause 0x1
	global_store_b128 v[14:15], v[6:9], off
	global_store_b128 v[14:15], v[10:13], off offset:16
	s_wait_xcnt 0x0
	s_and_not1_b32 exec_lo, exec_lo, s4
	s_cbranch_execnz .LBB3_32
.LBB3_33:
	s_sendmsg sendmsg(MSG_DEALLOC_VGPRS)
	s_endpgm
	.section	.rodata,"a",@progbits
	.p2align	6, 0x0
	.amdhsa_kernel _ZN2at6native12_GLOBAL__N_125multi_tensor_apply_kernelINS1_18TensorListMetadataILi4EEENS1_24PointwiseOpScalarFunctorIlLi4ELi3ELi3EEEJSt10multipliesIlElEEEvT_T0_DpT1_
		.amdhsa_group_segment_fixed_size 0
		.amdhsa_private_segment_fixed_size 0
		.amdhsa_kernarg_size 3320
		.amdhsa_user_sgpr_count 2
		.amdhsa_user_sgpr_dispatch_ptr 0
		.amdhsa_user_sgpr_queue_ptr 0
		.amdhsa_user_sgpr_kernarg_segment_ptr 1
		.amdhsa_user_sgpr_dispatch_id 0
		.amdhsa_user_sgpr_kernarg_preload_length 0
		.amdhsa_user_sgpr_kernarg_preload_offset 0
		.amdhsa_user_sgpr_private_segment_size 0
		.amdhsa_wavefront_size32 1
		.amdhsa_uses_dynamic_stack 0
		.amdhsa_enable_private_segment 0
		.amdhsa_system_sgpr_workgroup_id_x 1
		.amdhsa_system_sgpr_workgroup_id_y 0
		.amdhsa_system_sgpr_workgroup_id_z 0
		.amdhsa_system_sgpr_workgroup_info 0
		.amdhsa_system_vgpr_workitem_id 0
		.amdhsa_next_free_vgpr 72
		.amdhsa_next_free_sgpr 32
		.amdhsa_named_barrier_count 0
		.amdhsa_reserve_vcc 1
		.amdhsa_float_round_mode_32 0
		.amdhsa_float_round_mode_16_64 0
		.amdhsa_float_denorm_mode_32 3
		.amdhsa_float_denorm_mode_16_64 3
		.amdhsa_fp16_overflow 0
		.amdhsa_memory_ordered 1
		.amdhsa_forward_progress 1
		.amdhsa_inst_pref_size 14
		.amdhsa_round_robin_scheduling 0
		.amdhsa_exception_fp_ieee_invalid_op 0
		.amdhsa_exception_fp_denorm_src 0
		.amdhsa_exception_fp_ieee_div_zero 0
		.amdhsa_exception_fp_ieee_overflow 0
		.amdhsa_exception_fp_ieee_underflow 0
		.amdhsa_exception_fp_ieee_inexact 0
		.amdhsa_exception_int_div_zero 0
	.end_amdhsa_kernel
	.section	.text._ZN2at6native12_GLOBAL__N_125multi_tensor_apply_kernelINS1_18TensorListMetadataILi4EEENS1_24PointwiseOpScalarFunctorIlLi4ELi3ELi3EEEJSt10multipliesIlElEEEvT_T0_DpT1_,"axG",@progbits,_ZN2at6native12_GLOBAL__N_125multi_tensor_apply_kernelINS1_18TensorListMetadataILi4EEENS1_24PointwiseOpScalarFunctorIlLi4ELi3ELi3EEEJSt10multipliesIlElEEEvT_T0_DpT1_,comdat
.Lfunc_end3:
	.size	_ZN2at6native12_GLOBAL__N_125multi_tensor_apply_kernelINS1_18TensorListMetadataILi4EEENS1_24PointwiseOpScalarFunctorIlLi4ELi3ELi3EEEJSt10multipliesIlElEEEvT_T0_DpT1_, .Lfunc_end3-_ZN2at6native12_GLOBAL__N_125multi_tensor_apply_kernelINS1_18TensorListMetadataILi4EEENS1_24PointwiseOpScalarFunctorIlLi4ELi3ELi3EEEJSt10multipliesIlElEEEvT_T0_DpT1_
                                        ; -- End function
	.set _ZN2at6native12_GLOBAL__N_125multi_tensor_apply_kernelINS1_18TensorListMetadataILi4EEENS1_24PointwiseOpScalarFunctorIlLi4ELi3ELi3EEEJSt10multipliesIlElEEEvT_T0_DpT1_.num_vgpr, 72
	.set _ZN2at6native12_GLOBAL__N_125multi_tensor_apply_kernelINS1_18TensorListMetadataILi4EEENS1_24PointwiseOpScalarFunctorIlLi4ELi3ELi3EEEJSt10multipliesIlElEEEvT_T0_DpT1_.num_agpr, 0
	.set _ZN2at6native12_GLOBAL__N_125multi_tensor_apply_kernelINS1_18TensorListMetadataILi4EEENS1_24PointwiseOpScalarFunctorIlLi4ELi3ELi3EEEJSt10multipliesIlElEEEvT_T0_DpT1_.numbered_sgpr, 32
	.set _ZN2at6native12_GLOBAL__N_125multi_tensor_apply_kernelINS1_18TensorListMetadataILi4EEENS1_24PointwiseOpScalarFunctorIlLi4ELi3ELi3EEEJSt10multipliesIlElEEEvT_T0_DpT1_.num_named_barrier, 0
	.set _ZN2at6native12_GLOBAL__N_125multi_tensor_apply_kernelINS1_18TensorListMetadataILi4EEENS1_24PointwiseOpScalarFunctorIlLi4ELi3ELi3EEEJSt10multipliesIlElEEEvT_T0_DpT1_.private_seg_size, 0
	.set _ZN2at6native12_GLOBAL__N_125multi_tensor_apply_kernelINS1_18TensorListMetadataILi4EEENS1_24PointwiseOpScalarFunctorIlLi4ELi3ELi3EEEJSt10multipliesIlElEEEvT_T0_DpT1_.uses_vcc, 1
	.set _ZN2at6native12_GLOBAL__N_125multi_tensor_apply_kernelINS1_18TensorListMetadataILi4EEENS1_24PointwiseOpScalarFunctorIlLi4ELi3ELi3EEEJSt10multipliesIlElEEEvT_T0_DpT1_.uses_flat_scratch, 0
	.set _ZN2at6native12_GLOBAL__N_125multi_tensor_apply_kernelINS1_18TensorListMetadataILi4EEENS1_24PointwiseOpScalarFunctorIlLi4ELi3ELi3EEEJSt10multipliesIlElEEEvT_T0_DpT1_.has_dyn_sized_stack, 0
	.set _ZN2at6native12_GLOBAL__N_125multi_tensor_apply_kernelINS1_18TensorListMetadataILi4EEENS1_24PointwiseOpScalarFunctorIlLi4ELi3ELi3EEEJSt10multipliesIlElEEEvT_T0_DpT1_.has_recursion, 0
	.set _ZN2at6native12_GLOBAL__N_125multi_tensor_apply_kernelINS1_18TensorListMetadataILi4EEENS1_24PointwiseOpScalarFunctorIlLi4ELi3ELi3EEEJSt10multipliesIlElEEEvT_T0_DpT1_.has_indirect_call, 0
	.section	.AMDGPU.csdata,"",@progbits
; Kernel info:
; codeLenInByte = 1780
; TotalNumSgprs: 34
; NumVgprs: 72
; ScratchSize: 0
; MemoryBound: 0
; FloatMode: 240
; IeeeMode: 1
; LDSByteSize: 0 bytes/workgroup (compile time only)
; SGPRBlocks: 0
; VGPRBlocks: 4
; NumSGPRsForWavesPerEU: 34
; NumVGPRsForWavesPerEU: 72
; NamedBarCnt: 0
; Occupancy: 12
; WaveLimiterHint : 0
; COMPUTE_PGM_RSRC2:SCRATCH_EN: 0
; COMPUTE_PGM_RSRC2:USER_SGPR: 2
; COMPUTE_PGM_RSRC2:TRAP_HANDLER: 0
; COMPUTE_PGM_RSRC2:TGID_X_EN: 1
; COMPUTE_PGM_RSRC2:TGID_Y_EN: 0
; COMPUTE_PGM_RSRC2:TGID_Z_EN: 0
; COMPUTE_PGM_RSRC2:TIDIG_COMP_CNT: 0
	.section	.text._ZN2at6native12_GLOBAL__N_125multi_tensor_apply_kernelINS1_18TensorListMetadataILi4EEENS1_24PointwiseOpScalarFunctorIsLi4ELi3ELi3EEEJSt10multipliesIsEsEEEvT_T0_DpT1_,"axG",@progbits,_ZN2at6native12_GLOBAL__N_125multi_tensor_apply_kernelINS1_18TensorListMetadataILi4EEENS1_24PointwiseOpScalarFunctorIsLi4ELi3ELi3EEEJSt10multipliesIsEsEEEvT_T0_DpT1_,comdat
	.globl	_ZN2at6native12_GLOBAL__N_125multi_tensor_apply_kernelINS1_18TensorListMetadataILi4EEENS1_24PointwiseOpScalarFunctorIsLi4ELi3ELi3EEEJSt10multipliesIsEsEEEvT_T0_DpT1_ ; -- Begin function _ZN2at6native12_GLOBAL__N_125multi_tensor_apply_kernelINS1_18TensorListMetadataILi4EEENS1_24PointwiseOpScalarFunctorIsLi4ELi3ELi3EEEJSt10multipliesIsEsEEEvT_T0_DpT1_
	.p2align	8
	.type	_ZN2at6native12_GLOBAL__N_125multi_tensor_apply_kernelINS1_18TensorListMetadataILi4EEENS1_24PointwiseOpScalarFunctorIsLi4ELi3ELi3EEEJSt10multipliesIsEsEEEvT_T0_DpT1_,@function
_ZN2at6native12_GLOBAL__N_125multi_tensor_apply_kernelINS1_18TensorListMetadataILi4EEENS1_24PointwiseOpScalarFunctorIsLi4ELi3ELi3EEEJSt10multipliesIsEsEEEvT_T0_DpT1_: ; @_ZN2at6native12_GLOBAL__N_125multi_tensor_apply_kernelINS1_18TensorListMetadataILi4EEENS1_24PointwiseOpScalarFunctorIsLi4ELi3ELi3EEEJSt10multipliesIsEsEEEvT_T0_DpT1_
; %bb.0:
	s_load_b32 s2, s[0:1], 0xbe8
	s_bfe_u32 s3, ttmp6, 0x4000c
	s_and_b32 s4, ttmp6, 15
	s_add_co_i32 s3, s3, 1
	s_getreg_b32 s6, hwreg(HW_REG_IB_STS2, 6, 4)
	s_mul_i32 s3, ttmp9, s3
	s_delay_alu instid0(SALU_CYCLE_1)
	s_add_co_i32 s4, s4, s3
	s_mov_b32 s3, 0
	s_wait_kmcnt 0x0
	s_lshr_b32 s5, s2, 16
	s_cmp_eq_u32 s6, 0
	s_cselect_b32 s2, ttmp9, s4
	s_load_u8 s4, s[0:1], s2 offset:0x5a0
	s_add_nc_u64 s[6:7], s[0:1], s[2:3]
	s_mul_u64 s[8:9], s[2:3], 3
	s_delay_alu instid0(SALU_CYCLE_1)
	s_add_nc_u64 s[14:15], s[6:7], s[8:9]
	s_load_b32 s16, s[14:15], 0x6e0
	s_wait_kmcnt 0x0
	s_clause 0x4
	s_load_b64 s[6:7], s[0:1], s4 offset:0x120 scale_offset
	s_load_b64 s[8:9], s[0:1], s4 offset:0x0 scale_offset
	s_load_b64 s[10:11], s[0:1], s4 offset:0x240 scale_offset
	s_load_b64 s[12:13], s[0:1], s4 offset:0x360 scale_offset
	s_load_b64 s[18:19], s[0:1], s4 offset:0x480 scale_offset
	s_ashr_i32 s17, s16, 31
	s_delay_alu instid0(SALU_CYCLE_1)
	s_lshl_b64 s[14:15], s[16:17], 17
	s_wait_kmcnt 0x0
	s_add_nc_u64 s[20:21], s[6:7], s[14:15]
	s_add_nc_u64 s[22:23], s[10:11], s[14:15]
	s_and_b32 s2, s20, 7
	s_and_b64 s[20:21], s[8:9], 7
	s_cmp_eq_u64 s[2:3], 0
	s_cselect_b32 s4, -1, 0
	s_or_b32 s2, s12, s22
	s_delay_alu instid0(SALU_CYCLE_1) | instskip(NEXT) | instid1(SALU_CYCLE_1)
	s_and_b32 s2, s2, 7
	s_cmp_eq_u32 s2, 0
	s_cselect_b32 s22, -1, 0
	s_and_b32 s2, s18, 3
	s_and_b32 s4, s22, s4
	s_or_b64 s[2:3], s[20:21], s[2:3]
	s_lshl_b64 s[16:17], s[16:17], 16
	s_cmp_eq_u64 s[2:3], 0
	s_sub_nc_u64 s[16:17], s[18:19], s[16:17]
	s_cselect_b32 s2, -1, 0
	s_delay_alu instid0(SALU_CYCLE_1) | instskip(NEXT) | instid1(SALU_CYCLE_1)
	s_and_b32 s2, s4, s2
	s_and_b32 vcc_lo, exec_lo, s2
	s_mov_b32 s2, -1
	s_cbranch_vccnz .LBB4_29
; %bb.1:
	v_cmp_lt_i64_e64 s2, s[16:17], 1
	s_and_b32 vcc_lo, exec_lo, s2
	s_cbranch_vccnz .LBB4_28
; %bb.2:
	s_load_b32 s2, s[0:1], 0xbfc
	v_min_i64 v[2:3], 0x10000, s[16:17]
	v_min_u64 v[4:5], 0x10000, s[16:17]
	v_dual_mov_b32 v1, 0 :: v_dual_lshlrev_b32 v14, 1, v0
	s_mov_b32 s21, 0
	s_delay_alu instid0(SALU_CYCLE_1) | instskip(NEXT) | instid1(VALU_DEP_1)
	s_mov_b32 s19, s21
	v_dual_mov_b32 v15, v1 :: v_dual_mov_b32 v43, v1
	s_mov_b32 s3, s21
	s_mov_b32 s23, s21
	s_delay_alu instid0(VALU_DEP_1) | instskip(SKIP_4) | instid1(SALU_CYCLE_1)
	v_add_nc_u64_e32 v[6:7], s[8:9], v[14:15]
	v_add_nc_u64_e32 v[8:9], s[6:7], v[14:15]
	;; [unrolled: 1-line block ×3, first 2 shown]
	s_wait_kmcnt 0x0
	s_and_b32 s20, s2, 0xffff
	v_add_nc_u64_e32 v[12:13], s[20:21], v[0:1]
	v_mad_nc_u64_u32 v[34:35], s20, 6, v[14:15]
	s_lshl_b32 s18, s20, 2
	s_mul_i32 s22, s20, 3
	v_add_nc_u64_e32 v[26:27], s[18:19], v[14:15]
	s_lshl_b32 s2, s20, 1
	v_add_nc_u64_e32 v[14:15], s[12:13], v[14:15]
	v_lshlrev_b32_e32 v42, 1, v12
	v_add_nc_u64_e32 v[16:17], s[22:23], v[0:1]
	v_add_nc_u64_e32 v[18:19], s[2:3], v[0:1]
	s_lshl_b32 s20, s20, 3
	v_add_nc_u64_e32 v[20:21], s[8:9], v[26:27]
	v_add_nc_u64_e32 v[22:23], s[6:7], v[26:27]
	;; [unrolled: 1-line block ×12, first 2 shown]
	s_mov_b64 s[22:23], 0
	s_branch .LBB4_4
.LBB4_3:                                ;   in Loop: Header=BB4_4 Depth=1
	s_wait_xcnt 0x0
	s_or_b32 exec_lo, exec_lo, s2
	s_add_nc_u64 s[22:23], s[22:23], s[18:19]
	v_add_nc_u64_e32 v[6:7], s[20:21], v[6:7]
	v_cmp_lt_i64_e32 vcc_lo, s[22:23], v[2:3]
	v_add_nc_u64_e32 v[8:9], s[20:21], v[8:9]
	v_add_nc_u64_e32 v[10:11], s[20:21], v[10:11]
	;; [unrolled: 1-line block ×15, first 2 shown]
	s_cbranch_vccz .LBB4_28
.LBB4_4:                                ; =>This Inner Loop Header: Depth=1
	s_wait_loadcnt 0x0
	v_add_nc_u64_e32 v[44:45], s[22:23], v[0:1]
	s_delay_alu instid0(VALU_DEP_1)
	v_cmp_lt_u64_e32 vcc_lo, v[44:45], v[4:5]
	v_dual_mov_b32 v45, 0 :: v_dual_mov_b32 v44, 0
	s_and_saveexec_b32 s2, vcc_lo
	s_cbranch_execz .LBB4_6
; %bb.5:                                ;   in Loop: Header=BB4_4 Depth=1
	v_add_nc_u64_e32 v[46:47], s[14:15], v[6:7]
	v_add_nc_u64_e32 v[48:49], s[14:15], v[8:9]
	global_load_u16 v44, v[46:47], off
	global_load_u16 v45, v[48:49], off
.LBB4_6:                                ;   in Loop: Header=BB4_4 Depth=1
	s_wait_xcnt 0x0
	s_or_b32 exec_lo, exec_lo, s2
	v_dual_mov_b32 v46, 0 :: v_dual_mov_b32 v47, 0
	s_and_saveexec_b32 s2, vcc_lo
	s_cbranch_execz .LBB4_8
; %bb.7:                                ;   in Loop: Header=BB4_4 Depth=1
	v_add_nc_u64_e32 v[48:49], s[14:15], v[10:11]
	global_load_u16 v47, v[48:49], off
.LBB4_8:                                ;   in Loop: Header=BB4_4 Depth=1
	s_wait_xcnt 0x0
	s_or_b32 exec_lo, exec_lo, s2
	v_add_nc_u64_e32 v[48:49], s[22:23], v[12:13]
	s_delay_alu instid0(VALU_DEP_1)
	v_cmp_lt_u64_e64 s2, v[48:49], v[4:5]
	v_mov_b32_e32 v48, 0
	s_and_saveexec_b32 s3, s2
	s_cbranch_execz .LBB4_10
; %bb.9:                                ;   in Loop: Header=BB4_4 Depth=1
	v_add_nc_u64_e32 v[50:51], s[14:15], v[36:37]
	v_add_nc_u64_e32 v[52:53], s[14:15], v[38:39]
	global_load_u16 v48, v[50:51], off
	global_load_u16 v46, v[52:53], off
.LBB4_10:                               ;   in Loop: Header=BB4_4 Depth=1
	s_wait_xcnt 0x0
	s_or_b32 exec_lo, exec_lo, s3
	v_dual_mov_b32 v49, 0 :: v_dual_mov_b32 v50, 0
	s_and_saveexec_b32 s3, s2
	s_cbranch_execz .LBB4_12
; %bb.11:                               ;   in Loop: Header=BB4_4 Depth=1
	v_add_nc_u64_e32 v[50:51], s[14:15], v[40:41]
	global_load_u16 v50, v[50:51], off
.LBB4_12:                               ;   in Loop: Header=BB4_4 Depth=1
	s_wait_xcnt 0x0
	s_or_b32 exec_lo, exec_lo, s3
	v_add_nc_u64_e32 v[52:53], s[22:23], v[18:19]
	v_mov_b32_e32 v51, 0
	s_delay_alu instid0(VALU_DEP_2)
	v_cmp_lt_u64_e64 s3, v[52:53], v[4:5]
	s_and_saveexec_b32 s4, s3
	s_cbranch_execz .LBB4_14
; %bb.13:                               ;   in Loop: Header=BB4_4 Depth=1
	v_add_nc_u64_e32 v[52:53], s[14:15], v[20:21]
	v_add_nc_u64_e32 v[54:55], s[14:15], v[22:23]
	global_load_u16 v51, v[52:53], off
	global_load_u16 v49, v[54:55], off
.LBB4_14:                               ;   in Loop: Header=BB4_4 Depth=1
	s_wait_xcnt 0x0
	s_or_b32 exec_lo, exec_lo, s4
	v_dual_mov_b32 v52, 0 :: v_dual_mov_b32 v53, 0
	s_and_saveexec_b32 s4, s3
	s_cbranch_execz .LBB4_16
; %bb.15:                               ;   in Loop: Header=BB4_4 Depth=1
	v_add_nc_u64_e32 v[54:55], s[14:15], v[24:25]
	global_load_u16 v53, v[54:55], off
.LBB4_16:                               ;   in Loop: Header=BB4_4 Depth=1
	s_wait_xcnt 0x0
	s_or_b32 exec_lo, exec_lo, s4
	v_add_nc_u64_e32 v[54:55], s[22:23], v[16:17]
	s_delay_alu instid0(VALU_DEP_1)
	v_cmp_lt_u64_e64 s4, v[54:55], v[4:5]
	v_mov_b32_e32 v54, 0
	s_and_saveexec_b32 s24, s4
	s_cbranch_execnz .LBB4_22
; %bb.17:                               ;   in Loop: Header=BB4_4 Depth=1
	s_or_b32 exec_lo, exec_lo, s24
	v_mov_b32_e32 v55, 0
	s_and_saveexec_b32 s24, s4
	s_cbranch_execnz .LBB4_23
.LBB4_18:                               ;   in Loop: Header=BB4_4 Depth=1
	s_or_b32 exec_lo, exec_lo, s24
	s_and_saveexec_b32 s24, vcc_lo
	s_cbranch_execnz .LBB4_24
.LBB4_19:                               ;   in Loop: Header=BB4_4 Depth=1
	s_or_b32 exec_lo, exec_lo, s24
	s_and_saveexec_b32 s24, s2
	s_cbranch_execnz .LBB4_25
.LBB4_20:                               ;   in Loop: Header=BB4_4 Depth=1
	s_or_b32 exec_lo, exec_lo, s24
	s_and_saveexec_b32 s2, s3
	s_cbranch_execnz .LBB4_26
.LBB4_21:                               ;   in Loop: Header=BB4_4 Depth=1
	s_or_b32 exec_lo, exec_lo, s2
	s_and_saveexec_b32 s2, s4
	s_cbranch_execz .LBB4_3
	s_branch .LBB4_27
.LBB4_22:                               ;   in Loop: Header=BB4_4 Depth=1
	v_add_nc_u64_e32 v[56:57], s[14:15], v[28:29]
	v_add_nc_u64_e32 v[58:59], s[14:15], v[30:31]
	global_load_u16 v54, v[56:57], off
	global_load_u16 v52, v[58:59], off
	s_wait_xcnt 0x0
	s_or_b32 exec_lo, exec_lo, s24
	v_mov_b32_e32 v55, 0
	s_and_saveexec_b32 s24, s4
	s_cbranch_execz .LBB4_18
.LBB4_23:                               ;   in Loop: Header=BB4_4 Depth=1
	v_add_nc_u64_e32 v[56:57], s[14:15], v[32:33]
	global_load_u16 v55, v[56:57], off
	s_wait_xcnt 0x0
	s_or_b32 exec_lo, exec_lo, s24
	s_and_saveexec_b32 s24, vcc_lo
	s_cbranch_execz .LBB4_19
.LBB4_24:                               ;   in Loop: Header=BB4_4 Depth=1
	s_wait_loadcnt 0x0
	v_mul_lo_u16 v45, v45, s5
	v_add_nc_u64_e32 v[56:57], s[14:15], v[14:15]
	s_delay_alu instid0(VALU_DEP_2)
	v_mad_u16 v44, v45, v47, v44
	global_store_b16 v[56:57], v44, off
	s_wait_xcnt 0x0
	s_or_b32 exec_lo, exec_lo, s24
	s_and_saveexec_b32 s24, s2
	s_cbranch_execz .LBB4_20
.LBB4_25:                               ;   in Loop: Header=BB4_4 Depth=1
	s_wait_loadcnt 0x0
	v_mul_lo_u16 v46, v46, s5
	v_add_nc_u64_e32 v[44:45], s[14:15], v[42:43]
	s_delay_alu instid0(VALU_DEP_2)
	v_mad_u16 v46, v46, v50, v48
	global_store_b16 v[44:45], v46, off
	s_wait_xcnt 0x0
	s_or_b32 exec_lo, exec_lo, s24
	s_and_saveexec_b32 s2, s3
	s_cbranch_execz .LBB4_21
.LBB4_26:                               ;   in Loop: Header=BB4_4 Depth=1
	s_wait_loadcnt 0x0
	v_mul_lo_u16 v46, v49, s5
	v_add_nc_u64_e32 v[44:45], s[14:15], v[26:27]
	s_delay_alu instid0(VALU_DEP_2)
	v_mad_u16 v46, v46, v53, v51
	global_store_b16 v[44:45], v46, off
	s_wait_xcnt 0x0
	s_or_b32 exec_lo, exec_lo, s2
	s_and_saveexec_b32 s2, s4
	s_cbranch_execz .LBB4_3
.LBB4_27:                               ;   in Loop: Header=BB4_4 Depth=1
	s_wait_loadcnt 0x0
	v_mul_lo_u16 v46, v52, s5
	v_add_nc_u64_e32 v[44:45], s[14:15], v[34:35]
	s_delay_alu instid0(VALU_DEP_2)
	v_mad_u16 v46, v46, v55, v54
	global_store_b16 v[44:45], v46, off
	s_branch .LBB4_3
.LBB4_28:
	s_mov_b32 s2, 0
.LBB4_29:
	s_delay_alu instid0(SALU_CYCLE_1)
	s_and_not1_b32 vcc_lo, exec_lo, s2
	s_cbranch_vccnz .LBB4_33
; %bb.30:
	v_min_i64 v[2:3], 0x10000, s[16:17]
	v_dual_mov_b32 v5, 0 :: v_dual_lshlrev_b32 v4, 2, v0
	s_mov_b32 s2, exec_lo
	s_delay_alu instid0(VALU_DEP_1)
	v_cmpx_lt_i64_e64 v[4:5], v[2:3]
	s_cbranch_execz .LBB4_33
; %bb.31:
	s_load_b32 s0, s[0:1], 0xbfc
	v_dual_mov_b32 v1, v5 :: v_dual_lshlrev_b32 v4, 3, v0
	s_wait_xcnt 0x0
	s_mov_b32 s1, 0
	s_delay_alu instid0(SALU_CYCLE_1) | instskip(NEXT) | instid1(VALU_DEP_1)
	s_mov_b32 s3, s1
	v_add_nc_u64_e32 v[4:5], s[14:15], v[4:5]
	s_mov_b32 s4, s1
	s_wait_kmcnt 0x0
	s_and_b32 s0, s0, 0xffff
	s_delay_alu instid0(SALU_CYCLE_1)
	s_lshl_b32 s2, s0, 3
.LBB4_32:                               ; =>This Inner Loop Header: Depth=1
	s_delay_alu instid0(VALU_DEP_1)
	v_add_nc_u64_e32 v[6:7], s[6:7], v[4:5]
	v_add_nc_u64_e32 v[8:9], s[8:9], v[4:5]
	;; [unrolled: 1-line block ×4, first 2 shown]
	global_load_b64 v[12:13], v[6:7], off
	global_load_b64 v[14:15], v[8:9], off
	;; [unrolled: 1-line block ×3, first 2 shown]
	s_wait_loadcnt 0x1
	s_wait_xcnt 0x1
	v_dual_lshrrev_b32 v7, 16, v12 :: v_dual_lshrrev_b32 v8, 16, v14
	v_mul_lo_u16 v6, s5, v12
	s_wait_loadcnt 0x0
	v_dual_lshrrev_b32 v9, 16, v16 :: v_dual_lshrrev_b32 v11, 16, v13
	s_delay_alu instid0(VALU_DEP_3)
	v_mul_lo_u16 v7, s5, v7
	v_mul_lo_u16 v10, s5, v13
	v_dual_lshrrev_b32 v12, 16, v15 :: v_dual_lshrrev_b32 v13, 16, v17
	v_mad_u16 v14, v6, v16, v14
	v_mul_lo_u16 v11, s5, v11
	v_mad_u16 v8, v7, v9, v8
	v_lshlrev_b64_e32 v[6:7], 2, v[0:1]
	v_mad_u16 v9, v10, v17, v15
	v_and_b32_e32 v10, 0xffff, v14
	v_mad_u16 v11, v11, v13, v12
	v_lshlrev_b32_e32 v8, 16, v8
	s_delay_alu instid0(VALU_DEP_4) | instskip(SKIP_1) | instid1(VALU_DEP_3)
	v_and_b32_e32 v9, 0xffff, v9
	v_cmp_ge_i64_e32 vcc_lo, v[6:7], v[2:3]
	v_dual_lshlrev_b32 v11, 16, v11 :: v_dual_bitop2_b32 v8, v8, v10 bitop3:0x54
	v_add_nc_u64_e32 v[6:7], s[12:13], v[4:5]
	v_add_nc_u64_e32 v[4:5], s[2:3], v[4:5]
	s_delay_alu instid0(VALU_DEP_3) | instskip(NEXT) | instid1(VALU_DEP_4)
	v_or3_b32 v9, 0, v9, v11
	v_or3_b32 v8, v8, 0, 0
	s_or_b32 s4, vcc_lo, s4
	global_store_b64 v[6:7], v[8:9], off
	s_wait_xcnt 0x0
	s_and_not1_b32 exec_lo, exec_lo, s4
	s_cbranch_execnz .LBB4_32
.LBB4_33:
	s_endpgm
	.section	.rodata,"a",@progbits
	.p2align	6, 0x0
	.amdhsa_kernel _ZN2at6native12_GLOBAL__N_125multi_tensor_apply_kernelINS1_18TensorListMetadataILi4EEENS1_24PointwiseOpScalarFunctorIsLi4ELi3ELi3EEEJSt10multipliesIsEsEEEvT_T0_DpT1_
		.amdhsa_group_segment_fixed_size 0
		.amdhsa_private_segment_fixed_size 0
		.amdhsa_kernarg_size 3312
		.amdhsa_user_sgpr_count 2
		.amdhsa_user_sgpr_dispatch_ptr 0
		.amdhsa_user_sgpr_queue_ptr 0
		.amdhsa_user_sgpr_kernarg_segment_ptr 1
		.amdhsa_user_sgpr_dispatch_id 0
		.amdhsa_user_sgpr_kernarg_preload_length 0
		.amdhsa_user_sgpr_kernarg_preload_offset 0
		.amdhsa_user_sgpr_private_segment_size 0
		.amdhsa_wavefront_size32 1
		.amdhsa_uses_dynamic_stack 0
		.amdhsa_enable_private_segment 0
		.amdhsa_system_sgpr_workgroup_id_x 1
		.amdhsa_system_sgpr_workgroup_id_y 0
		.amdhsa_system_sgpr_workgroup_id_z 0
		.amdhsa_system_sgpr_workgroup_info 0
		.amdhsa_system_vgpr_workitem_id 0
		.amdhsa_next_free_vgpr 60
		.amdhsa_next_free_sgpr 25
		.amdhsa_named_barrier_count 0
		.amdhsa_reserve_vcc 1
		.amdhsa_float_round_mode_32 0
		.amdhsa_float_round_mode_16_64 0
		.amdhsa_float_denorm_mode_32 3
		.amdhsa_float_denorm_mode_16_64 3
		.amdhsa_fp16_overflow 0
		.amdhsa_memory_ordered 1
		.amdhsa_forward_progress 1
		.amdhsa_inst_pref_size 13
		.amdhsa_round_robin_scheduling 0
		.amdhsa_exception_fp_ieee_invalid_op 0
		.amdhsa_exception_fp_denorm_src 0
		.amdhsa_exception_fp_ieee_div_zero 0
		.amdhsa_exception_fp_ieee_overflow 0
		.amdhsa_exception_fp_ieee_underflow 0
		.amdhsa_exception_fp_ieee_inexact 0
		.amdhsa_exception_int_div_zero 0
	.end_amdhsa_kernel
	.section	.text._ZN2at6native12_GLOBAL__N_125multi_tensor_apply_kernelINS1_18TensorListMetadataILi4EEENS1_24PointwiseOpScalarFunctorIsLi4ELi3ELi3EEEJSt10multipliesIsEsEEEvT_T0_DpT1_,"axG",@progbits,_ZN2at6native12_GLOBAL__N_125multi_tensor_apply_kernelINS1_18TensorListMetadataILi4EEENS1_24PointwiseOpScalarFunctorIsLi4ELi3ELi3EEEJSt10multipliesIsEsEEEvT_T0_DpT1_,comdat
.Lfunc_end4:
	.size	_ZN2at6native12_GLOBAL__N_125multi_tensor_apply_kernelINS1_18TensorListMetadataILi4EEENS1_24PointwiseOpScalarFunctorIsLi4ELi3ELi3EEEJSt10multipliesIsEsEEEvT_T0_DpT1_, .Lfunc_end4-_ZN2at6native12_GLOBAL__N_125multi_tensor_apply_kernelINS1_18TensorListMetadataILi4EEENS1_24PointwiseOpScalarFunctorIsLi4ELi3ELi3EEEJSt10multipliesIsEsEEEvT_T0_DpT1_
                                        ; -- End function
	.set _ZN2at6native12_GLOBAL__N_125multi_tensor_apply_kernelINS1_18TensorListMetadataILi4EEENS1_24PointwiseOpScalarFunctorIsLi4ELi3ELi3EEEJSt10multipliesIsEsEEEvT_T0_DpT1_.num_vgpr, 60
	.set _ZN2at6native12_GLOBAL__N_125multi_tensor_apply_kernelINS1_18TensorListMetadataILi4EEENS1_24PointwiseOpScalarFunctorIsLi4ELi3ELi3EEEJSt10multipliesIsEsEEEvT_T0_DpT1_.num_agpr, 0
	.set _ZN2at6native12_GLOBAL__N_125multi_tensor_apply_kernelINS1_18TensorListMetadataILi4EEENS1_24PointwiseOpScalarFunctorIsLi4ELi3ELi3EEEJSt10multipliesIsEsEEEvT_T0_DpT1_.numbered_sgpr, 25
	.set _ZN2at6native12_GLOBAL__N_125multi_tensor_apply_kernelINS1_18TensorListMetadataILi4EEENS1_24PointwiseOpScalarFunctorIsLi4ELi3ELi3EEEJSt10multipliesIsEsEEEvT_T0_DpT1_.num_named_barrier, 0
	.set _ZN2at6native12_GLOBAL__N_125multi_tensor_apply_kernelINS1_18TensorListMetadataILi4EEENS1_24PointwiseOpScalarFunctorIsLi4ELi3ELi3EEEJSt10multipliesIsEsEEEvT_T0_DpT1_.private_seg_size, 0
	.set _ZN2at6native12_GLOBAL__N_125multi_tensor_apply_kernelINS1_18TensorListMetadataILi4EEENS1_24PointwiseOpScalarFunctorIsLi4ELi3ELi3EEEJSt10multipliesIsEsEEEvT_T0_DpT1_.uses_vcc, 1
	.set _ZN2at6native12_GLOBAL__N_125multi_tensor_apply_kernelINS1_18TensorListMetadataILi4EEENS1_24PointwiseOpScalarFunctorIsLi4ELi3ELi3EEEJSt10multipliesIsEsEEEvT_T0_DpT1_.uses_flat_scratch, 0
	.set _ZN2at6native12_GLOBAL__N_125multi_tensor_apply_kernelINS1_18TensorListMetadataILi4EEENS1_24PointwiseOpScalarFunctorIsLi4ELi3ELi3EEEJSt10multipliesIsEsEEEvT_T0_DpT1_.has_dyn_sized_stack, 0
	.set _ZN2at6native12_GLOBAL__N_125multi_tensor_apply_kernelINS1_18TensorListMetadataILi4EEENS1_24PointwiseOpScalarFunctorIsLi4ELi3ELi3EEEJSt10multipliesIsEsEEEvT_T0_DpT1_.has_recursion, 0
	.set _ZN2at6native12_GLOBAL__N_125multi_tensor_apply_kernelINS1_18TensorListMetadataILi4EEENS1_24PointwiseOpScalarFunctorIsLi4ELi3ELi3EEEJSt10multipliesIsEsEEEvT_T0_DpT1_.has_indirect_call, 0
	.section	.AMDGPU.csdata,"",@progbits
; Kernel info:
; codeLenInByte = 1664
; TotalNumSgprs: 27
; NumVgprs: 60
; ScratchSize: 0
; MemoryBound: 0
; FloatMode: 240
; IeeeMode: 1
; LDSByteSize: 0 bytes/workgroup (compile time only)
; SGPRBlocks: 0
; VGPRBlocks: 3
; NumSGPRsForWavesPerEU: 27
; NumVGPRsForWavesPerEU: 60
; NamedBarCnt: 0
; Occupancy: 16
; WaveLimiterHint : 0
; COMPUTE_PGM_RSRC2:SCRATCH_EN: 0
; COMPUTE_PGM_RSRC2:USER_SGPR: 2
; COMPUTE_PGM_RSRC2:TRAP_HANDLER: 0
; COMPUTE_PGM_RSRC2:TGID_X_EN: 1
; COMPUTE_PGM_RSRC2:TGID_Y_EN: 0
; COMPUTE_PGM_RSRC2:TGID_Z_EN: 0
; COMPUTE_PGM_RSRC2:TIDIG_COMP_CNT: 0
	.section	.text._ZN2at6native12_GLOBAL__N_125multi_tensor_apply_kernelINS1_18TensorListMetadataILi4EEENS1_24PointwiseOpScalarFunctorIdLi4ELi3ELi3EEEJSt10multipliesIdEdEEEvT_T0_DpT1_,"axG",@progbits,_ZN2at6native12_GLOBAL__N_125multi_tensor_apply_kernelINS1_18TensorListMetadataILi4EEENS1_24PointwiseOpScalarFunctorIdLi4ELi3ELi3EEEJSt10multipliesIdEdEEEvT_T0_DpT1_,comdat
	.globl	_ZN2at6native12_GLOBAL__N_125multi_tensor_apply_kernelINS1_18TensorListMetadataILi4EEENS1_24PointwiseOpScalarFunctorIdLi4ELi3ELi3EEEJSt10multipliesIdEdEEEvT_T0_DpT1_ ; -- Begin function _ZN2at6native12_GLOBAL__N_125multi_tensor_apply_kernelINS1_18TensorListMetadataILi4EEENS1_24PointwiseOpScalarFunctorIdLi4ELi3ELi3EEEJSt10multipliesIdEdEEEvT_T0_DpT1_
	.p2align	8
	.type	_ZN2at6native12_GLOBAL__N_125multi_tensor_apply_kernelINS1_18TensorListMetadataILi4EEENS1_24PointwiseOpScalarFunctorIdLi4ELi3ELi3EEEJSt10multipliesIdEdEEEvT_T0_DpT1_,@function
_ZN2at6native12_GLOBAL__N_125multi_tensor_apply_kernelINS1_18TensorListMetadataILi4EEENS1_24PointwiseOpScalarFunctorIdLi4ELi3ELi3EEEJSt10multipliesIdEdEEEvT_T0_DpT1_: ; @_ZN2at6native12_GLOBAL__N_125multi_tensor_apply_kernelINS1_18TensorListMetadataILi4EEENS1_24PointwiseOpScalarFunctorIdLi4ELi3ELi3EEEJSt10multipliesIdEdEEEvT_T0_DpT1_
; %bb.0:
	s_bfe_u32 s2, ttmp6, 0x4000c
	s_and_b32 s3, ttmp6, 15
	s_add_co_i32 s2, s2, 1
	s_getreg_b32 s4, hwreg(HW_REG_IB_STS2, 6, 4)
	s_mul_i32 s2, ttmp9, s2
	s_mov_b32 s19, 0
	s_add_co_i32 s3, s3, s2
	s_cmp_eq_u32 s4, 0
	s_load_b64 s[14:15], s[0:1], 0xbf0
	s_cselect_b32 s18, ttmp9, s3
	s_load_u8 s8, s[0:1], s18 offset:0x5a0
	s_add_nc_u64 s[2:3], s[0:1], s[18:19]
	s_mul_u64 s[4:5], s[18:19], 3
	s_delay_alu instid0(SALU_CYCLE_1)
	s_add_nc_u64 s[6:7], s[2:3], s[4:5]
	s_load_b32 s24, s[6:7], 0x6e0
	s_wait_kmcnt 0x0
	s_clause 0x4
	s_load_b64 s[2:3], s[0:1], s8 offset:0x0 scale_offset
	s_load_b64 s[4:5], s[0:1], s8 offset:0x120 scale_offset
	;; [unrolled: 1-line block ×5, first 2 shown]
	s_ashr_i32 s25, s24, 31
	s_delay_alu instid0(SALU_CYCLE_1)
	s_lshl_b64 s[16:17], s[24:25], 19
	s_wait_kmcnt 0x0
	s_add_nc_u64 s[8:9], s[4:5], s[16:17]
	s_add_nc_u64 s[6:7], s[2:3], s[16:17]
	s_and_b32 s18, s8, 31
	s_and_b64 s[28:29], s[6:7], 31
	s_add_nc_u64 s[10:11], s[20:21], s[16:17]
	s_cmp_eq_u64 s[18:19], 0
	s_add_nc_u64 s[12:13], s[22:23], s[16:17]
	s_cselect_b32 s30, -1, 0
	s_or_b32 s18, s12, s10
	s_delay_alu instid0(SALU_CYCLE_1) | instskip(NEXT) | instid1(SALU_CYCLE_1)
	s_and_b32 s18, s18, 31
	s_cmp_eq_u32 s18, 0
	s_cselect_b32 s31, -1, 0
	s_and_b32 s18, s26, 3
	s_and_b32 s30, s31, s30
	s_or_b64 s[18:19], s[28:29], s[18:19]
	s_lshl_b64 s[24:25], s[24:25], 16
	s_cmp_eq_u64 s[18:19], 0
	s_cselect_b32 s18, -1, 0
	s_delay_alu instid0(SALU_CYCLE_1)
	s_and_b32 s28, s30, s18
	s_sub_nc_u64 s[18:19], s[26:27], s[24:25]
	s_and_b32 vcc_lo, exec_lo, s28
	s_mov_b32 s24, -1
	s_cbranch_vccnz .LBB5_45
; %bb.1:
	v_cmp_lt_i64_e64 s24, s[18:19], 1
	s_and_b32 vcc_lo, exec_lo, s24
	s_cbranch_vccnz .LBB5_44
; %bb.2:
	s_load_b32 s24, s[0:1], 0xc04
	v_min_i64 v[2:3], 0x10000, s[18:19]
	v_min_u64 v[4:5], 0x10000, s[18:19]
	v_cmp_neq_f64_e64 s26, s[14:15], 1.0
	v_dual_mov_b32 v1, 0 :: v_dual_lshlrev_b32 v14, 3, v0
	s_mov_b32 s25, 0
	s_delay_alu instid0(SALU_CYCLE_1) | instskip(NEXT) | instid1(VALU_DEP_1)
	s_mov_b32 s35, s25
	v_dual_mov_b32 v15, v1 :: v_dual_mov_b32 v43, v1
	s_mov_b32 s29, s25
	s_mov_b32 s31, s25
	s_delay_alu instid0(VALU_DEP_1) | instskip(SKIP_4) | instid1(SALU_CYCLE_1)
	v_add_nc_u64_e32 v[6:7], s[2:3], v[14:15]
	v_add_nc_u64_e32 v[8:9], s[4:5], v[14:15]
	;; [unrolled: 1-line block ×3, first 2 shown]
	s_wait_kmcnt 0x0
	s_and_b32 s24, s24, 0xffff
	v_add_nc_u64_e32 v[12:13], s[24:25], v[0:1]
	v_mad_nc_u64_u32 v[34:35], s24, 24, v[14:15]
	s_lshl_b32 s34, s24, 4
	s_mul_i32 s30, s24, 3
	v_add_nc_u64_e32 v[26:27], s[34:35], v[14:15]
	s_lshl_b32 s28, s24, 1
	v_add_nc_u64_e32 v[14:15], s[22:23], v[14:15]
	v_lshlrev_b32_e32 v42, 3, v12
	v_add_nc_u64_e32 v[16:17], s[30:31], v[0:1]
	v_add_nc_u64_e32 v[18:19], s[28:29], v[0:1]
	;; [unrolled: 1-line block ×14, first 2 shown]
	s_lshl_b32 s20, s24, 2
	s_mov_b32 s21, s25
	s_lshl_b32 s22, s24, 5
	s_mov_b32 s23, s25
	s_mov_b64 s[24:25], 0
	s_branch .LBB5_4
.LBB5_3:                                ;   in Loop: Header=BB5_4 Depth=1
	s_wait_xcnt 0x0
	s_or_b32 exec_lo, exec_lo, s2
	s_add_nc_u64 s[24:25], s[24:25], s[20:21]
	v_add_nc_u64_e32 v[6:7], s[22:23], v[6:7]
	v_cmp_ge_i64_e32 vcc_lo, s[24:25], v[2:3]
	v_add_nc_u64_e32 v[8:9], s[22:23], v[8:9]
	v_add_nc_u64_e32 v[10:11], s[22:23], v[10:11]
	;; [unrolled: 1-line block ×15, first 2 shown]
	s_cbranch_vccnz .LBB5_44
.LBB5_4:                                ; =>This Inner Loop Header: Depth=1
	s_wait_loadcnt 0x1
	v_add_nc_u64_e32 v[48:49], s[24:25], v[0:1]
	s_wait_loadcnt 0x0
	v_mov_b64_e32 v[44:45], 0
	v_mov_b64_e32 v[46:47], 0
	s_delay_alu instid0(VALU_DEP_3)
	v_cmp_lt_u64_e64 s2, v[48:49], v[4:5]
	v_mov_b64_e32 v[48:49], 0
	s_and_saveexec_b32 s3, s2
	s_cbranch_execz .LBB5_6
; %bb.5:                                ;   in Loop: Header=BB5_4 Depth=1
	v_add_nc_u64_e32 v[50:51], s[16:17], v[6:7]
	v_add_nc_u64_e32 v[52:53], s[16:17], v[8:9]
	global_load_b64 v[48:49], v[50:51], off
	global_load_b64 v[46:47], v[52:53], off
.LBB5_6:                                ;   in Loop: Header=BB5_4 Depth=1
	s_wait_xcnt 0x0
	s_or_b32 exec_lo, exec_lo, s3
	s_and_saveexec_b32 s3, s2
	s_cbranch_execz .LBB5_8
; %bb.7:                                ;   in Loop: Header=BB5_4 Depth=1
	v_add_nc_u64_e32 v[44:45], s[16:17], v[10:11]
	global_load_b64 v[44:45], v[44:45], off
.LBB5_8:                                ;   in Loop: Header=BB5_4 Depth=1
	s_wait_xcnt 0x0
	s_or_b32 exec_lo, exec_lo, s3
	v_add_nc_u64_e32 v[54:55], s[24:25], v[12:13]
	v_mov_b64_e32 v[50:51], 0
	v_mov_b64_e32 v[52:53], 0
	s_delay_alu instid0(VALU_DEP_3)
	v_cmp_lt_u64_e64 s3, v[54:55], v[4:5]
	v_mov_b64_e32 v[54:55], 0
	s_and_saveexec_b32 s4, s3
	s_cbranch_execz .LBB5_10
; %bb.9:                                ;   in Loop: Header=BB5_4 Depth=1
	v_add_nc_u64_e32 v[56:57], s[16:17], v[36:37]
	v_add_nc_u64_e32 v[58:59], s[16:17], v[38:39]
	global_load_b64 v[54:55], v[56:57], off
	global_load_b64 v[52:53], v[58:59], off
.LBB5_10:                               ;   in Loop: Header=BB5_4 Depth=1
	s_wait_xcnt 0x0
	s_or_b32 exec_lo, exec_lo, s4
	s_and_saveexec_b32 s4, s3
	s_cbranch_execz .LBB5_12
; %bb.11:                               ;   in Loop: Header=BB5_4 Depth=1
	v_add_nc_u64_e32 v[50:51], s[16:17], v[40:41]
	global_load_b64 v[50:51], v[50:51], off
.LBB5_12:                               ;   in Loop: Header=BB5_4 Depth=1
	s_wait_xcnt 0x0
	s_or_b32 exec_lo, exec_lo, s4
	v_add_nc_u64_e32 v[60:61], s[24:25], v[18:19]
	v_mov_b64_e32 v[56:57], 0
	v_mov_b64_e32 v[58:59], 0
	s_delay_alu instid0(VALU_DEP_3)
	v_cmp_lt_u64_e64 s4, v[60:61], v[4:5]
	v_mov_b64_e32 v[60:61], 0
	s_and_saveexec_b32 s5, s4
	s_cbranch_execz .LBB5_14
; %bb.13:                               ;   in Loop: Header=BB5_4 Depth=1
	v_add_nc_u64_e32 v[62:63], s[16:17], v[20:21]
	v_add_nc_u64_e32 v[64:65], s[16:17], v[22:23]
	global_load_b64 v[60:61], v[62:63], off
	global_load_b64 v[58:59], v[64:65], off
.LBB5_14:                               ;   in Loop: Header=BB5_4 Depth=1
	s_wait_xcnt 0x0
	s_or_b32 exec_lo, exec_lo, s5
	s_and_saveexec_b32 s5, s4
	s_cbranch_execz .LBB5_16
; %bb.15:                               ;   in Loop: Header=BB5_4 Depth=1
	v_add_nc_u64_e32 v[56:57], s[16:17], v[24:25]
	global_load_b64 v[56:57], v[56:57], off
.LBB5_16:                               ;   in Loop: Header=BB5_4 Depth=1
	s_wait_xcnt 0x0
	s_or_b32 exec_lo, exec_lo, s5
	v_add_nc_u64_e32 v[66:67], s[24:25], v[16:17]
	v_mov_b64_e32 v[62:63], 0
	v_mov_b64_e32 v[64:65], 0
	s_delay_alu instid0(VALU_DEP_3)
	v_cmp_lt_u64_e64 s5, v[66:67], v[4:5]
	v_mov_b64_e32 v[66:67], 0
	s_and_saveexec_b32 s27, s5
	s_cbranch_execnz .LBB5_34
; %bb.17:                               ;   in Loop: Header=BB5_4 Depth=1
	s_or_b32 exec_lo, exec_lo, s27
	s_and_saveexec_b32 s27, s5
	s_cbranch_execnz .LBB5_35
.LBB5_18:                               ;   in Loop: Header=BB5_4 Depth=1
	s_or_b32 exec_lo, exec_lo, s27
	s_delay_alu instid0(SALU_CYCLE_1)
	s_and_b32 vcc_lo, exec_lo, s26
	s_cbranch_vccz .LBB5_36
.LBB5_19:                               ;   in Loop: Header=BB5_4 Depth=1
	s_wait_loadcnt 0x0
	v_mul_f64_e32 v[68:69], v[46:47], v[44:45]
	s_delay_alu instid0(VALU_DEP_1)
	v_fma_f64 v[68:69], s[14:15], v[68:69], v[48:49]
	s_cbranch_execnz .LBB5_21
.LBB5_20:                               ;   in Loop: Header=BB5_4 Depth=1
	s_wait_loadcnt 0x0
	v_fmac_f64_e32 v[48:49], v[46:47], v[44:45]
	s_delay_alu instid0(VALU_DEP_1)
	v_mov_b64_e32 v[68:69], v[48:49]
.LBB5_21:                               ;   in Loop: Header=BB5_4 Depth=1
	s_and_not1_b32 vcc_lo, exec_lo, s26
	s_cbranch_vccnz .LBB5_41
; %bb.22:                               ;   in Loop: Header=BB5_4 Depth=1
	s_wait_loadcnt 0x0
	v_mul_f64_e32 v[44:45], v[52:53], v[50:51]
	s_delay_alu instid0(VALU_DEP_1)
	v_fma_f64 v[44:45], s[14:15], v[44:45], v[54:55]
	s_cbranch_execnz .LBB5_24
.LBB5_23:                               ;   in Loop: Header=BB5_4 Depth=1
	s_wait_loadcnt 0x0
	v_fmac_f64_e32 v[54:55], v[52:53], v[50:51]
	s_delay_alu instid0(VALU_DEP_1)
	v_mov_b64_e32 v[44:45], v[54:55]
.LBB5_24:                               ;   in Loop: Header=BB5_4 Depth=1
	s_and_not1_b32 vcc_lo, exec_lo, s26
	s_cbranch_vccnz .LBB5_42
; %bb.25:                               ;   in Loop: Header=BB5_4 Depth=1
	s_wait_loadcnt 0x0
	v_mul_f64_e32 v[46:47], v[58:59], v[56:57]
	s_delay_alu instid0(VALU_DEP_1)
	v_fma_f64 v[46:47], s[14:15], v[46:47], v[60:61]
	s_cbranch_execnz .LBB5_27
.LBB5_26:                               ;   in Loop: Header=BB5_4 Depth=1
	s_wait_loadcnt 0x0
	v_fmac_f64_e32 v[60:61], v[58:59], v[56:57]
	s_delay_alu instid0(VALU_DEP_1)
	v_mov_b64_e32 v[46:47], v[60:61]
.LBB5_27:                               ;   in Loop: Header=BB5_4 Depth=1
	s_and_not1_b32 vcc_lo, exec_lo, s26
	s_cbranch_vccnz .LBB5_43
; %bb.28:                               ;   in Loop: Header=BB5_4 Depth=1
	s_wait_loadcnt 0x0
	v_mul_f64_e32 v[48:49], v[64:65], v[62:63]
	s_delay_alu instid0(VALU_DEP_1)
	v_fma_f64 v[48:49], s[14:15], v[48:49], v[66:67]
	s_cbranch_execnz .LBB5_30
.LBB5_29:                               ;   in Loop: Header=BB5_4 Depth=1
	s_wait_loadcnt 0x0
	v_fmac_f64_e32 v[66:67], v[64:65], v[62:63]
	s_delay_alu instid0(VALU_DEP_1)
	v_mov_b64_e32 v[48:49], v[66:67]
.LBB5_30:                               ;   in Loop: Header=BB5_4 Depth=1
	s_and_saveexec_b32 s27, s2
	s_delay_alu instid0(SALU_CYCLE_1)
	s_xor_b32 s2, exec_lo, s27
	s_cbranch_execnz .LBB5_37
; %bb.31:                               ;   in Loop: Header=BB5_4 Depth=1
	s_or_b32 exec_lo, exec_lo, s2
	s_and_saveexec_b32 s2, s3
	s_cbranch_execnz .LBB5_38
.LBB5_32:                               ;   in Loop: Header=BB5_4 Depth=1
	s_or_b32 exec_lo, exec_lo, s2
	s_and_saveexec_b32 s2, s4
	s_cbranch_execnz .LBB5_39
.LBB5_33:                               ;   in Loop: Header=BB5_4 Depth=1
	s_or_b32 exec_lo, exec_lo, s2
	s_and_saveexec_b32 s2, s5
	s_cbranch_execz .LBB5_3
	s_branch .LBB5_40
.LBB5_34:                               ;   in Loop: Header=BB5_4 Depth=1
	v_add_nc_u64_e32 v[68:69], s[16:17], v[28:29]
	v_add_nc_u64_e32 v[70:71], s[16:17], v[30:31]
	global_load_b64 v[66:67], v[68:69], off
	global_load_b64 v[64:65], v[70:71], off
	s_wait_xcnt 0x0
	s_or_b32 exec_lo, exec_lo, s27
	s_and_saveexec_b32 s27, s5
	s_cbranch_execz .LBB5_18
.LBB5_35:                               ;   in Loop: Header=BB5_4 Depth=1
	v_add_nc_u64_e32 v[62:63], s[16:17], v[32:33]
	global_load_b64 v[62:63], v[62:63], off
	s_wait_xcnt 0x0
	s_or_b32 exec_lo, exec_lo, s27
	s_delay_alu instid0(SALU_CYCLE_1)
	s_and_b32 vcc_lo, exec_lo, s26
	s_cbranch_vccnz .LBB5_19
.LBB5_36:                               ;   in Loop: Header=BB5_4 Depth=1
                                        ; implicit-def: $vgpr68_vgpr69
	s_branch .LBB5_20
.LBB5_37:                               ;   in Loop: Header=BB5_4 Depth=1
	s_wait_loadcnt 0x0
	v_add_nc_u64_e32 v[50:51], s[16:17], v[14:15]
	global_store_b64 v[50:51], v[68:69], off
	s_wait_xcnt 0x0
	s_or_b32 exec_lo, exec_lo, s2
	s_and_saveexec_b32 s2, s3
	s_cbranch_execz .LBB5_32
.LBB5_38:                               ;   in Loop: Header=BB5_4 Depth=1
	s_wait_loadcnt 0x0
	v_add_nc_u64_e32 v[50:51], s[16:17], v[42:43]
	global_store_b64 v[50:51], v[44:45], off
	s_wait_xcnt 0x0
	s_or_b32 exec_lo, exec_lo, s2
	s_and_saveexec_b32 s2, s4
	s_cbranch_execz .LBB5_33
.LBB5_39:                               ;   in Loop: Header=BB5_4 Depth=1
	s_wait_loadcnt 0x0
	v_add_nc_u64_e32 v[44:45], s[16:17], v[26:27]
	global_store_b64 v[44:45], v[46:47], off
	s_wait_xcnt 0x0
	s_or_b32 exec_lo, exec_lo, s2
	s_and_saveexec_b32 s2, s5
	s_cbranch_execz .LBB5_3
.LBB5_40:                               ;   in Loop: Header=BB5_4 Depth=1
	s_wait_loadcnt 0x0
	v_add_nc_u64_e32 v[44:45], s[16:17], v[34:35]
	global_store_b64 v[44:45], v[48:49], off
	s_branch .LBB5_3
.LBB5_41:                               ;   in Loop: Header=BB5_4 Depth=1
                                        ; implicit-def: $vgpr44_vgpr45
	s_branch .LBB5_23
.LBB5_42:                               ;   in Loop: Header=BB5_4 Depth=1
                                        ; implicit-def: $vgpr46_vgpr47
	s_branch .LBB5_26
.LBB5_43:                               ;   in Loop: Header=BB5_4 Depth=1
                                        ; implicit-def: $vgpr48_vgpr49
	s_branch .LBB5_29
.LBB5_44:
	s_mov_b32 s24, 0
.LBB5_45:
	s_delay_alu instid0(SALU_CYCLE_1)
	s_and_not1_b32 vcc_lo, exec_lo, s24
	s_cbranch_vccnz .LBB5_65
; %bb.46:
	v_min_i64 v[30:31], 0x10000, s[18:19]
	v_dual_mov_b32 v33, 0 :: v_dual_lshlrev_b32 v32, 2, v0
	s_mov_b32 s2, exec_lo
	s_delay_alu instid0(VALU_DEP_1)
	v_cmpx_lt_i64_e64 v[32:33], v[30:31]
	s_cbranch_execz .LBB5_65
; %bb.47:
	v_cmp_neq_f64_e64 s4, s[14:15], 1.0
	s_load_b32 s0, s[0:1], 0xc04
	v_dual_mov_b32 v1, v33 :: v_dual_lshlrev_b32 v32, 5, v0
	s_wait_xcnt 0x0
	s_mov_b32 s1, 0
	s_delay_alu instid0(SALU_CYCLE_1) | instskip(SKIP_3) | instid1(SALU_CYCLE_1)
	s_mov_b32 s3, s1
	s_mov_b32 s5, s1
	s_wait_kmcnt 0x0
	s_and_b32 s0, s0, 0xffff
	s_lshl_b32 s2, s0, 5
	s_branch .LBB5_49
.LBB5_48:                               ;   in Loop: Header=BB5_49 Depth=1
	v_add_nc_u64_e32 v[0:1], s[0:1], v[0:1]
	s_add_nc_u64 s[6:7], s[6:7], s[2:3]
	s_add_nc_u64 s[10:11], s[10:11], s[2:3]
	;; [unrolled: 1-line block ×3, first 2 shown]
	s_wait_loadcnt 0x5
	s_delay_alu instid0(VALU_DEP_1) | instskip(NEXT) | instid1(VALU_DEP_1)
	v_lshlrev_b64_e32 v[6:7], 2, v[0:1]
	v_cmp_ge_i64_e32 vcc_lo, v[6:7], v[30:31]
	v_add_nc_u64_e32 v[6:7], s[12:13], v[32:33]
	s_add_nc_u64 s[12:13], s[12:13], s[2:3]
	global_store_b128 v[6:7], v[2:5], off
	s_wait_loadcnt 0x4
	global_store_b128 v[6:7], v[18:21], off offset:16
	s_or_b32 s5, vcc_lo, s5
	s_wait_xcnt 0x0
	s_and_not1_b32 exec_lo, exec_lo, s5
	s_cbranch_execz .LBB5_65
.LBB5_49:                               ; =>This Inner Loop Header: Depth=1
	v_add_nc_u64_e32 v[2:3], s[6:7], v[32:33]
	v_add_nc_u64_e32 v[4:5], s[8:9], v[32:33]
	;; [unrolled: 1-line block ×3, first 2 shown]
	s_and_b32 vcc_lo, exec_lo, s4
	s_clause 0x1
	global_load_b128 v[6:9], v[2:3], off offset:16
	global_load_b128 v[18:21], v[2:3], off
	s_wait_loadcnt 0x5
	global_load_b128 v[10:13], v[4:5], off offset:16
	s_wait_loadcnt 0x5
	global_load_b128 v[22:25], v[4:5], off
	s_wait_loadcnt 0x5
	global_load_b128 v[14:17], v[34:35], off offset:16
	s_wait_loadcnt 0x5
	global_load_b128 v[26:29], v[34:35], off
	s_cbranch_vccz .LBB5_60
; %bb.50:                               ;   in Loop: Header=BB5_49 Depth=1
	s_wait_loadcnt 0x0
	s_wait_xcnt 0x4
	v_mul_f64_e32 v[2:3], v[22:23], v[26:27]
	s_delay_alu instid0(VALU_DEP_1)
	v_fma_f64 v[2:3], s[14:15], v[2:3], v[18:19]
	s_cbranch_execnz .LBB5_52
.LBB5_51:                               ;   in Loop: Header=BB5_49 Depth=1
	s_wait_loadcnt 0x0
	v_fmac_f64_e32 v[18:19], v[22:23], v[26:27]
	s_wait_xcnt 0x4
	s_delay_alu instid0(VALU_DEP_1)
	v_mov_b64_e32 v[2:3], v[18:19]
.LBB5_52:                               ;   in Loop: Header=BB5_49 Depth=1
	s_and_not1_b32 vcc_lo, exec_lo, s4
	s_cbranch_vccnz .LBB5_61
; %bb.53:                               ;   in Loop: Header=BB5_49 Depth=1
	s_wait_loadcnt 0x0
	s_wait_xcnt 0x2
	v_mul_f64_e32 v[4:5], v[24:25], v[28:29]
	s_delay_alu instid0(VALU_DEP_1)
	v_fma_f64 v[4:5], s[14:15], v[4:5], v[20:21]
	s_cbranch_execnz .LBB5_55
.LBB5_54:                               ;   in Loop: Header=BB5_49 Depth=1
	s_wait_loadcnt 0x0
	v_fmac_f64_e32 v[20:21], v[24:25], v[28:29]
	s_wait_xcnt 0x2
	s_delay_alu instid0(VALU_DEP_1)
	v_mov_b64_e32 v[4:5], v[20:21]
.LBB5_55:                               ;   in Loop: Header=BB5_49 Depth=1
	s_and_not1_b32 vcc_lo, exec_lo, s4
	s_cbranch_vccnz .LBB5_62
; %bb.56:                               ;   in Loop: Header=BB5_49 Depth=1
	s_wait_loadcnt 0x1
	v_mul_f64_e32 v[18:19], v[10:11], v[14:15]
	s_delay_alu instid0(VALU_DEP_1)
	v_fma_f64 v[18:19], s[14:15], v[18:19], v[6:7]
	s_cbranch_execnz .LBB5_58
.LBB5_57:                               ;   in Loop: Header=BB5_49 Depth=1
	s_wait_loadcnt 0x1
	v_fmac_f64_e32 v[6:7], v[10:11], v[14:15]
	s_delay_alu instid0(VALU_DEP_1)
	v_mov_b64_e32 v[18:19], v[6:7]
.LBB5_58:                               ;   in Loop: Header=BB5_49 Depth=1
	s_and_not1_b32 vcc_lo, exec_lo, s4
	s_cbranch_vccnz .LBB5_63
; %bb.59:                               ;   in Loop: Header=BB5_49 Depth=1
	s_wait_loadcnt 0x1
	v_mul_f64_e32 v[6:7], v[12:13], v[16:17]
	s_delay_alu instid0(VALU_DEP_1)
	v_fma_f64 v[20:21], s[14:15], v[6:7], v[8:9]
	s_cbranch_execnz .LBB5_48
	s_branch .LBB5_64
.LBB5_60:                               ;   in Loop: Header=BB5_49 Depth=1
                                        ; implicit-def: $vgpr2_vgpr3
	s_branch .LBB5_51
.LBB5_61:                               ;   in Loop: Header=BB5_49 Depth=1
	s_branch .LBB5_54
.LBB5_62:                               ;   in Loop: Header=BB5_49 Depth=1
                                        ; implicit-def: $vgpr18_vgpr19
	s_branch .LBB5_57
.LBB5_63:                               ;   in Loop: Header=BB5_49 Depth=1
.LBB5_64:                               ;   in Loop: Header=BB5_49 Depth=1
	s_wait_loadcnt 0x1
	v_fmac_f64_e32 v[8:9], v[12:13], v[16:17]
	s_delay_alu instid0(VALU_DEP_1)
	v_mov_b64_e32 v[20:21], v[8:9]
	s_branch .LBB5_48
.LBB5_65:
	s_sendmsg sendmsg(MSG_DEALLOC_VGPRS)
	s_endpgm
	.section	.rodata,"a",@progbits
	.p2align	6, 0x0
	.amdhsa_kernel _ZN2at6native12_GLOBAL__N_125multi_tensor_apply_kernelINS1_18TensorListMetadataILi4EEENS1_24PointwiseOpScalarFunctorIdLi4ELi3ELi3EEEJSt10multipliesIdEdEEEvT_T0_DpT1_
		.amdhsa_group_segment_fixed_size 0
		.amdhsa_private_segment_fixed_size 0
		.amdhsa_kernarg_size 3320
		.amdhsa_user_sgpr_count 2
		.amdhsa_user_sgpr_dispatch_ptr 0
		.amdhsa_user_sgpr_queue_ptr 0
		.amdhsa_user_sgpr_kernarg_segment_ptr 1
		.amdhsa_user_sgpr_dispatch_id 0
		.amdhsa_user_sgpr_kernarg_preload_length 0
		.amdhsa_user_sgpr_kernarg_preload_offset 0
		.amdhsa_user_sgpr_private_segment_size 0
		.amdhsa_wavefront_size32 1
		.amdhsa_uses_dynamic_stack 0
		.amdhsa_enable_private_segment 0
		.amdhsa_system_sgpr_workgroup_id_x 1
		.amdhsa_system_sgpr_workgroup_id_y 0
		.amdhsa_system_sgpr_workgroup_id_z 0
		.amdhsa_system_sgpr_workgroup_info 0
		.amdhsa_system_vgpr_workitem_id 0
		.amdhsa_next_free_vgpr 72
		.amdhsa_next_free_sgpr 36
		.amdhsa_named_barrier_count 0
		.amdhsa_reserve_vcc 1
		.amdhsa_float_round_mode_32 0
		.amdhsa_float_round_mode_16_64 0
		.amdhsa_float_denorm_mode_32 3
		.amdhsa_float_denorm_mode_16_64 3
		.amdhsa_fp16_overflow 0
		.amdhsa_memory_ordered 1
		.amdhsa_forward_progress 1
		.amdhsa_inst_pref_size 16
		.amdhsa_round_robin_scheduling 0
		.amdhsa_exception_fp_ieee_invalid_op 0
		.amdhsa_exception_fp_denorm_src 0
		.amdhsa_exception_fp_ieee_div_zero 0
		.amdhsa_exception_fp_ieee_overflow 0
		.amdhsa_exception_fp_ieee_underflow 0
		.amdhsa_exception_fp_ieee_inexact 0
		.amdhsa_exception_int_div_zero 0
	.end_amdhsa_kernel
	.section	.text._ZN2at6native12_GLOBAL__N_125multi_tensor_apply_kernelINS1_18TensorListMetadataILi4EEENS1_24PointwiseOpScalarFunctorIdLi4ELi3ELi3EEEJSt10multipliesIdEdEEEvT_T0_DpT1_,"axG",@progbits,_ZN2at6native12_GLOBAL__N_125multi_tensor_apply_kernelINS1_18TensorListMetadataILi4EEENS1_24PointwiseOpScalarFunctorIdLi4ELi3ELi3EEEJSt10multipliesIdEdEEEvT_T0_DpT1_,comdat
.Lfunc_end5:
	.size	_ZN2at6native12_GLOBAL__N_125multi_tensor_apply_kernelINS1_18TensorListMetadataILi4EEENS1_24PointwiseOpScalarFunctorIdLi4ELi3ELi3EEEJSt10multipliesIdEdEEEvT_T0_DpT1_, .Lfunc_end5-_ZN2at6native12_GLOBAL__N_125multi_tensor_apply_kernelINS1_18TensorListMetadataILi4EEENS1_24PointwiseOpScalarFunctorIdLi4ELi3ELi3EEEJSt10multipliesIdEdEEEvT_T0_DpT1_
                                        ; -- End function
	.set _ZN2at6native12_GLOBAL__N_125multi_tensor_apply_kernelINS1_18TensorListMetadataILi4EEENS1_24PointwiseOpScalarFunctorIdLi4ELi3ELi3EEEJSt10multipliesIdEdEEEvT_T0_DpT1_.num_vgpr, 72
	.set _ZN2at6native12_GLOBAL__N_125multi_tensor_apply_kernelINS1_18TensorListMetadataILi4EEENS1_24PointwiseOpScalarFunctorIdLi4ELi3ELi3EEEJSt10multipliesIdEdEEEvT_T0_DpT1_.num_agpr, 0
	.set _ZN2at6native12_GLOBAL__N_125multi_tensor_apply_kernelINS1_18TensorListMetadataILi4EEENS1_24PointwiseOpScalarFunctorIdLi4ELi3ELi3EEEJSt10multipliesIdEdEEEvT_T0_DpT1_.numbered_sgpr, 36
	.set _ZN2at6native12_GLOBAL__N_125multi_tensor_apply_kernelINS1_18TensorListMetadataILi4EEENS1_24PointwiseOpScalarFunctorIdLi4ELi3ELi3EEEJSt10multipliesIdEdEEEvT_T0_DpT1_.num_named_barrier, 0
	.set _ZN2at6native12_GLOBAL__N_125multi_tensor_apply_kernelINS1_18TensorListMetadataILi4EEENS1_24PointwiseOpScalarFunctorIdLi4ELi3ELi3EEEJSt10multipliesIdEdEEEvT_T0_DpT1_.private_seg_size, 0
	.set _ZN2at6native12_GLOBAL__N_125multi_tensor_apply_kernelINS1_18TensorListMetadataILi4EEENS1_24PointwiseOpScalarFunctorIdLi4ELi3ELi3EEEJSt10multipliesIdEdEEEvT_T0_DpT1_.uses_vcc, 1
	.set _ZN2at6native12_GLOBAL__N_125multi_tensor_apply_kernelINS1_18TensorListMetadataILi4EEENS1_24PointwiseOpScalarFunctorIdLi4ELi3ELi3EEEJSt10multipliesIdEdEEEvT_T0_DpT1_.uses_flat_scratch, 0
	.set _ZN2at6native12_GLOBAL__N_125multi_tensor_apply_kernelINS1_18TensorListMetadataILi4EEENS1_24PointwiseOpScalarFunctorIdLi4ELi3ELi3EEEJSt10multipliesIdEdEEEvT_T0_DpT1_.has_dyn_sized_stack, 0
	.set _ZN2at6native12_GLOBAL__N_125multi_tensor_apply_kernelINS1_18TensorListMetadataILi4EEENS1_24PointwiseOpScalarFunctorIdLi4ELi3ELi3EEEJSt10multipliesIdEdEEEvT_T0_DpT1_.has_recursion, 0
	.set _ZN2at6native12_GLOBAL__N_125multi_tensor_apply_kernelINS1_18TensorListMetadataILi4EEENS1_24PointwiseOpScalarFunctorIdLi4ELi3ELi3EEEJSt10multipliesIdEdEEEvT_T0_DpT1_.has_indirect_call, 0
	.section	.AMDGPU.csdata,"",@progbits
; Kernel info:
; codeLenInByte = 1980
; TotalNumSgprs: 38
; NumVgprs: 72
; ScratchSize: 0
; MemoryBound: 1
; FloatMode: 240
; IeeeMode: 1
; LDSByteSize: 0 bytes/workgroup (compile time only)
; SGPRBlocks: 0
; VGPRBlocks: 4
; NumSGPRsForWavesPerEU: 38
; NumVGPRsForWavesPerEU: 72
; NamedBarCnt: 0
; Occupancy: 12
; WaveLimiterHint : 0
; COMPUTE_PGM_RSRC2:SCRATCH_EN: 0
; COMPUTE_PGM_RSRC2:USER_SGPR: 2
; COMPUTE_PGM_RSRC2:TRAP_HANDLER: 0
; COMPUTE_PGM_RSRC2:TGID_X_EN: 1
; COMPUTE_PGM_RSRC2:TGID_Y_EN: 0
; COMPUTE_PGM_RSRC2:TGID_Z_EN: 0
; COMPUTE_PGM_RSRC2:TIDIG_COMP_CNT: 0
	.section	.text._ZN2at6native12_GLOBAL__N_125multi_tensor_apply_kernelINS1_18TensorListMetadataILi4EEENS1_24PointwiseOpScalarFunctorIfLi4ELi3ELi3EEEJSt10multipliesIfEfEEEvT_T0_DpT1_,"axG",@progbits,_ZN2at6native12_GLOBAL__N_125multi_tensor_apply_kernelINS1_18TensorListMetadataILi4EEENS1_24PointwiseOpScalarFunctorIfLi4ELi3ELi3EEEJSt10multipliesIfEfEEEvT_T0_DpT1_,comdat
	.globl	_ZN2at6native12_GLOBAL__N_125multi_tensor_apply_kernelINS1_18TensorListMetadataILi4EEENS1_24PointwiseOpScalarFunctorIfLi4ELi3ELi3EEEJSt10multipliesIfEfEEEvT_T0_DpT1_ ; -- Begin function _ZN2at6native12_GLOBAL__N_125multi_tensor_apply_kernelINS1_18TensorListMetadataILi4EEENS1_24PointwiseOpScalarFunctorIfLi4ELi3ELi3EEEJSt10multipliesIfEfEEEvT_T0_DpT1_
	.p2align	8
	.type	_ZN2at6native12_GLOBAL__N_125multi_tensor_apply_kernelINS1_18TensorListMetadataILi4EEENS1_24PointwiseOpScalarFunctorIfLi4ELi3ELi3EEEJSt10multipliesIfEfEEEvT_T0_DpT1_,@function
_ZN2at6native12_GLOBAL__N_125multi_tensor_apply_kernelINS1_18TensorListMetadataILi4EEENS1_24PointwiseOpScalarFunctorIfLi4ELi3ELi3EEEJSt10multipliesIfEfEEEvT_T0_DpT1_: ; @_ZN2at6native12_GLOBAL__N_125multi_tensor_apply_kernelINS1_18TensorListMetadataILi4EEENS1_24PointwiseOpScalarFunctorIfLi4ELi3ELi3EEEJSt10multipliesIfEfEEEvT_T0_DpT1_
; %bb.0:
	s_bfe_u32 s2, ttmp6, 0x4000c
	s_and_b32 s3, ttmp6, 15
	s_add_co_i32 s2, s2, 1
	s_getreg_b32 s4, hwreg(HW_REG_IB_STS2, 6, 4)
	s_mul_i32 s2, ttmp9, s2
	s_delay_alu instid0(SALU_CYCLE_1)
	s_add_co_i32 s3, s3, s2
	s_cmp_eq_u32 s4, 0
	s_cselect_b32 s2, ttmp9, s3
	s_mov_b32 s3, 0
	s_load_u8 s14, s[0:1], s2 offset:0x5a0
	s_add_nc_u64 s[4:5], s[0:1], s[2:3]
	s_mul_u64 s[6:7], s[2:3], 3
	s_delay_alu instid0(SALU_CYCLE_1)
	s_add_nc_u64 s[4:5], s[4:5], s[6:7]
	s_load_b32 s18, s[4:5], 0x6e0
	s_wait_kmcnt 0x0
	s_clause 0x4
	s_load_b64 s[10:11], s[0:1], s14 offset:0x120 scale_offset
	s_load_b64 s[12:13], s[0:1], s14 offset:0x0 scale_offset
	;; [unrolled: 1-line block ×5, first 2 shown]
	s_ashr_i32 s19, s18, 31
	s_wait_xcnt 0x0
	s_lshl_b64 s[14:15], s[18:19], 18
	s_wait_kmcnt 0x0
	s_add_nc_u64 s[4:5], s[10:11], s[14:15]
	s_add_nc_u64 s[16:17], s[6:7], s[14:15]
	s_and_b32 s2, s4, 15
	s_and_b64 s[4:5], s[12:13], 15
	s_cmp_eq_u64 s[2:3], 0
	s_cselect_b32 s17, -1, 0
	s_or_b32 s2, s8, s16
	s_load_b32 s16, s[0:1], 0xbec
	s_and_b32 s2, s2, 15
	s_delay_alu instid0(SALU_CYCLE_1)
	s_cmp_eq_u32 s2, 0
	s_cselect_b32 s22, -1, 0
	s_and_b32 s2, s20, 3
	s_and_b32 s17, s22, s17
	s_or_b64 s[2:3], s[4:5], s[2:3]
	s_lshl_b64 s[4:5], s[18:19], 16
	s_cmp_eq_u64 s[2:3], 0
	s_sub_nc_u64 s[18:19], s[20:21], s[4:5]
	s_cselect_b32 s2, -1, 0
	s_delay_alu instid0(SALU_CYCLE_1) | instskip(NEXT) | instid1(SALU_CYCLE_1)
	s_and_b32 s2, s17, s2
	s_and_b32 vcc_lo, exec_lo, s2
	s_mov_b32 s2, -1
	s_cbranch_vccnz .LBB6_29
; %bb.1:
	v_cmp_lt_i64_e64 s2, s[18:19], 1
	s_and_b32 vcc_lo, exec_lo, s2
	s_cbranch_vccnz .LBB6_28
; %bb.2:
	s_load_b32 s2, s[0:1], 0xbfc
	v_min_i64 v[2:3], 0x10000, s[18:19]
	v_min_u64 v[4:5], 0x10000, s[18:19]
	v_dual_mov_b32 v1, 0 :: v_dual_lshlrev_b32 v20, 2, v0
	s_mov_b32 s23, 0
	s_mov_b64 s[24:25], 0
	s_mov_b32 s3, s23
	s_delay_alu instid0(VALU_DEP_1) | instskip(SKIP_2) | instid1(VALU_DEP_1)
	v_dual_mov_b32 v21, v1 :: v_dual_mov_b32 v43, v1
	s_mov_b32 s21, s23
	s_mov_b32 s5, s23
	v_add_nc_u64_e32 v[6:7], s[12:13], v[20:21]
	v_add_nc_u64_e32 v[8:9], s[10:11], v[20:21]
	;; [unrolled: 1-line block ×4, first 2 shown]
	s_wait_kmcnt 0x0
	s_and_b32 s22, s2, 0xffff
	s_delay_alu instid0(SALU_CYCLE_1)
	s_lshl_b32 s4, s22, 1
	s_cmp_eq_f32 s16, 1.0
	v_add_nc_u64_e32 v[12:13], s[22:23], v[0:1]
	v_mad_nc_u64_u32 v[26:27], s22, 12, v[20:21]
	s_mul_i32 s2, s22, 3
	v_add_nc_u64_e32 v[18:19], s[4:5], v[0:1]
	v_add_nc_u64_e32 v[16:17], s[2:3], v[0:1]
	s_cselect_b32 s2, -1, 0
	s_lshl_b32 s20, s22, 3
	v_lshlrev_b32_e32 v42, 2, v12
	v_add_nc_u64_e32 v[38:39], s[20:21], v[20:21]
	s_lshl_b32 s20, s22, 2
	s_lshl_b32 s22, s22, 4
	v_add_nc_u64_e32 v[20:21], s[12:13], v[26:27]
	v_add_nc_u64_e32 v[22:23], s[10:11], v[26:27]
	;; [unrolled: 1-line block ×12, first 2 shown]
	s_branch .LBB6_4
.LBB6_3:                                ;   in Loop: Header=BB6_4 Depth=1
	s_wait_xcnt 0x0
	s_or_b32 exec_lo, exec_lo, s3
	s_add_nc_u64 s[24:25], s[24:25], s[20:21]
	v_add_nc_u64_e32 v[6:7], s[22:23], v[6:7]
	v_cmp_lt_i64_e32 vcc_lo, s[24:25], v[2:3]
	v_add_nc_u64_e32 v[8:9], s[22:23], v[8:9]
	v_add_nc_u64_e32 v[10:11], s[22:23], v[10:11]
	;; [unrolled: 1-line block ×15, first 2 shown]
	s_cbranch_vccz .LBB6_28
.LBB6_4:                                ; =>This Inner Loop Header: Depth=1
	s_wait_loadcnt 0x0
	v_add_nc_u64_e32 v[44:45], s[24:25], v[0:1]
	s_delay_alu instid0(VALU_DEP_1)
	v_cmp_lt_u64_e32 vcc_lo, v[44:45], v[4:5]
	v_dual_mov_b32 v45, 0 :: v_dual_mov_b32 v44, 0
	s_and_saveexec_b32 s3, vcc_lo
	s_cbranch_execz .LBB6_6
; %bb.5:                                ;   in Loop: Header=BB6_4 Depth=1
	v_add_nc_u64_e32 v[46:47], s[14:15], v[6:7]
	v_add_nc_u64_e32 v[48:49], s[14:15], v[8:9]
	global_load_b32 v44, v[46:47], off
	global_load_b32 v45, v[48:49], off
.LBB6_6:                                ;   in Loop: Header=BB6_4 Depth=1
	s_wait_xcnt 0x0
	s_or_b32 exec_lo, exec_lo, s3
	v_dual_mov_b32 v46, 0 :: v_dual_mov_b32 v48, 0
	s_and_saveexec_b32 s3, vcc_lo
	s_cbranch_execz .LBB6_8
; %bb.7:                                ;   in Loop: Header=BB6_4 Depth=1
	v_add_nc_u64_e32 v[48:49], s[14:15], v[10:11]
	global_load_b32 v48, v[48:49], off
.LBB6_8:                                ;   in Loop: Header=BB6_4 Depth=1
	s_wait_xcnt 0x0
	s_or_b32 exec_lo, exec_lo, s3
	v_add_nc_u64_e32 v[50:51], s[24:25], v[12:13]
	v_mov_b32_e32 v47, 0
	s_delay_alu instid0(VALU_DEP_2)
	v_cmp_lt_u64_e64 s3, v[50:51], v[4:5]
	s_and_saveexec_b32 s4, s3
	s_cbranch_execz .LBB6_10
; %bb.9:                                ;   in Loop: Header=BB6_4 Depth=1
	v_add_nc_u64_e32 v[50:51], s[14:15], v[28:29]
	v_add_nc_u64_e32 v[52:53], s[14:15], v[30:31]
	global_load_b32 v47, v[50:51], off
	global_load_b32 v46, v[52:53], off
.LBB6_10:                               ;   in Loop: Header=BB6_4 Depth=1
	s_wait_xcnt 0x0
	s_or_b32 exec_lo, exec_lo, s4
	v_dual_mov_b32 v49, 0 :: v_dual_mov_b32 v51, 0
	s_and_saveexec_b32 s4, s3
	s_cbranch_execz .LBB6_12
; %bb.11:                               ;   in Loop: Header=BB6_4 Depth=1
	v_add_nc_u64_e32 v[50:51], s[14:15], v[40:41]
	global_load_b32 v51, v[50:51], off
.LBB6_12:                               ;   in Loop: Header=BB6_4 Depth=1
	s_wait_xcnt 0x0
	s_or_b32 exec_lo, exec_lo, s4
	v_add_nc_u64_e32 v[52:53], s[24:25], v[18:19]
	v_mov_b32_e32 v50, 0
	s_delay_alu instid0(VALU_DEP_2)
	v_cmp_lt_u64_e64 s4, v[52:53], v[4:5]
	s_and_saveexec_b32 s5, s4
	s_cbranch_execz .LBB6_14
; %bb.13:                               ;   in Loop: Header=BB6_4 Depth=1
	v_add_nc_u64_e32 v[52:53], s[14:15], v[32:33]
	v_add_nc_u64_e32 v[54:55], s[14:15], v[34:35]
	global_load_b32 v50, v[52:53], off
	global_load_b32 v49, v[54:55], off
.LBB6_14:                               ;   in Loop: Header=BB6_4 Depth=1
	s_wait_xcnt 0x0
	s_or_b32 exec_lo, exec_lo, s5
	v_dual_mov_b32 v52, 0 :: v_dual_mov_b32 v54, 0
	s_and_saveexec_b32 s5, s4
	s_cbranch_execz .LBB6_16
; %bb.15:                               ;   in Loop: Header=BB6_4 Depth=1
	v_add_nc_u64_e32 v[54:55], s[14:15], v[36:37]
	global_load_b32 v54, v[54:55], off
.LBB6_16:                               ;   in Loop: Header=BB6_4 Depth=1
	s_wait_xcnt 0x0
	s_or_b32 exec_lo, exec_lo, s5
	v_add_nc_u64_e32 v[56:57], s[24:25], v[16:17]
	v_mov_b32_e32 v53, 0
	s_delay_alu instid0(VALU_DEP_2)
	v_cmp_lt_u64_e64 s5, v[56:57], v[4:5]
	s_and_saveexec_b32 s17, s5
	s_cbranch_execnz .LBB6_22
; %bb.17:                               ;   in Loop: Header=BB6_4 Depth=1
	s_or_b32 exec_lo, exec_lo, s17
	v_mov_b32_e32 v55, 0
	s_and_saveexec_b32 s17, s5
	s_cbranch_execnz .LBB6_23
.LBB6_18:                               ;   in Loop: Header=BB6_4 Depth=1
	s_or_b32 exec_lo, exec_lo, s17
	s_and_saveexec_b32 s17, vcc_lo
	s_cbranch_execnz .LBB6_24
.LBB6_19:                               ;   in Loop: Header=BB6_4 Depth=1
	s_or_b32 exec_lo, exec_lo, s17
	s_and_saveexec_b32 s17, s3
	s_cbranch_execnz .LBB6_25
.LBB6_20:                               ;   in Loop: Header=BB6_4 Depth=1
	s_or_b32 exec_lo, exec_lo, s17
	s_and_saveexec_b32 s3, s4
	s_cbranch_execnz .LBB6_26
.LBB6_21:                               ;   in Loop: Header=BB6_4 Depth=1
	s_or_b32 exec_lo, exec_lo, s3
	s_and_saveexec_b32 s3, s5
	s_cbranch_execz .LBB6_3
	s_branch .LBB6_27
.LBB6_22:                               ;   in Loop: Header=BB6_4 Depth=1
	v_add_nc_u64_e32 v[56:57], s[14:15], v[20:21]
	v_add_nc_u64_e32 v[58:59], s[14:15], v[22:23]
	global_load_b32 v53, v[56:57], off
	global_load_b32 v52, v[58:59], off
	s_wait_xcnt 0x0
	s_or_b32 exec_lo, exec_lo, s17
	v_mov_b32_e32 v55, 0
	s_and_saveexec_b32 s17, s5
	s_cbranch_execz .LBB6_18
.LBB6_23:                               ;   in Loop: Header=BB6_4 Depth=1
	v_add_nc_u64_e32 v[56:57], s[14:15], v[24:25]
	global_load_b32 v55, v[56:57], off
	s_wait_xcnt 0x0
	s_or_b32 exec_lo, exec_lo, s17
	s_and_saveexec_b32 s17, vcc_lo
	s_cbranch_execz .LBB6_19
.LBB6_24:                               ;   in Loop: Header=BB6_4 Depth=1
	s_wait_loadcnt 0x0
	v_dual_mul_f32 v56, v45, v48 :: v_dual_fma_f32 v45, v45, v48, v44
	s_delay_alu instid0(VALU_DEP_1) | instskip(SKIP_1) | instid1(VALU_DEP_2)
	v_fmac_f32_e32 v44, s16, v56
	v_add_nc_u64_e32 v[56:57], s[14:15], v[14:15]
	v_cndmask_b32_e64 v44, v44, v45, s2
	global_store_b32 v[56:57], v44, off
	s_wait_xcnt 0x0
	s_or_b32 exec_lo, exec_lo, s17
	s_and_saveexec_b32 s17, s3
	s_cbranch_execz .LBB6_20
.LBB6_25:                               ;   in Loop: Header=BB6_4 Depth=1
	s_wait_loadcnt 0x0
	v_dual_mul_f32 v44, v46, v51 :: v_dual_fma_f32 v46, v46, v51, v47
	s_delay_alu instid0(VALU_DEP_1) | instskip(SKIP_1) | instid1(VALU_DEP_2)
	v_fmac_f32_e32 v47, s16, v44
	v_add_nc_u64_e32 v[44:45], s[14:15], v[42:43]
	v_cndmask_b32_e64 v46, v47, v46, s2
	global_store_b32 v[44:45], v46, off
	s_wait_xcnt 0x0
	s_or_b32 exec_lo, exec_lo, s17
	s_and_saveexec_b32 s3, s4
	s_cbranch_execz .LBB6_21
.LBB6_26:                               ;   in Loop: Header=BB6_4 Depth=1
	s_wait_loadcnt 0x0
	v_dual_mul_f32 v44, v49, v54 :: v_dual_fma_f32 v46, v49, v54, v50
	s_delay_alu instid0(VALU_DEP_1) | instskip(SKIP_1) | instid1(VALU_DEP_2)
	v_fmac_f32_e32 v50, s16, v44
	v_add_nc_u64_e32 v[44:45], s[14:15], v[38:39]
	v_cndmask_b32_e64 v46, v50, v46, s2
	global_store_b32 v[44:45], v46, off
	s_wait_xcnt 0x0
	s_or_b32 exec_lo, exec_lo, s3
	s_and_saveexec_b32 s3, s5
	s_cbranch_execz .LBB6_3
.LBB6_27:                               ;   in Loop: Header=BB6_4 Depth=1
	s_wait_loadcnt 0x0
	v_dual_mul_f32 v44, v52, v55 :: v_dual_fma_f32 v46, v52, v55, v53
	s_delay_alu instid0(VALU_DEP_1) | instskip(SKIP_1) | instid1(VALU_DEP_2)
	v_fmac_f32_e32 v53, s16, v44
	v_add_nc_u64_e32 v[44:45], s[14:15], v[26:27]
	v_cndmask_b32_e64 v46, v53, v46, s2
	global_store_b32 v[44:45], v46, off
	s_branch .LBB6_3
.LBB6_28:
	s_mov_b32 s2, 0
.LBB6_29:
	s_delay_alu instid0(SALU_CYCLE_1)
	s_and_not1_b32 vcc_lo, exec_lo, s2
	s_cbranch_vccnz .LBB6_33
; %bb.30:
	v_min_i64 v[2:3], 0x10000, s[18:19]
	v_dual_mov_b32 v7, 0 :: v_dual_lshlrev_b32 v6, 2, v0
	s_mov_b32 s2, exec_lo
	s_delay_alu instid0(VALU_DEP_1)
	v_cmpx_lt_i64_e64 v[6:7], v[2:3]
	s_cbranch_execz .LBB6_33
; %bb.31:
	s_wait_xcnt 0x0
	s_load_b32 s0, s[0:1], 0xbfc
	v_dual_mov_b32 v1, v7 :: v_dual_lshlrev_b32 v6, 4, v0
	s_wait_kmcnt 0x0
	s_mov_b32 s17, s16
	s_cmp_eq_f32 s16, 1.0
	v_mov_b64_e32 v[4:5], s[16:17]
	s_mov_b32 s3, 0
	v_add_nc_u64_e32 v[6:7], s[14:15], v[6:7]
	s_cselect_b32 vcc_lo, -1, 0
	s_add_nc_u64 s[4:5], s[12:13], 8
	s_add_nc_u64 s[10:11], s[10:11], 8
	s_mov_b32 s13, s3
	s_mov_b32 s1, s3
	s_and_b32 s2, s0, 0xffff
	s_delay_alu instid0(SALU_CYCLE_1)
	s_lshl_b32 s12, s2, 4
.LBB6_32:                               ; =>This Inner Loop Header: Depth=1
	v_add_nc_u64_e32 v[20:21], s[10:11], v[6:7]
	v_add_nc_u64_e32 v[22:23], s[6:7], v[6:7]
	;; [unrolled: 1-line block ×4, first 2 shown]
	global_load_b128 v[8:11], v[20:21], off offset:-8
	global_load_b128 v[12:15], v[22:23], off
	global_load_b128 v[16:19], v[24:25], off offset:-8
	s_wait_xcnt 0x2
	v_add_nc_u64_e32 v[20:21], s[8:9], v[6:7]
	v_add_nc_u64_e32 v[6:7], s[12:13], v[6:7]
	s_wait_xcnt 0x1
	v_lshlrev_b64_e32 v[22:23], 2, v[0:1]
	s_delay_alu instid0(VALU_DEP_1)
	v_cmp_ge_i64_e64 s0, v[22:23], v[2:3]
	s_or_b32 s1, s0, s1
	s_wait_loadcnt 0x1
	s_wait_xcnt 0x0
	v_pk_mul_f32 v[24:25], v[8:9], v[12:13]
	v_pk_mul_f32 v[26:27], v[10:11], v[14:15]
	s_wait_loadcnt 0x0
	v_pk_fma_f32 v[8:9], v[8:9], v[12:13], v[16:17]
	v_pk_fma_f32 v[10:11], v[10:11], v[14:15], v[18:19]
	;; [unrolled: 1-line block ×4, first 2 shown]
	s_delay_alu instid0(VALU_DEP_2) | instskip(NEXT) | instid1(VALU_DEP_2)
	v_dual_cndmask_b32 v9, v13, v9 :: v_dual_cndmask_b32 v8, v12, v8
	v_dual_cndmask_b32 v11, v15, v11 :: v_dual_cndmask_b32 v10, v14, v10
	global_store_b128 v[20:21], v[8:11], off
	s_wait_xcnt 0x0
	s_and_not1_b32 exec_lo, exec_lo, s1
	s_cbranch_execnz .LBB6_32
.LBB6_33:
	s_endpgm
	.section	.rodata,"a",@progbits
	.p2align	6, 0x0
	.amdhsa_kernel _ZN2at6native12_GLOBAL__N_125multi_tensor_apply_kernelINS1_18TensorListMetadataILi4EEENS1_24PointwiseOpScalarFunctorIfLi4ELi3ELi3EEEJSt10multipliesIfEfEEEvT_T0_DpT1_
		.amdhsa_group_segment_fixed_size 0
		.amdhsa_private_segment_fixed_size 0
		.amdhsa_kernarg_size 3312
		.amdhsa_user_sgpr_count 2
		.amdhsa_user_sgpr_dispatch_ptr 0
		.amdhsa_user_sgpr_queue_ptr 0
		.amdhsa_user_sgpr_kernarg_segment_ptr 1
		.amdhsa_user_sgpr_dispatch_id 0
		.amdhsa_user_sgpr_kernarg_preload_length 0
		.amdhsa_user_sgpr_kernarg_preload_offset 0
		.amdhsa_user_sgpr_private_segment_size 0
		.amdhsa_wavefront_size32 1
		.amdhsa_uses_dynamic_stack 0
		.amdhsa_enable_private_segment 0
		.amdhsa_system_sgpr_workgroup_id_x 1
		.amdhsa_system_sgpr_workgroup_id_y 0
		.amdhsa_system_sgpr_workgroup_id_z 0
		.amdhsa_system_sgpr_workgroup_info 0
		.amdhsa_system_vgpr_workitem_id 0
		.amdhsa_next_free_vgpr 60
		.amdhsa_next_free_sgpr 26
		.amdhsa_named_barrier_count 0
		.amdhsa_reserve_vcc 1
		.amdhsa_float_round_mode_32 0
		.amdhsa_float_round_mode_16_64 0
		.amdhsa_float_denorm_mode_32 3
		.amdhsa_float_denorm_mode_16_64 3
		.amdhsa_fp16_overflow 0
		.amdhsa_memory_ordered 1
		.amdhsa_forward_progress 1
		.amdhsa_inst_pref_size 13
		.amdhsa_round_robin_scheduling 0
		.amdhsa_exception_fp_ieee_invalid_op 0
		.amdhsa_exception_fp_denorm_src 0
		.amdhsa_exception_fp_ieee_div_zero 0
		.amdhsa_exception_fp_ieee_overflow 0
		.amdhsa_exception_fp_ieee_underflow 0
		.amdhsa_exception_fp_ieee_inexact 0
		.amdhsa_exception_int_div_zero 0
	.end_amdhsa_kernel
	.section	.text._ZN2at6native12_GLOBAL__N_125multi_tensor_apply_kernelINS1_18TensorListMetadataILi4EEENS1_24PointwiseOpScalarFunctorIfLi4ELi3ELi3EEEJSt10multipliesIfEfEEEvT_T0_DpT1_,"axG",@progbits,_ZN2at6native12_GLOBAL__N_125multi_tensor_apply_kernelINS1_18TensorListMetadataILi4EEENS1_24PointwiseOpScalarFunctorIfLi4ELi3ELi3EEEJSt10multipliesIfEfEEEvT_T0_DpT1_,comdat
.Lfunc_end6:
	.size	_ZN2at6native12_GLOBAL__N_125multi_tensor_apply_kernelINS1_18TensorListMetadataILi4EEENS1_24PointwiseOpScalarFunctorIfLi4ELi3ELi3EEEJSt10multipliesIfEfEEEvT_T0_DpT1_, .Lfunc_end6-_ZN2at6native12_GLOBAL__N_125multi_tensor_apply_kernelINS1_18TensorListMetadataILi4EEENS1_24PointwiseOpScalarFunctorIfLi4ELi3ELi3EEEJSt10multipliesIfEfEEEvT_T0_DpT1_
                                        ; -- End function
	.set _ZN2at6native12_GLOBAL__N_125multi_tensor_apply_kernelINS1_18TensorListMetadataILi4EEENS1_24PointwiseOpScalarFunctorIfLi4ELi3ELi3EEEJSt10multipliesIfEfEEEvT_T0_DpT1_.num_vgpr, 60
	.set _ZN2at6native12_GLOBAL__N_125multi_tensor_apply_kernelINS1_18TensorListMetadataILi4EEENS1_24PointwiseOpScalarFunctorIfLi4ELi3ELi3EEEJSt10multipliesIfEfEEEvT_T0_DpT1_.num_agpr, 0
	.set _ZN2at6native12_GLOBAL__N_125multi_tensor_apply_kernelINS1_18TensorListMetadataILi4EEENS1_24PointwiseOpScalarFunctorIfLi4ELi3ELi3EEEJSt10multipliesIfEfEEEvT_T0_DpT1_.numbered_sgpr, 26
	.set _ZN2at6native12_GLOBAL__N_125multi_tensor_apply_kernelINS1_18TensorListMetadataILi4EEENS1_24PointwiseOpScalarFunctorIfLi4ELi3ELi3EEEJSt10multipliesIfEfEEEvT_T0_DpT1_.num_named_barrier, 0
	.set _ZN2at6native12_GLOBAL__N_125multi_tensor_apply_kernelINS1_18TensorListMetadataILi4EEENS1_24PointwiseOpScalarFunctorIfLi4ELi3ELi3EEEJSt10multipliesIfEfEEEvT_T0_DpT1_.private_seg_size, 0
	.set _ZN2at6native12_GLOBAL__N_125multi_tensor_apply_kernelINS1_18TensorListMetadataILi4EEENS1_24PointwiseOpScalarFunctorIfLi4ELi3ELi3EEEJSt10multipliesIfEfEEEvT_T0_DpT1_.uses_vcc, 1
	.set _ZN2at6native12_GLOBAL__N_125multi_tensor_apply_kernelINS1_18TensorListMetadataILi4EEENS1_24PointwiseOpScalarFunctorIfLi4ELi3ELi3EEEJSt10multipliesIfEfEEEvT_T0_DpT1_.uses_flat_scratch, 0
	.set _ZN2at6native12_GLOBAL__N_125multi_tensor_apply_kernelINS1_18TensorListMetadataILi4EEENS1_24PointwiseOpScalarFunctorIfLi4ELi3ELi3EEEJSt10multipliesIfEfEEEvT_T0_DpT1_.has_dyn_sized_stack, 0
	.set _ZN2at6native12_GLOBAL__N_125multi_tensor_apply_kernelINS1_18TensorListMetadataILi4EEENS1_24PointwiseOpScalarFunctorIfLi4ELi3ELi3EEEJSt10multipliesIfEfEEEvT_T0_DpT1_.has_recursion, 0
	.set _ZN2at6native12_GLOBAL__N_125multi_tensor_apply_kernelINS1_18TensorListMetadataILi4EEENS1_24PointwiseOpScalarFunctorIfLi4ELi3ELi3EEEJSt10multipliesIfEfEEEvT_T0_DpT1_.has_indirect_call, 0
	.section	.AMDGPU.csdata,"",@progbits
; Kernel info:
; codeLenInByte = 1652
; TotalNumSgprs: 28
; NumVgprs: 60
; ScratchSize: 0
; MemoryBound: 0
; FloatMode: 240
; IeeeMode: 1
; LDSByteSize: 0 bytes/workgroup (compile time only)
; SGPRBlocks: 0
; VGPRBlocks: 3
; NumSGPRsForWavesPerEU: 28
; NumVGPRsForWavesPerEU: 60
; NamedBarCnt: 0
; Occupancy: 16
; WaveLimiterHint : 0
; COMPUTE_PGM_RSRC2:SCRATCH_EN: 0
; COMPUTE_PGM_RSRC2:USER_SGPR: 2
; COMPUTE_PGM_RSRC2:TRAP_HANDLER: 0
; COMPUTE_PGM_RSRC2:TGID_X_EN: 1
; COMPUTE_PGM_RSRC2:TGID_Y_EN: 0
; COMPUTE_PGM_RSRC2:TGID_Z_EN: 0
; COMPUTE_PGM_RSRC2:TIDIG_COMP_CNT: 0
	.section	.text._ZN2at6native12_GLOBAL__N_125multi_tensor_apply_kernelINS1_18TensorListMetadataILi4EEENS1_24PointwiseOpScalarFunctorIN3c107complexIdEELi4ELi3ELi3EEEJSt10multipliesIS8_ES8_EEEvT_T0_DpT1_,"axG",@progbits,_ZN2at6native12_GLOBAL__N_125multi_tensor_apply_kernelINS1_18TensorListMetadataILi4EEENS1_24PointwiseOpScalarFunctorIN3c107complexIdEELi4ELi3ELi3EEEJSt10multipliesIS8_ES8_EEEvT_T0_DpT1_,comdat
	.globl	_ZN2at6native12_GLOBAL__N_125multi_tensor_apply_kernelINS1_18TensorListMetadataILi4EEENS1_24PointwiseOpScalarFunctorIN3c107complexIdEELi4ELi3ELi3EEEJSt10multipliesIS8_ES8_EEEvT_T0_DpT1_ ; -- Begin function _ZN2at6native12_GLOBAL__N_125multi_tensor_apply_kernelINS1_18TensorListMetadataILi4EEENS1_24PointwiseOpScalarFunctorIN3c107complexIdEELi4ELi3ELi3EEEJSt10multipliesIS8_ES8_EEEvT_T0_DpT1_
	.p2align	8
	.type	_ZN2at6native12_GLOBAL__N_125multi_tensor_apply_kernelINS1_18TensorListMetadataILi4EEENS1_24PointwiseOpScalarFunctorIN3c107complexIdEELi4ELi3ELi3EEEJSt10multipliesIS8_ES8_EEEvT_T0_DpT1_,@function
_ZN2at6native12_GLOBAL__N_125multi_tensor_apply_kernelINS1_18TensorListMetadataILi4EEENS1_24PointwiseOpScalarFunctorIN3c107complexIdEELi4ELi3ELi3EEEJSt10multipliesIS8_ES8_EEEvT_T0_DpT1_: ; @_ZN2at6native12_GLOBAL__N_125multi_tensor_apply_kernelINS1_18TensorListMetadataILi4EEENS1_24PointwiseOpScalarFunctorIN3c107complexIdEELi4ELi3ELi3EEEJSt10multipliesIS8_ES8_EEEvT_T0_DpT1_
; %bb.0:
	s_bfe_u32 s2, ttmp6, 0x4000c
	s_and_b32 s3, ttmp6, 15
	s_add_co_i32 s2, s2, 1
	s_getreg_b32 s4, hwreg(HW_REG_IB_STS2, 6, 4)
	s_mul_i32 s2, ttmp9, s2
	s_delay_alu instid0(SALU_CYCLE_1)
	s_add_co_i32 s3, s3, s2
	s_cmp_eq_u32 s4, 0
	s_cselect_b32 s2, ttmp9, s3
	s_mov_b32 s3, 0
	s_load_u8 s10, s[0:1], s2 offset:0x5a0
	s_add_nc_u64 s[4:5], s[0:1], s[2:3]
	s_mul_u64 s[6:7], s[2:3], 3
	s_delay_alu instid0(SALU_CYCLE_1)
	s_add_nc_u64 s[4:5], s[4:5], s[6:7]
	s_load_b32 s18, s[4:5], 0x6e0
	s_wait_kmcnt 0x0
	s_clause 0x4
	s_load_b64 s[6:7], s[0:1], s10 offset:0x240 scale_offset
	s_load_b64 s[8:9], s[0:1], s10 offset:0x360 scale_offset
	s_load_b64 s[14:15], s[0:1], s10 offset:0x120 scale_offset
	s_load_b64 s[16:17], s[0:1], s10 offset:0x0 scale_offset
	s_load_b64 s[20:21], s[0:1], s10 offset:0x480 scale_offset
	s_ashr_i32 s19, s18, 31
	s_delay_alu instid0(SALU_CYCLE_1)
	s_lshl_b64 s[4:5], s[18:19], 20
	s_wait_kmcnt 0x0
	s_add_nc_u64 s[6:7], s[6:7], s[4:5]
	s_add_nc_u64 s[12:13], s[8:9], s[4:5]
	s_load_b128 s[8:11], s[0:1], 0xbf0
	s_or_b32 s2, s12, s6
	s_add_nc_u64 s[14:15], s[14:15], s[4:5]
	s_and_b32 s22, s2, 63
	s_and_b32 s2, s14, 63
	s_cmp_eq_u32 s22, 0
	s_add_nc_u64 s[16:17], s[16:17], s[4:5]
	s_cselect_b32 s22, -1, 0
	s_and_b64 s[4:5], s[16:17], 63
	s_cmp_eq_u64 s[2:3], 0
	s_cselect_b32 s23, -1, 0
	s_and_b32 s2, s20, 3
	s_and_b32 s22, s22, s23
	s_or_b64 s[2:3], s[4:5], s[2:3]
	s_lshl_b64 s[4:5], s[18:19], 16
	s_cmp_eq_u64 s[2:3], 0
	s_sub_nc_u64 s[18:19], s[20:21], s[4:5]
	s_cselect_b32 s2, -1, 0
	s_delay_alu instid0(SALU_CYCLE_1) | instskip(NEXT) | instid1(SALU_CYCLE_1)
	s_and_b32 s2, s22, s2
	s_and_b32 vcc_lo, exec_lo, s2
	s_mov_b32 s2, -1
	s_cbranch_vccnz .LBB7_37
; %bb.1:
	v_cmp_lt_i64_e64 s2, s[18:19], 1
	s_and_b32 vcc_lo, exec_lo, s2
	s_cbranch_vccnz .LBB7_36
; %bb.2:
	s_wait_kmcnt 0x0
	v_cmp_neq_f64_e64 s2, s[8:9], 1.0
	v_cmp_neq_f64_e64 s3, s[10:11], 0
	v_min_u64 v[50:51], 0x10000, s[18:19]
	s_load_b32 s4, s[0:1], 0xc0c
	v_mov_b32_e32 v1, 0
	s_mov_b32 s21, 0
	s_mov_b64 s[22:23], 0
	s_mov_b32 s25, s21
	s_mov_b32 s27, s21
	;; [unrolled: 1-line block ×3, first 2 shown]
	s_wait_kmcnt 0x0
	s_and_b32 s20, s4, 0xffff
	s_delay_alu instid0(SALU_CYCLE_1)
	s_lshl_b32 s24, s20, 1
	s_mul_i32 s26, s20, 3
	s_lshl_b32 s28, s20, 2
	s_or_b32 s30, s2, s3
	s_branch .LBB7_4
.LBB7_3:                                ;   in Loop: Header=BB7_4 Depth=1
	s_wait_xcnt 0x0
	s_or_b32 exec_lo, exec_lo, s2
	v_min_i64 v[2:3], 0x10000, s[18:19]
	s_add_nc_u64 s[22:23], s[22:23], s[28:29]
	s_delay_alu instid0(VALU_DEP_1) | instid1(SALU_CYCLE_1)
	v_cmp_ge_i64_e32 vcc_lo, s[22:23], v[2:3]
	s_cbranch_vccnz .LBB7_36
.LBB7_4:                                ; =>This Inner Loop Header: Depth=1
	v_add_nc_u64_e32 v[52:53], s[22:23], v[0:1]
	v_mov_b64_e32 v[12:13], 0
	v_mov_b64_e32 v[20:21], 0
	v_mov_b64_e32 v[18:19], 0
	v_mov_b64_e32 v[4:5], 0
	v_mov_b64_e32 v[2:3], 0
	v_cmp_lt_u64_e64 s2, v[52:53], v[50:51]
	s_and_saveexec_b32 s3, s2
	s_cbranch_execz .LBB7_6
; %bb.5:                                ;   in Loop: Header=BB7_4 Depth=1
	v_lshlrev_b64_e32 v[2:3], 4, v[52:53]
	s_delay_alu instid0(VALU_DEP_1)
	v_add_nc_u64_e32 v[6:7], s[16:17], v[2:3]
	v_add_nc_u64_e32 v[8:9], s[14:15], v[2:3]
	global_load_b128 v[2:5], v[6:7], off
	global_load_b128 v[18:21], v[8:9], off
.LBB7_6:                                ;   in Loop: Header=BB7_4 Depth=1
	s_wait_xcnt 0x0
	s_or_b32 exec_lo, exec_lo, s3
	v_mov_b64_e32 v[10:11], 0
	s_and_saveexec_b32 s3, s2
	s_cbranch_execz .LBB7_8
; %bb.7:                                ;   in Loop: Header=BB7_4 Depth=1
	v_lshl_add_u64 v[6:7], v[52:53], 4, s[6:7]
	global_load_b128 v[10:13], v[6:7], off
.LBB7_8:                                ;   in Loop: Header=BB7_4 Depth=1
	s_wait_xcnt 0x0
	s_or_b32 exec_lo, exec_lo, s3
	v_add_nc_u64_e32 v[54:55], s[20:21], v[52:53]
	v_mov_b64_e32 v[24:25], 0
	v_mov_b64_e32 v[28:29], 0
	;; [unrolled: 1-line block ×5, first 2 shown]
	v_cmp_lt_u64_e64 s3, v[54:55], v[50:51]
	s_and_saveexec_b32 s4, s3
	s_cbranch_execz .LBB7_10
; %bb.9:                                ;   in Loop: Header=BB7_4 Depth=1
	v_lshlrev_b64_e32 v[6:7], 4, v[54:55]
	s_delay_alu instid0(VALU_DEP_1)
	v_add_nc_u64_e32 v[14:15], s[16:17], v[6:7]
	v_add_nc_u64_e32 v[16:17], s[14:15], v[6:7]
	global_load_b128 v[6:9], v[14:15], off
	global_load_b128 v[26:29], v[16:17], off
.LBB7_10:                               ;   in Loop: Header=BB7_4 Depth=1
	s_wait_xcnt 0x0
	s_or_b32 exec_lo, exec_lo, s4
	v_mov_b64_e32 v[22:23], 0
	s_and_saveexec_b32 s4, s3
	s_cbranch_execz .LBB7_12
; %bb.11:                               ;   in Loop: Header=BB7_4 Depth=1
	v_lshl_add_u64 v[14:15], v[54:55], 4, s[6:7]
	global_load_b128 v[22:25], v[14:15], off
.LBB7_12:                               ;   in Loop: Header=BB7_4 Depth=1
	s_wait_xcnt 0x0
	s_or_b32 exec_lo, exec_lo, s4
	v_add_nc_u64_e32 v[56:57], s[24:25], v[52:53]
	v_mov_b64_e32 v[36:37], 0
	v_mov_b64_e32 v[40:41], 0
	;; [unrolled: 1-line block ×5, first 2 shown]
	v_cmp_lt_u64_e64 s4, v[56:57], v[50:51]
	s_and_saveexec_b32 s5, s4
	s_cbranch_execz .LBB7_14
; %bb.13:                               ;   in Loop: Header=BB7_4 Depth=1
	v_lshlrev_b64_e32 v[14:15], 4, v[56:57]
	s_delay_alu instid0(VALU_DEP_1)
	v_add_nc_u64_e32 v[30:31], s[16:17], v[14:15]
	v_add_nc_u64_e32 v[32:33], s[14:15], v[14:15]
	global_load_b128 v[14:17], v[30:31], off
	global_load_b128 v[38:41], v[32:33], off
.LBB7_14:                               ;   in Loop: Header=BB7_4 Depth=1
	s_wait_xcnt 0x0
	s_or_b32 exec_lo, exec_lo, s5
	v_mov_b64_e32 v[34:35], 0
	s_and_saveexec_b32 s5, s4
	s_cbranch_execz .LBB7_16
; %bb.15:                               ;   in Loop: Header=BB7_4 Depth=1
	v_lshl_add_u64 v[30:31], v[56:57], 4, s[6:7]
	global_load_b128 v[34:37], v[30:31], off
.LBB7_16:                               ;   in Loop: Header=BB7_4 Depth=1
	s_wait_xcnt 0x0
	s_or_b32 exec_lo, exec_lo, s5
	v_add_nc_u64_e32 v[58:59], s[26:27], v[52:53]
	v_mov_b64_e32 v[44:45], 0
	v_mov_b64_e32 v[48:49], 0
	;; [unrolled: 1-line block ×5, first 2 shown]
	v_cmp_lt_u64_e64 s5, v[58:59], v[50:51]
	s_and_saveexec_b32 s31, s5
	s_cbranch_execz .LBB7_18
; %bb.17:                               ;   in Loop: Header=BB7_4 Depth=1
	v_lshlrev_b64_e32 v[30:31], 4, v[58:59]
	s_delay_alu instid0(VALU_DEP_1)
	v_add_nc_u64_e32 v[42:43], s[16:17], v[30:31]
	v_add_nc_u64_e32 v[60:61], s[14:15], v[30:31]
	global_load_b128 v[30:33], v[42:43], off
	global_load_b128 v[46:49], v[60:61], off
.LBB7_18:                               ;   in Loop: Header=BB7_4 Depth=1
	s_wait_xcnt 0x0
	s_or_b32 exec_lo, exec_lo, s31
	v_mov_b64_e32 v[42:43], 0
	s_and_saveexec_b32 s31, s5
	s_cbranch_execz .LBB7_20
; %bb.19:                               ;   in Loop: Header=BB7_4 Depth=1
	v_lshl_add_u64 v[42:43], v[58:59], 4, s[6:7]
	global_load_b128 v[42:45], v[42:43], off
.LBB7_20:                               ;   in Loop: Header=BB7_4 Depth=1
	s_wait_xcnt 0x0
	s_or_b32 exec_lo, exec_lo, s31
	s_wait_loadcnt 0x0
	v_mul_f64_e32 v[60:61], v[20:21], v[12:13]
	v_mul_f64_e32 v[20:21], v[20:21], v[10:11]
	s_and_b32 vcc_lo, exec_lo, s30
	s_delay_alu instid0(VALU_DEP_2) | instskip(NEXT) | instid1(VALU_DEP_2)
	v_fma_f64 v[10:11], v[18:19], v[10:11], -v[60:61]
	v_fmac_f64_e32 v[20:21], v[18:19], v[12:13]
	s_cbranch_vccz .LBB7_22
; %bb.21:                               ;   in Loop: Header=BB7_4 Depth=1
	s_delay_alu instid0(VALU_DEP_2) | instskip(NEXT) | instid1(VALU_DEP_2)
	v_mul_f64_e32 v[18:19], s[10:11], v[10:11]
	v_mul_f64_e32 v[12:13], s[10:11], v[20:21]
	s_delay_alu instid0(VALU_DEP_2) | instskip(NEXT) | instid1(VALU_DEP_2)
	v_fmac_f64_e32 v[18:19], s[8:9], v[20:21]
	v_fma_f64 v[10:11], s[8:9], v[10:11], -v[12:13]
	s_delay_alu instid0(VALU_DEP_2)
	v_mov_b64_e32 v[20:21], v[18:19]
.LBB7_22:                               ;   in Loop: Header=BB7_4 Depth=1
	v_mul_f64_e32 v[18:19], v[28:29], v[24:25]
	v_mul_f64_e32 v[12:13], v[28:29], v[22:23]
	s_and_not1_b32 vcc_lo, exec_lo, s30
	s_delay_alu instid0(VALU_DEP_2) | instskip(NEXT) | instid1(VALU_DEP_2)
	v_fma_f64 v[18:19], v[26:27], v[22:23], -v[18:19]
	v_fmac_f64_e32 v[12:13], v[26:27], v[24:25]
	s_cbranch_vccnz .LBB7_24
; %bb.23:                               ;   in Loop: Header=BB7_4 Depth=1
	s_delay_alu instid0(VALU_DEP_2) | instskip(NEXT) | instid1(VALU_DEP_2)
	v_mul_f64_e32 v[24:25], s[10:11], v[18:19]
	v_mul_f64_e32 v[22:23], s[10:11], v[12:13]
	s_delay_alu instid0(VALU_DEP_2) | instskip(NEXT) | instid1(VALU_DEP_2)
	v_fmac_f64_e32 v[24:25], s[8:9], v[12:13]
	v_fma_f64 v[18:19], s[8:9], v[18:19], -v[22:23]
	s_delay_alu instid0(VALU_DEP_2)
	v_mov_b64_e32 v[12:13], v[24:25]
.LBB7_24:                               ;   in Loop: Header=BB7_4 Depth=1
	v_mul_f64_e32 v[24:25], v[40:41], v[36:37]
	v_mul_f64_e32 v[22:23], v[40:41], v[34:35]
	s_and_not1_b32 vcc_lo, exec_lo, s30
	s_delay_alu instid0(VALU_DEP_2) | instskip(NEXT) | instid1(VALU_DEP_2)
	v_fma_f64 v[24:25], v[38:39], v[34:35], -v[24:25]
	v_fmac_f64_e32 v[22:23], v[38:39], v[36:37]
	s_cbranch_vccnz .LBB7_26
; %bb.25:                               ;   in Loop: Header=BB7_4 Depth=1
	s_delay_alu instid0(VALU_DEP_2) | instskip(NEXT) | instid1(VALU_DEP_2)
	v_mul_f64_e32 v[28:29], s[10:11], v[24:25]
	v_mul_f64_e32 v[26:27], s[10:11], v[22:23]
	s_delay_alu instid0(VALU_DEP_2) | instskip(NEXT) | instid1(VALU_DEP_2)
	v_fmac_f64_e32 v[28:29], s[8:9], v[22:23]
	v_fma_f64 v[24:25], s[8:9], v[24:25], -v[26:27]
	s_delay_alu instid0(VALU_DEP_2)
	v_mov_b64_e32 v[22:23], v[28:29]
.LBB7_26:                               ;   in Loop: Header=BB7_4 Depth=1
	v_mul_f64_e32 v[28:29], v[48:49], v[44:45]
	v_mul_f64_e32 v[26:27], v[48:49], v[42:43]
	s_and_not1_b32 vcc_lo, exec_lo, s30
	s_delay_alu instid0(VALU_DEP_2) | instskip(NEXT) | instid1(VALU_DEP_2)
	v_fma_f64 v[28:29], v[46:47], v[42:43], -v[28:29]
	v_fmac_f64_e32 v[26:27], v[46:47], v[44:45]
	s_cbranch_vccz .LBB7_31
; %bb.27:                               ;   in Loop: Header=BB7_4 Depth=1
	s_and_saveexec_b32 s31, s2
	s_delay_alu instid0(SALU_CYCLE_1)
	s_xor_b32 s2, exec_lo, s31
	s_cbranch_execnz .LBB7_32
.LBB7_28:                               ;   in Loop: Header=BB7_4 Depth=1
	s_or_b32 exec_lo, exec_lo, s2
	s_and_saveexec_b32 s2, s3
	s_cbranch_execnz .LBB7_33
.LBB7_29:                               ;   in Loop: Header=BB7_4 Depth=1
	s_or_b32 exec_lo, exec_lo, s2
	s_and_saveexec_b32 s2, s4
	s_cbranch_execnz .LBB7_34
.LBB7_30:                               ;   in Loop: Header=BB7_4 Depth=1
	s_or_b32 exec_lo, exec_lo, s2
	s_and_saveexec_b32 s2, s5
	s_cbranch_execz .LBB7_3
	s_branch .LBB7_35
.LBB7_31:                               ;   in Loop: Header=BB7_4 Depth=1
	s_delay_alu instid0(VALU_DEP_2) | instskip(NEXT) | instid1(VALU_DEP_2)
	v_mul_f64_e32 v[36:37], s[10:11], v[28:29]
	v_mul_f64_e32 v[34:35], s[10:11], v[26:27]
	s_delay_alu instid0(VALU_DEP_2) | instskip(NEXT) | instid1(VALU_DEP_2)
	v_fmac_f64_e32 v[36:37], s[8:9], v[26:27]
	v_fma_f64 v[28:29], s[8:9], v[28:29], -v[34:35]
	s_delay_alu instid0(VALU_DEP_2) | instskip(SKIP_1) | instid1(SALU_CYCLE_1)
	v_mov_b64_e32 v[26:27], v[36:37]
	s_and_saveexec_b32 s31, s2
	s_xor_b32 s2, exec_lo, s31
	s_cbranch_execz .LBB7_28
.LBB7_32:                               ;   in Loop: Header=BB7_4 Depth=1
	v_add_f64_e32 v[4:5], v[4:5], v[20:21]
	v_add_f64_e32 v[2:3], v[2:3], v[10:11]
	v_lshl_add_u64 v[10:11], v[52:53], 4, s[12:13]
	global_store_b128 v[10:11], v[2:5], off
	s_wait_xcnt 0x0
	s_or_b32 exec_lo, exec_lo, s2
	s_and_saveexec_b32 s2, s3
	s_cbranch_execz .LBB7_29
.LBB7_33:                               ;   in Loop: Header=BB7_4 Depth=1
	v_add_f64_e32 v[4:5], v[8:9], v[12:13]
	v_add_f64_e32 v[2:3], v[6:7], v[18:19]
	v_lshl_add_u64 v[6:7], v[54:55], 4, s[12:13]
	global_store_b128 v[6:7], v[2:5], off
	s_wait_xcnt 0x0
	s_or_b32 exec_lo, exec_lo, s2
	s_and_saveexec_b32 s2, s4
	s_cbranch_execz .LBB7_30
.LBB7_34:                               ;   in Loop: Header=BB7_4 Depth=1
	v_add_f64_e32 v[4:5], v[16:17], v[22:23]
	v_add_f64_e32 v[2:3], v[14:15], v[24:25]
	v_lshl_add_u64 v[6:7], v[56:57], 4, s[12:13]
	global_store_b128 v[6:7], v[2:5], off
	s_wait_xcnt 0x0
	s_or_b32 exec_lo, exec_lo, s2
	s_and_saveexec_b32 s2, s5
	s_cbranch_execz .LBB7_3
.LBB7_35:                               ;   in Loop: Header=BB7_4 Depth=1
	s_delay_alu instid0(VALU_DEP_1) | instskip(NEXT) | instid1(VALU_DEP_3)
	v_add_f64_e32 v[4:5], v[32:33], v[26:27]
	v_add_f64_e32 v[2:3], v[30:31], v[28:29]
	v_lshl_add_u64 v[6:7], v[58:59], 4, s[12:13]
	global_store_b128 v[6:7], v[2:5], off
	s_branch .LBB7_3
.LBB7_36:
	s_mov_b32 s2, 0
.LBB7_37:
	s_delay_alu instid0(SALU_CYCLE_1)
	s_and_not1_b32 vcc_lo, exec_lo, s2
	s_cbranch_vccnz .LBB7_49
; %bb.38:
	v_min_i64 v[42:43], 0x10000, s[18:19]
	v_dual_mov_b32 v45, 0 :: v_dual_lshlrev_b32 v44, 2, v0
	s_mov_b32 s2, exec_lo
	s_delay_alu instid0(VALU_DEP_1)
	v_cmpx_lt_i64_e64 v[44:45], v[42:43]
	s_cbranch_execz .LBB7_49
; %bb.39:
	s_wait_kmcnt 0x0
	v_cmp_neq_f64_e64 s2, s[8:9], 1.0
	v_cmp_neq_f64_e64 s3, s[10:11], 0
	s_wait_xcnt 0x0
	s_load_b32 s0, s[0:1], 0xc0c
	v_dual_mov_b32 v1, v45 :: v_dual_lshlrev_b32 v44, 6, v0
	s_wait_xcnt 0x0
	s_mov_b32 s1, 0
	s_delay_alu instid0(SALU_CYCLE_1)
	s_mov_b32 s5, s1
	s_wait_kmcnt 0x0
	s_and_b32 s0, s0, 0xffff
	s_or_b32 s4, s2, s3
	s_lshl_b32 s2, s0, 6
	s_mov_b32 s3, s1
	s_branch .LBB7_41
.LBB7_40:                               ;   in Loop: Header=BB7_41 Depth=1
	v_add_f64_e32 v[12:13], v[12:13], v[46:47]
	v_add_f64_e32 v[10:11], v[10:11], v[48:49]
	;; [unrolled: 1-line block ×8, first 2 shown]
	v_add_nc_u64_e32 v[0:1], s[0:1], v[0:1]
	s_add_nc_u64 s[16:17], s[16:17], s[2:3]
	s_add_nc_u64 s[6:7], s[6:7], s[2:3]
	;; [unrolled: 1-line block ×3, first 2 shown]
	s_delay_alu instid0(VALU_DEP_1) | instskip(NEXT) | instid1(VALU_DEP_1)
	v_lshlrev_b64_e32 v[18:19], 2, v[0:1]
	v_cmp_ge_i64_e32 vcc_lo, v[18:19], v[42:43]
	v_add_nc_u64_e32 v[18:19], s[12:13], v[44:45]
	s_add_nc_u64 s[12:13], s[12:13], s[2:3]
	s_clause 0x3
	global_store_b128 v[18:19], v[10:13], off
	global_store_b128 v[18:19], v[6:9], off offset:16
	global_store_b128 v[18:19], v[14:17], off offset:32
	;; [unrolled: 1-line block ×3, first 2 shown]
	s_or_b32 s5, vcc_lo, s5
	s_wait_xcnt 0x0
	s_and_not1_b32 exec_lo, exec_lo, s5
	s_cbranch_execz .LBB7_49
.LBB7_41:                               ; =>This Inner Loop Header: Depth=1
	v_add_nc_u64_e32 v[46:47], s[14:15], v[44:45]
	v_add_nc_u64_e32 v[56:57], s[6:7], v[44:45]
	;; [unrolled: 1-line block ×3, first 2 shown]
	s_and_not1_b32 vcc_lo, exec_lo, s4
	global_load_b128 v[48:51], v[46:47], off
	global_load_b128 v[52:55], v[56:57], off
	global_load_b128 v[34:37], v[46:47], off offset:16
	global_load_b128 v[38:41], v[56:57], off offset:16
	s_clause 0x3
	global_load_b128 v[2:5], v[58:59], off offset:48
	global_load_b128 v[14:17], v[58:59], off offset:32
	;; [unrolled: 1-line block ×3, first 2 shown]
	global_load_b128 v[10:13], v[58:59], off
	s_clause 0x1
	global_load_b128 v[18:21], v[46:47], off offset:48
	global_load_b128 v[26:29], v[46:47], off offset:32
	s_clause 0x1
	global_load_b128 v[22:25], v[56:57], off offset:48
	global_load_b128 v[30:33], v[56:57], off offset:32
	s_wait_loadcnt 0xa
	s_wait_xcnt 0x0
	v_mul_f64_e32 v[56:57], v[50:51], v[54:55]
	v_mul_f64_e32 v[46:47], v[48:49], v[54:55]
	s_delay_alu instid0(VALU_DEP_2) | instskip(NEXT) | instid1(VALU_DEP_2)
	v_fma_f64 v[48:49], v[48:49], v[52:53], -v[56:57]
	v_fmac_f64_e32 v[46:47], v[50:51], v[52:53]
	s_cbranch_vccnz .LBB7_43
; %bb.42:                               ;   in Loop: Header=BB7_41 Depth=1
	s_delay_alu instid0(VALU_DEP_2) | instskip(NEXT) | instid1(VALU_DEP_2)
	v_mul_f64_e32 v[52:53], s[10:11], v[48:49]
	v_mul_f64_e32 v[50:51], s[10:11], v[46:47]
	s_delay_alu instid0(VALU_DEP_2) | instskip(NEXT) | instid1(VALU_DEP_2)
	v_fmac_f64_e32 v[52:53], s[8:9], v[46:47]
	v_fma_f64 v[48:49], s[8:9], v[48:49], -v[50:51]
	s_delay_alu instid0(VALU_DEP_2)
	v_mov_b64_e32 v[46:47], v[52:53]
.LBB7_43:                               ;   in Loop: Header=BB7_41 Depth=1
	s_wait_loadcnt 0x8
	v_mul_f64_e32 v[50:51], v[36:37], v[40:41]
	v_mul_f64_e32 v[40:41], v[34:35], v[40:41]
	s_and_not1_b32 vcc_lo, exec_lo, s4
	s_delay_alu instid0(VALU_DEP_2) | instskip(NEXT) | instid1(VALU_DEP_2)
	v_fma_f64 v[34:35], v[34:35], v[38:39], -v[50:51]
	v_fmac_f64_e32 v[40:41], v[36:37], v[38:39]
	s_cbranch_vccnz .LBB7_45
; %bb.44:                               ;   in Loop: Header=BB7_41 Depth=1
	s_delay_alu instid0(VALU_DEP_2) | instskip(NEXT) | instid1(VALU_DEP_2)
	v_mul_f64_e32 v[38:39], s[10:11], v[34:35]
	v_mul_f64_e32 v[36:37], s[10:11], v[40:41]
	s_delay_alu instid0(VALU_DEP_2) | instskip(NEXT) | instid1(VALU_DEP_2)
	v_fmac_f64_e32 v[38:39], s[8:9], v[40:41]
	v_fma_f64 v[34:35], s[8:9], v[34:35], -v[36:37]
	s_delay_alu instid0(VALU_DEP_2)
	v_mov_b64_e32 v[40:41], v[38:39]
.LBB7_45:                               ;   in Loop: Header=BB7_41 Depth=1
	s_wait_loadcnt 0x0
	v_mul_f64_e32 v[36:37], v[28:29], v[32:33]
	v_mul_f64_e32 v[32:33], v[26:27], v[32:33]
	s_and_not1_b32 vcc_lo, exec_lo, s4
	s_delay_alu instid0(VALU_DEP_2) | instskip(NEXT) | instid1(VALU_DEP_2)
	v_fma_f64 v[26:27], v[26:27], v[30:31], -v[36:37]
	v_fmac_f64_e32 v[32:33], v[28:29], v[30:31]
	s_cbranch_vccnz .LBB7_47
; %bb.46:                               ;   in Loop: Header=BB7_41 Depth=1
	s_delay_alu instid0(VALU_DEP_2) | instskip(NEXT) | instid1(VALU_DEP_2)
	v_mul_f64_e32 v[30:31], s[10:11], v[26:27]
	v_mul_f64_e32 v[28:29], s[10:11], v[32:33]
	s_delay_alu instid0(VALU_DEP_2) | instskip(NEXT) | instid1(VALU_DEP_2)
	v_fmac_f64_e32 v[30:31], s[8:9], v[32:33]
	v_fma_f64 v[26:27], s[8:9], v[26:27], -v[28:29]
	s_delay_alu instid0(VALU_DEP_2)
	v_mov_b64_e32 v[32:33], v[30:31]
.LBB7_47:                               ;   in Loop: Header=BB7_41 Depth=1
	v_mul_f64_e32 v[28:29], v[20:21], v[24:25]
	v_mul_f64_e32 v[24:25], v[18:19], v[24:25]
	s_and_not1_b32 vcc_lo, exec_lo, s4
	s_delay_alu instid0(VALU_DEP_2) | instskip(NEXT) | instid1(VALU_DEP_2)
	v_fma_f64 v[18:19], v[18:19], v[22:23], -v[28:29]
	v_fmac_f64_e32 v[24:25], v[20:21], v[22:23]
	s_cbranch_vccnz .LBB7_40
; %bb.48:                               ;   in Loop: Header=BB7_41 Depth=1
	s_delay_alu instid0(VALU_DEP_2) | instskip(NEXT) | instid1(VALU_DEP_2)
	v_mul_f64_e32 v[22:23], s[10:11], v[18:19]
	v_mul_f64_e32 v[20:21], s[10:11], v[24:25]
	s_delay_alu instid0(VALU_DEP_2) | instskip(NEXT) | instid1(VALU_DEP_2)
	v_fmac_f64_e32 v[22:23], s[8:9], v[24:25]
	v_fma_f64 v[18:19], s[8:9], v[18:19], -v[20:21]
	s_delay_alu instid0(VALU_DEP_2)
	v_mov_b64_e32 v[24:25], v[22:23]
	s_branch .LBB7_40
.LBB7_49:
	s_endpgm
	.section	.rodata,"a",@progbits
	.p2align	6, 0x0
	.amdhsa_kernel _ZN2at6native12_GLOBAL__N_125multi_tensor_apply_kernelINS1_18TensorListMetadataILi4EEENS1_24PointwiseOpScalarFunctorIN3c107complexIdEELi4ELi3ELi3EEEJSt10multipliesIS8_ES8_EEEvT_T0_DpT1_
		.amdhsa_group_segment_fixed_size 0
		.amdhsa_private_segment_fixed_size 0
		.amdhsa_kernarg_size 3328
		.amdhsa_user_sgpr_count 2
		.amdhsa_user_sgpr_dispatch_ptr 0
		.amdhsa_user_sgpr_queue_ptr 0
		.amdhsa_user_sgpr_kernarg_segment_ptr 1
		.amdhsa_user_sgpr_dispatch_id 0
		.amdhsa_user_sgpr_kernarg_preload_length 0
		.amdhsa_user_sgpr_kernarg_preload_offset 0
		.amdhsa_user_sgpr_private_segment_size 0
		.amdhsa_wavefront_size32 1
		.amdhsa_uses_dynamic_stack 0
		.amdhsa_enable_private_segment 0
		.amdhsa_system_sgpr_workgroup_id_x 1
		.amdhsa_system_sgpr_workgroup_id_y 0
		.amdhsa_system_sgpr_workgroup_id_z 0
		.amdhsa_system_sgpr_workgroup_info 0
		.amdhsa_system_vgpr_workitem_id 0
		.amdhsa_next_free_vgpr 62
		.amdhsa_next_free_sgpr 32
		.amdhsa_named_barrier_count 0
		.amdhsa_reserve_vcc 1
		.amdhsa_float_round_mode_32 0
		.amdhsa_float_round_mode_16_64 0
		.amdhsa_float_denorm_mode_32 3
		.amdhsa_float_denorm_mode_16_64 3
		.amdhsa_fp16_overflow 0
		.amdhsa_memory_ordered 1
		.amdhsa_forward_progress 1
		.amdhsa_inst_pref_size 17
		.amdhsa_round_robin_scheduling 0
		.amdhsa_exception_fp_ieee_invalid_op 0
		.amdhsa_exception_fp_denorm_src 0
		.amdhsa_exception_fp_ieee_div_zero 0
		.amdhsa_exception_fp_ieee_overflow 0
		.amdhsa_exception_fp_ieee_underflow 0
		.amdhsa_exception_fp_ieee_inexact 0
		.amdhsa_exception_int_div_zero 0
	.end_amdhsa_kernel
	.section	.text._ZN2at6native12_GLOBAL__N_125multi_tensor_apply_kernelINS1_18TensorListMetadataILi4EEENS1_24PointwiseOpScalarFunctorIN3c107complexIdEELi4ELi3ELi3EEEJSt10multipliesIS8_ES8_EEEvT_T0_DpT1_,"axG",@progbits,_ZN2at6native12_GLOBAL__N_125multi_tensor_apply_kernelINS1_18TensorListMetadataILi4EEENS1_24PointwiseOpScalarFunctorIN3c107complexIdEELi4ELi3ELi3EEEJSt10multipliesIS8_ES8_EEEvT_T0_DpT1_,comdat
.Lfunc_end7:
	.size	_ZN2at6native12_GLOBAL__N_125multi_tensor_apply_kernelINS1_18TensorListMetadataILi4EEENS1_24PointwiseOpScalarFunctorIN3c107complexIdEELi4ELi3ELi3EEEJSt10multipliesIS8_ES8_EEEvT_T0_DpT1_, .Lfunc_end7-_ZN2at6native12_GLOBAL__N_125multi_tensor_apply_kernelINS1_18TensorListMetadataILi4EEENS1_24PointwiseOpScalarFunctorIN3c107complexIdEELi4ELi3ELi3EEEJSt10multipliesIS8_ES8_EEEvT_T0_DpT1_
                                        ; -- End function
	.set _ZN2at6native12_GLOBAL__N_125multi_tensor_apply_kernelINS1_18TensorListMetadataILi4EEENS1_24PointwiseOpScalarFunctorIN3c107complexIdEELi4ELi3ELi3EEEJSt10multipliesIS8_ES8_EEEvT_T0_DpT1_.num_vgpr, 62
	.set _ZN2at6native12_GLOBAL__N_125multi_tensor_apply_kernelINS1_18TensorListMetadataILi4EEENS1_24PointwiseOpScalarFunctorIN3c107complexIdEELi4ELi3ELi3EEEJSt10multipliesIS8_ES8_EEEvT_T0_DpT1_.num_agpr, 0
	.set _ZN2at6native12_GLOBAL__N_125multi_tensor_apply_kernelINS1_18TensorListMetadataILi4EEENS1_24PointwiseOpScalarFunctorIN3c107complexIdEELi4ELi3ELi3EEEJSt10multipliesIS8_ES8_EEEvT_T0_DpT1_.numbered_sgpr, 32
	.set _ZN2at6native12_GLOBAL__N_125multi_tensor_apply_kernelINS1_18TensorListMetadataILi4EEENS1_24PointwiseOpScalarFunctorIN3c107complexIdEELi4ELi3ELi3EEEJSt10multipliesIS8_ES8_EEEvT_T0_DpT1_.num_named_barrier, 0
	.set _ZN2at6native12_GLOBAL__N_125multi_tensor_apply_kernelINS1_18TensorListMetadataILi4EEENS1_24PointwiseOpScalarFunctorIN3c107complexIdEELi4ELi3ELi3EEEJSt10multipliesIS8_ES8_EEEvT_T0_DpT1_.private_seg_size, 0
	.set _ZN2at6native12_GLOBAL__N_125multi_tensor_apply_kernelINS1_18TensorListMetadataILi4EEENS1_24PointwiseOpScalarFunctorIN3c107complexIdEELi4ELi3ELi3EEEJSt10multipliesIS8_ES8_EEEvT_T0_DpT1_.uses_vcc, 1
	.set _ZN2at6native12_GLOBAL__N_125multi_tensor_apply_kernelINS1_18TensorListMetadataILi4EEENS1_24PointwiseOpScalarFunctorIN3c107complexIdEELi4ELi3ELi3EEEJSt10multipliesIS8_ES8_EEEvT_T0_DpT1_.uses_flat_scratch, 0
	.set _ZN2at6native12_GLOBAL__N_125multi_tensor_apply_kernelINS1_18TensorListMetadataILi4EEENS1_24PointwiseOpScalarFunctorIN3c107complexIdEELi4ELi3ELi3EEEJSt10multipliesIS8_ES8_EEEvT_T0_DpT1_.has_dyn_sized_stack, 0
	.set _ZN2at6native12_GLOBAL__N_125multi_tensor_apply_kernelINS1_18TensorListMetadataILi4EEENS1_24PointwiseOpScalarFunctorIN3c107complexIdEELi4ELi3ELi3EEEJSt10multipliesIS8_ES8_EEEvT_T0_DpT1_.has_recursion, 0
	.set _ZN2at6native12_GLOBAL__N_125multi_tensor_apply_kernelINS1_18TensorListMetadataILi4EEENS1_24PointwiseOpScalarFunctorIN3c107complexIdEELi4ELi3ELi3EEEJSt10multipliesIS8_ES8_EEEvT_T0_DpT1_.has_indirect_call, 0
	.section	.AMDGPU.csdata,"",@progbits
; Kernel info:
; codeLenInByte = 2160
; TotalNumSgprs: 34
; NumVgprs: 62
; ScratchSize: 0
; MemoryBound: 1
; FloatMode: 240
; IeeeMode: 1
; LDSByteSize: 0 bytes/workgroup (compile time only)
; SGPRBlocks: 0
; VGPRBlocks: 3
; NumSGPRsForWavesPerEU: 34
; NumVGPRsForWavesPerEU: 62
; NamedBarCnt: 0
; Occupancy: 16
; WaveLimiterHint : 0
; COMPUTE_PGM_RSRC2:SCRATCH_EN: 0
; COMPUTE_PGM_RSRC2:USER_SGPR: 2
; COMPUTE_PGM_RSRC2:TRAP_HANDLER: 0
; COMPUTE_PGM_RSRC2:TGID_X_EN: 1
; COMPUTE_PGM_RSRC2:TGID_Y_EN: 0
; COMPUTE_PGM_RSRC2:TGID_Z_EN: 0
; COMPUTE_PGM_RSRC2:TIDIG_COMP_CNT: 0
	.section	.text._ZN2at6native12_GLOBAL__N_125multi_tensor_apply_kernelINS1_18TensorListMetadataILi4EEENS1_24PointwiseOpScalarFunctorIN3c107complexIfEELi4ELi3ELi3EEEJSt10multipliesIS8_ES8_EEEvT_T0_DpT1_,"axG",@progbits,_ZN2at6native12_GLOBAL__N_125multi_tensor_apply_kernelINS1_18TensorListMetadataILi4EEENS1_24PointwiseOpScalarFunctorIN3c107complexIfEELi4ELi3ELi3EEEJSt10multipliesIS8_ES8_EEEvT_T0_DpT1_,comdat
	.globl	_ZN2at6native12_GLOBAL__N_125multi_tensor_apply_kernelINS1_18TensorListMetadataILi4EEENS1_24PointwiseOpScalarFunctorIN3c107complexIfEELi4ELi3ELi3EEEJSt10multipliesIS8_ES8_EEEvT_T0_DpT1_ ; -- Begin function _ZN2at6native12_GLOBAL__N_125multi_tensor_apply_kernelINS1_18TensorListMetadataILi4EEENS1_24PointwiseOpScalarFunctorIN3c107complexIfEELi4ELi3ELi3EEEJSt10multipliesIS8_ES8_EEEvT_T0_DpT1_
	.p2align	8
	.type	_ZN2at6native12_GLOBAL__N_125multi_tensor_apply_kernelINS1_18TensorListMetadataILi4EEENS1_24PointwiseOpScalarFunctorIN3c107complexIfEELi4ELi3ELi3EEEJSt10multipliesIS8_ES8_EEEvT_T0_DpT1_,@function
_ZN2at6native12_GLOBAL__N_125multi_tensor_apply_kernelINS1_18TensorListMetadataILi4EEENS1_24PointwiseOpScalarFunctorIN3c107complexIfEELi4ELi3ELi3EEEJSt10multipliesIS8_ES8_EEEvT_T0_DpT1_: ; @_ZN2at6native12_GLOBAL__N_125multi_tensor_apply_kernelINS1_18TensorListMetadataILi4EEENS1_24PointwiseOpScalarFunctorIN3c107complexIfEELi4ELi3ELi3EEEJSt10multipliesIS8_ES8_EEEvT_T0_DpT1_
; %bb.0:
	s_bfe_u32 s2, ttmp6, 0x4000c
	s_and_b32 s3, ttmp6, 15
	s_add_co_i32 s2, s2, 1
	s_getreg_b32 s4, hwreg(HW_REG_IB_STS2, 6, 4)
	s_mul_i32 s2, ttmp9, s2
	s_load_b64 s[14:15], s[0:1], 0xbf0
	s_add_co_i32 s3, s3, s2
	s_cmp_eq_u32 s4, 0
	s_cselect_b32 s2, ttmp9, s3
	s_mov_b32 s3, 0
	s_load_u8 s8, s[0:1], s2 offset:0x5a0
	s_add_nc_u64 s[4:5], s[0:1], s[2:3]
	s_mul_u64 s[6:7], s[2:3], 3
	s_delay_alu instid0(SALU_CYCLE_1)
	s_add_nc_u64 s[6:7], s[4:5], s[6:7]
	s_load_b32 s18, s[6:7], 0x6e0
	s_wait_kmcnt 0x0
	s_clause 0x4
	s_load_b64 s[4:5], s[0:1], s8 offset:0x240 scale_offset
	s_load_b64 s[22:23], s[0:1], s8 offset:0x360 scale_offset
	;; [unrolled: 1-line block ×5, first 2 shown]
	s_ashr_i32 s19, s18, 31
	s_delay_alu instid0(SALU_CYCLE_1)
	s_lshl_b64 s[16:17], s[18:19], 19
	s_wait_kmcnt 0x0
	s_add_nc_u64 s[6:7], s[4:5], s[16:17]
	s_add_nc_u64 s[8:9], s[22:23], s[16:17]
	;; [unrolled: 1-line block ×3, first 2 shown]
	s_or_b32 s2, s8, s6
	s_delay_alu instid0(SALU_CYCLE_1)
	s_and_b32 s12, s2, 31
	s_and_b32 s2, s10, 31
	s_cmp_eq_u32 s12, 0
	s_add_nc_u64 s[12:13], s[26:27], s[16:17]
	s_cselect_b32 s30, -1, 0
	s_and_b64 s[28:29], s[12:13], 31
	s_cmp_eq_u64 s[2:3], 0
	s_cselect_b32 s31, -1, 0
	s_and_b32 s2, s20, 3
	s_and_b32 s30, s30, s31
	s_or_b64 s[2:3], s[28:29], s[2:3]
	s_lshl_b64 s[18:19], s[18:19], 16
	s_cmp_eq_u64 s[2:3], 0
	s_sub_nc_u64 s[18:19], s[20:21], s[18:19]
	s_cselect_b32 s2, -1, 0
	s_delay_alu instid0(SALU_CYCLE_1) | instskip(NEXT) | instid1(SALU_CYCLE_1)
	s_and_b32 s2, s30, s2
	s_and_b32 vcc_lo, exec_lo, s2
	s_mov_b32 s2, -1
	s_cbranch_vccnz .LBB8_29
; %bb.1:
	v_cmp_lt_i64_e64 s2, s[18:19], 1
	s_and_b32 vcc_lo, exec_lo, s2
	s_cbranch_vccnz .LBB8_28
; %bb.2:
	s_load_b32 s2, s[0:1], 0xc04
	v_min_i64 v[2:3], 0x10000, s[18:19]
	v_min_u64 v[4:5], 0x10000, s[18:19]
	v_dual_mov_b32 v1, 0 :: v_dual_lshlrev_b32 v18, 3, v0
	s_and_b32 s20, s15, 0x7fffffff
	s_mov_b32 s29, 0
	s_delay_alu instid0(VALU_DEP_1) | instskip(SKIP_3) | instid1(VALU_DEP_1)
	v_dual_mov_b32 v19, v1 :: v_dual_mov_b32 v43, v1
	s_mov_b32 s3, s29
	s_mov_b32 s35, s29
	;; [unrolled: 1-line block ×3, first 2 shown]
	v_add_nc_u64_e32 v[6:7], s[26:27], v[18:19]
	v_add_nc_u64_e32 v[8:9], s[24:25], v[18:19]
	;; [unrolled: 1-line block ×4, first 2 shown]
	s_mov_b32 s21, s29
	s_wait_kmcnt 0x0
	s_and_b32 s28, s2, 0xffff
	s_delay_alu instid0(SALU_CYCLE_1)
	s_lshl_b32 s30, s28, 1
	s_cmp_eq_u32 s20, 0
	v_add_nc_u64_e32 v[12:13], s[28:29], v[0:1]
	s_cselect_b32 s33, -1, 0
	s_cmp_eq_f32 s14, 1.0
	s_mul_i32 s2, s28, 3
	v_mad_nc_u64_u32 v[24:25], s28, 24, v[18:19]
	v_add_nc_u64_e32 v[16:17], s[2:3], v[0:1]
	s_cselect_b32 s2, -1, 0
	s_lshl_b32 s34, s28, 4
	v_lshlrev_b32_e32 v42, 3, v12
	v_add_nc_u64_e32 v[32:33], s[34:35], v[18:19]
	v_add_nc_u64_e32 v[34:35], s[30:31], v[0:1]
	s_lshl_b32 s20, s28, 2
	s_and_b32 s2, s2, s33
	v_add_nc_u64_e32 v[36:37], s[26:27], v[42:43]
	v_add_nc_u64_e32 v[38:39], s[24:25], v[42:43]
	;; [unrolled: 1-line block ×12, first 2 shown]
	s_mov_b32 s22, s15
	s_mov_b32 s23, s14
	s_lshl_b32 s24, s28, 5
	s_mov_b32 s25, s29
	s_mov_b64 s[26:27], 0
	s_branch .LBB8_4
.LBB8_3:                                ;   in Loop: Header=BB8_4 Depth=1
	s_wait_xcnt 0x0
	s_or_b32 exec_lo, exec_lo, s3
	s_add_nc_u64 s[26:27], s[26:27], s[20:21]
	v_add_nc_u64_e32 v[6:7], s[24:25], v[6:7]
	v_cmp_lt_i64_e32 vcc_lo, s[26:27], v[2:3]
	v_add_nc_u64_e32 v[8:9], s[24:25], v[8:9]
	v_add_nc_u64_e32 v[10:11], s[24:25], v[10:11]
	;; [unrolled: 1-line block ×15, first 2 shown]
	s_cbranch_vccz .LBB8_28
.LBB8_4:                                ; =>This Inner Loop Header: Depth=1
	s_wait_loadcnt 0x1
	v_add_nc_u64_e32 v[44:45], s[26:27], v[0:1]
	s_wait_loadcnt 0x0
	v_dual_mov_b32 v49, 0 :: v_dual_mov_b32 v48, 0
	s_delay_alu instid0(VALU_DEP_2)
	v_cmp_lt_u64_e32 vcc_lo, v[44:45], v[4:5]
	v_dual_mov_b32 v44, 0 :: v_dual_mov_b32 v45, 0
	s_and_saveexec_b32 s3, vcc_lo
	s_cbranch_execz .LBB8_6
; %bb.5:                                ;   in Loop: Header=BB8_4 Depth=1
	v_add_nc_u64_e32 v[46:47], s[16:17], v[6:7]
	v_add_nc_u64_e32 v[50:51], s[16:17], v[8:9]
	global_load_b64 v[44:45], v[46:47], off
	global_load_b64 v[48:49], v[50:51], off
.LBB8_6:                                ;   in Loop: Header=BB8_4 Depth=1
	s_wait_xcnt 0x0
	s_or_b32 exec_lo, exec_lo, s3
	v_dual_mov_b32 v47, 0 :: v_dual_mov_b32 v58, 0
	v_mov_b32_e32 v59, 0
	s_and_saveexec_b32 s3, vcc_lo
	s_cbranch_execz .LBB8_8
; %bb.7:                                ;   in Loop: Header=BB8_4 Depth=1
	v_add_nc_u64_e32 v[50:51], s[16:17], v[10:11]
	global_load_b64 v[58:59], v[50:51], off
.LBB8_8:                                ;   in Loop: Header=BB8_4 Depth=1
	s_wait_xcnt 0x0
	s_or_b32 exec_lo, exec_lo, s3
	v_add_nc_u64_e32 v[50:51], s[26:27], v[12:13]
	v_mov_b32_e32 v46, 0
	s_delay_alu instid0(VALU_DEP_2)
	v_cmp_lt_u64_e64 s3, v[50:51], v[4:5]
	v_dual_mov_b32 v50, 0 :: v_dual_mov_b32 v51, 0
	s_and_saveexec_b32 s4, s3
	s_cbranch_execz .LBB8_10
; %bb.9:                                ;   in Loop: Header=BB8_4 Depth=1
	v_add_nc_u64_e32 v[52:53], s[16:17], v[36:37]
	v_add_nc_u64_e32 v[54:55], s[16:17], v[38:39]
	global_load_b64 v[50:51], v[52:53], off
	global_load_b64 v[46:47], v[54:55], off
.LBB8_10:                               ;   in Loop: Header=BB8_4 Depth=1
	s_wait_xcnt 0x0
	s_or_b32 exec_lo, exec_lo, s4
	v_dual_mov_b32 v53, 0 :: v_dual_mov_b32 v62, 0
	v_mov_b32_e32 v63, 0
	s_and_saveexec_b32 s4, s3
	s_cbranch_execz .LBB8_12
; %bb.11:                               ;   in Loop: Header=BB8_4 Depth=1
	v_add_nc_u64_e32 v[54:55], s[16:17], v[40:41]
	global_load_b64 v[62:63], v[54:55], off
.LBB8_12:                               ;   in Loop: Header=BB8_4 Depth=1
	s_wait_xcnt 0x0
	s_or_b32 exec_lo, exec_lo, s4
	v_add_nc_u64_e32 v[54:55], s[26:27], v[34:35]
	v_mov_b32_e32 v52, 0
	s_delay_alu instid0(VALU_DEP_2)
	v_cmp_lt_u64_e64 s4, v[54:55], v[4:5]
	v_dual_mov_b32 v54, 0 :: v_dual_mov_b32 v55, 0
	s_and_saveexec_b32 s5, s4
	s_cbranch_execz .LBB8_14
; %bb.13:                               ;   in Loop: Header=BB8_4 Depth=1
	v_add_nc_u64_e32 v[56:57], s[16:17], v[26:27]
	v_add_nc_u64_e32 v[60:61], s[16:17], v[28:29]
	global_load_b64 v[54:55], v[56:57], off
	global_load_b64 v[52:53], v[60:61], off
.LBB8_14:                               ;   in Loop: Header=BB8_4 Depth=1
	s_wait_xcnt 0x0
	s_or_b32 exec_lo, exec_lo, s5
	v_dual_mov_b32 v57, 0 :: v_dual_mov_b32 v64, 0
	v_mov_b32_e32 v65, 0
	s_and_saveexec_b32 s5, s4
	s_cbranch_execz .LBB8_16
; %bb.15:                               ;   in Loop: Header=BB8_4 Depth=1
	v_add_nc_u64_e32 v[60:61], s[16:17], v[30:31]
	global_load_b64 v[64:65], v[60:61], off
.LBB8_16:                               ;   in Loop: Header=BB8_4 Depth=1
	s_wait_xcnt 0x0
	s_or_b32 exec_lo, exec_lo, s5
	v_add_nc_u64_e32 v[60:61], s[26:27], v[16:17]
	v_mov_b32_e32 v56, 0
	s_delay_alu instid0(VALU_DEP_2)
	v_cmp_lt_u64_e64 s5, v[60:61], v[4:5]
	v_dual_mov_b32 v60, 0 :: v_dual_mov_b32 v61, 0
	s_and_saveexec_b32 s28, s5
	s_cbranch_execz .LBB8_18
; %bb.17:                               ;   in Loop: Header=BB8_4 Depth=1
	v_add_nc_u64_e32 v[66:67], s[16:17], v[18:19]
	v_add_nc_u64_e32 v[68:69], s[16:17], v[20:21]
	global_load_b64 v[60:61], v[66:67], off
	global_load_b64 v[56:57], v[68:69], off
.LBB8_18:                               ;   in Loop: Header=BB8_4 Depth=1
	s_wait_xcnt 0x0
	s_or_b32 exec_lo, exec_lo, s28
	v_dual_mov_b32 v66, 0 :: v_dual_mov_b32 v67, 0
	s_and_saveexec_b32 s28, s5
	s_cbranch_execnz .LBB8_23
; %bb.19:                               ;   in Loop: Header=BB8_4 Depth=1
	s_or_b32 exec_lo, exec_lo, s28
	s_and_saveexec_b32 s28, vcc_lo
	s_cbranch_execnz .LBB8_24
.LBB8_20:                               ;   in Loop: Header=BB8_4 Depth=1
	s_or_b32 exec_lo, exec_lo, s28
	s_and_saveexec_b32 s28, s3
	s_cbranch_execnz .LBB8_25
.LBB8_21:                               ;   in Loop: Header=BB8_4 Depth=1
	s_or_b32 exec_lo, exec_lo, s28
	s_and_saveexec_b32 s3, s4
	s_cbranch_execnz .LBB8_26
.LBB8_22:                               ;   in Loop: Header=BB8_4 Depth=1
	s_or_b32 exec_lo, exec_lo, s3
	s_and_saveexec_b32 s3, s5
	s_cbranch_execz .LBB8_3
	s_branch .LBB8_27
.LBB8_23:                               ;   in Loop: Header=BB8_4 Depth=1
	v_add_nc_u64_e32 v[66:67], s[16:17], v[22:23]
	global_load_b64 v[66:67], v[66:67], off
	s_wait_xcnt 0x0
	s_or_b32 exec_lo, exec_lo, s28
	s_and_saveexec_b32 s28, vcc_lo
	s_cbranch_execz .LBB8_20
.LBB8_24:                               ;   in Loop: Header=BB8_4 Depth=1
	s_wait_loadcnt 0x0
	v_dual_mov_b32 v68, v49 :: v_dual_mov_b32 v70, v59
	v_mov_b32_e32 v71, v58
	v_mov_b64_e32 v[74:75], s[14:15]
	s_delay_alu instid0(VALU_DEP_2) | instskip(SKIP_1) | instid1(VALU_DEP_2)
	v_pk_mul_f32 v[68:69], v[68:69], v[70:71] op_sel_hi:[0,1]
	v_mov_b64_e32 v[70:71], s[22:23]
	v_pk_fma_f32 v[72:73], v[48:49], v[58:59], v[68:69] op_sel_hi:[0,1,1]
	v_pk_fma_f32 v[48:49], v[48:49], v[58:59], v[68:69] op_sel_hi:[0,1,1] neg_lo:[0,0,1] neg_hi:[0,0,1]
	s_delay_alu instid0(VALU_DEP_2) | instskip(NEXT) | instid1(VALU_DEP_1)
	v_pk_mul_f32 v[58:59], v[72:73], v[70:71] op_sel:[1,0]
	v_pk_fma_f32 v[68:69], v[48:49], v[74:75], v[58:59] op_sel_hi:[0,1,1]
	v_pk_fma_f32 v[58:59], v[48:49], v[74:75], v[58:59] neg_lo:[0,0,1] neg_hi:[0,0,1]
	s_delay_alu instid0(VALU_DEP_1) | instskip(SKIP_1) | instid1(VALU_DEP_2)
	v_dual_cndmask_b32 v49, v69, v73, s2 :: v_dual_cndmask_b32 v48, v58, v48, s2
	v_add_nc_u64_e32 v[58:59], s[16:17], v[14:15]
	v_pk_add_f32 v[44:45], v[44:45], v[48:49]
	global_store_b64 v[58:59], v[44:45], off
	s_wait_xcnt 0x0
	s_or_b32 exec_lo, exec_lo, s28
	s_and_saveexec_b32 s28, s3
	s_cbranch_execz .LBB8_21
.LBB8_25:                               ;   in Loop: Header=BB8_4 Depth=1
	s_wait_loadcnt 0x0
	v_dual_mov_b32 v44, v47 :: v_dual_mov_b32 v48, v63
	v_mov_b32_e32 v49, v62
	v_mov_b64_e32 v[68:69], s[14:15]
	s_delay_alu instid0(VALU_DEP_2) | instskip(SKIP_1) | instid1(VALU_DEP_2)
	v_pk_mul_f32 v[44:45], v[44:45], v[48:49] op_sel_hi:[0,1]
	v_mov_b64_e32 v[48:49], s[22:23]
	v_pk_fma_f32 v[58:59], v[46:47], v[62:63], v[44:45] op_sel_hi:[0,1,1]
	v_pk_fma_f32 v[44:45], v[46:47], v[62:63], v[44:45] op_sel_hi:[0,1,1] neg_lo:[0,0,1] neg_hi:[0,0,1]
	s_delay_alu instid0(VALU_DEP_2) | instskip(NEXT) | instid1(VALU_DEP_1)
	v_pk_mul_f32 v[46:47], v[58:59], v[48:49] op_sel:[1,0]
	v_pk_fma_f32 v[48:49], v[44:45], v[68:69], v[46:47] op_sel_hi:[0,1,1]
	v_pk_fma_f32 v[46:47], v[44:45], v[68:69], v[46:47] neg_lo:[0,0,1] neg_hi:[0,0,1]
	s_delay_alu instid0(VALU_DEP_1) | instskip(SKIP_1) | instid1(VALU_DEP_2)
	v_dual_cndmask_b32 v45, v49, v59, s2 :: v_dual_cndmask_b32 v44, v46, v44, s2
	v_add_nc_u64_e32 v[46:47], s[16:17], v[42:43]
	v_pk_add_f32 v[44:45], v[50:51], v[44:45]
	global_store_b64 v[46:47], v[44:45], off
	s_wait_xcnt 0x0
	s_or_b32 exec_lo, exec_lo, s28
	s_and_saveexec_b32 s3, s4
	s_cbranch_execz .LBB8_22
.LBB8_26:                               ;   in Loop: Header=BB8_4 Depth=1
	s_wait_loadcnt 0x0
	v_dual_mov_b32 v44, v53 :: v_dual_mov_b32 v46, v65
	v_mov_b32_e32 v47, v64
	v_mov_b64_e32 v[50:51], s[14:15]
	s_delay_alu instid0(VALU_DEP_2) | instskip(SKIP_1) | instid1(VALU_DEP_2)
	v_pk_mul_f32 v[44:45], v[44:45], v[46:47] op_sel_hi:[0,1]
	v_mov_b64_e32 v[46:47], s[22:23]
	v_pk_fma_f32 v[48:49], v[52:53], v[64:65], v[44:45] op_sel_hi:[0,1,1]
	v_pk_fma_f32 v[44:45], v[52:53], v[64:65], v[44:45] op_sel_hi:[0,1,1] neg_lo:[0,0,1] neg_hi:[0,0,1]
	s_delay_alu instid0(VALU_DEP_2) | instskip(NEXT) | instid1(VALU_DEP_1)
	v_pk_mul_f32 v[46:47], v[48:49], v[46:47] op_sel:[1,0]
	v_pk_fma_f32 v[52:53], v[44:45], v[50:51], v[46:47] op_sel_hi:[0,1,1]
	v_pk_fma_f32 v[46:47], v[44:45], v[50:51], v[46:47] neg_lo:[0,0,1] neg_hi:[0,0,1]
	s_delay_alu instid0(VALU_DEP_1) | instskip(SKIP_1) | instid1(VALU_DEP_2)
	v_dual_cndmask_b32 v45, v53, v49, s2 :: v_dual_cndmask_b32 v44, v46, v44, s2
	v_add_nc_u64_e32 v[46:47], s[16:17], v[32:33]
	v_pk_add_f32 v[44:45], v[54:55], v[44:45]
	global_store_b64 v[46:47], v[44:45], off
	s_wait_xcnt 0x0
	s_or_b32 exec_lo, exec_lo, s3
	s_and_saveexec_b32 s3, s5
	s_cbranch_execz .LBB8_3
.LBB8_27:                               ;   in Loop: Header=BB8_4 Depth=1
	s_wait_loadcnt 0x0
	v_dual_mov_b32 v44, v57 :: v_dual_mov_b32 v46, v67
	v_mov_b32_e32 v47, v66
	v_mov_b64_e32 v[50:51], s[14:15]
	s_delay_alu instid0(VALU_DEP_2) | instskip(SKIP_1) | instid1(VALU_DEP_2)
	v_pk_mul_f32 v[44:45], v[44:45], v[46:47] op_sel_hi:[0,1]
	v_mov_b64_e32 v[46:47], s[22:23]
	v_pk_fma_f32 v[48:49], v[56:57], v[66:67], v[44:45] op_sel_hi:[0,1,1]
	v_pk_fma_f32 v[44:45], v[56:57], v[66:67], v[44:45] op_sel_hi:[0,1,1] neg_lo:[0,0,1] neg_hi:[0,0,1]
	s_delay_alu instid0(VALU_DEP_2) | instskip(NEXT) | instid1(VALU_DEP_1)
	v_pk_mul_f32 v[46:47], v[48:49], v[46:47] op_sel:[1,0]
	v_pk_fma_f32 v[52:53], v[44:45], v[50:51], v[46:47] op_sel_hi:[0,1,1]
	v_pk_fma_f32 v[46:47], v[44:45], v[50:51], v[46:47] neg_lo:[0,0,1] neg_hi:[0,0,1]
	s_delay_alu instid0(VALU_DEP_1) | instskip(SKIP_1) | instid1(VALU_DEP_2)
	v_dual_cndmask_b32 v45, v53, v49, s2 :: v_dual_cndmask_b32 v44, v46, v44, s2
	v_add_nc_u64_e32 v[46:47], s[16:17], v[24:25]
	v_pk_add_f32 v[44:45], v[60:61], v[44:45]
	global_store_b64 v[46:47], v[44:45], off
	s_branch .LBB8_3
.LBB8_28:
	s_mov_b32 s2, 0
.LBB8_29:
	s_delay_alu instid0(SALU_CYCLE_1)
	s_and_not1_b32 vcc_lo, exec_lo, s2
	s_cbranch_vccnz .LBB8_33
; %bb.30:
	v_min_i64 v[2:3], 0x10000, s[18:19]
	v_dual_mov_b32 v5, 0 :: v_dual_lshlrev_b32 v4, 2, v0
	s_mov_b32 s2, exec_lo
	s_delay_alu instid0(VALU_DEP_1)
	v_cmpx_lt_i64_e64 v[4:5], v[2:3]
	s_cbranch_execz .LBB8_33
; %bb.31:
	s_load_b32 s2, s[0:1], 0xc04
	s_cmp_eq_f32 s14, 1.0
	s_wait_xcnt 0x0
	s_mov_b32 s0, s15
	s_mov_b32 s1, s14
	v_mov_b64_e32 v[6:7], s[14:15]
	s_cselect_b32 s4, -1, 0
	s_and_b32 s14, s15, 0x7fffffff
	v_mov_b64_e32 v[8:9], s[0:1]
	s_cmp_eq_u32 s14, 0
	v_dual_mov_b32 v1, v5 :: v_dual_lshlrev_b32 v4, 5, v0
	s_mov_b32 s3, 0
	s_cselect_b32 s0, -1, 0
	s_mov_b32 s5, s3
	s_and_b32 vcc_lo, s4, s0
	s_mov_b32 s1, s3
	s_wait_kmcnt 0x0
	s_and_b32 s2, s2, 0xffff
	s_delay_alu instid0(SALU_CYCLE_1)
	s_lshl_b32 s4, s2, 5
.LBB8_32:                               ; =>This Inner Loop Header: Depth=1
	v_add_nc_u64_e32 v[26:27], s[10:11], v[4:5]
	v_add_nc_u64_e32 v[28:29], s[6:7], v[4:5]
	;; [unrolled: 1-line block ×4, first 2 shown]
	s_add_nc_u64 s[12:13], s[12:13], s[4:5]
	s_add_nc_u64 s[6:7], s[6:7], s[4:5]
	;; [unrolled: 1-line block ×3, first 2 shown]
	global_load_b128 v[10:13], v[26:27], off
	s_clause 0x1
	global_load_b128 v[14:17], v[28:29], off
	global_load_b128 v[18:21], v[28:29], off offset:16
	global_load_b128 v[22:25], v[26:27], off offset:16
	s_clause 0x1
	global_load_b128 v[26:29], v[34:35], off
	global_load_b128 v[30:33], v[34:35], off offset:16
	v_lshlrev_b64_e32 v[36:37], 2, v[0:1]
	s_wait_xcnt 0x0
	v_add_nc_u64_e32 v[34:35], s[8:9], v[4:5]
	s_add_nc_u64 s[8:9], s[8:9], s[4:5]
	s_delay_alu instid0(VALU_DEP_2)
	v_cmp_ge_i64_e64 s0, v[36:37], v[2:3]
	s_or_b32 s1, s0, s1
	s_wait_loadcnt 0x5
	v_dual_mov_b32 v40, v13 :: v_dual_mov_b32 v41, v12
	s_wait_loadcnt 0x4
	v_pk_mul_f32 v[38:39], v[10:11], v[14:15] op_sel:[1,1] op_sel_hi:[0,1]
	s_wait_loadcnt 0x2
	v_dual_mov_b32 v42, v17 :: v_dual_mov_b32 v46, v25
	v_pk_mul_f32 v[44:45], v[22:23], v[18:19] op_sel:[1,1] op_sel_hi:[0,1]
	v_dual_mov_b32 v47, v24 :: v_dual_mov_b32 v48, v21
	v_pk_fma_f32 v[50:51], v[10:11], v[14:15], v[38:39] op_sel_hi:[1,0,1] neg_lo:[0,0,1] neg_hi:[0,0,1]
	v_pk_fma_f32 v[10:11], v[10:11], v[14:15], v[38:39] op_sel_hi:[1,0,1]
	v_pk_mul_f32 v[14:15], v[40:41], v[42:43] op_sel_hi:[1,0]
	v_pk_fma_f32 v[38:39], v[22:23], v[18:19], v[44:45] op_sel_hi:[1,0,1] neg_lo:[0,0,1] neg_hi:[0,0,1]
	v_pk_fma_f32 v[18:19], v[22:23], v[18:19], v[44:45] op_sel_hi:[1,0,1]
	v_pk_mul_f32 v[22:23], v[46:47], v[48:49] op_sel_hi:[1,0]
	v_pk_mul_f32 v[40:41], v[10:11], v[8:9] op_sel:[1,0]
	v_pk_fma_f32 v[42:43], v[12:13], v[16:17], v[14:15] op_sel_hi:[1,0,1] neg_lo:[0,0,1] neg_hi:[0,0,1]
	v_pk_fma_f32 v[12:13], v[12:13], v[16:17], v[14:15] op_sel_hi:[1,0,1]
	v_pk_mul_f32 v[14:15], v[18:19], v[8:9] op_sel:[1,0]
	v_pk_fma_f32 v[16:17], v[24:25], v[20:21], v[22:23] op_sel_hi:[1,0,1] neg_lo:[0,0,1] neg_hi:[0,0,1]
	v_pk_fma_f32 v[20:21], v[24:25], v[20:21], v[22:23] op_sel_hi:[1,0,1]
	v_pk_fma_f32 v[22:23], v[50:51], v[6:7], v[40:41] neg_lo:[0,0,1] neg_hi:[0,0,1]
	v_pk_fma_f32 v[24:25], v[50:51], v[6:7], v[40:41] op_sel_hi:[0,1,1]
	v_pk_mul_f32 v[40:41], v[12:13], v[8:9] op_sel:[1,0]
	v_pk_fma_f32 v[44:45], v[38:39], v[6:7], v[14:15] neg_lo:[0,0,1] neg_hi:[0,0,1]
	v_pk_fma_f32 v[14:15], v[38:39], v[6:7], v[14:15] op_sel_hi:[0,1,1]
	v_pk_mul_f32 v[46:47], v[20:21], v[8:9] op_sel:[1,0]
	v_dual_cndmask_b32 v11, v25, v11 :: v_dual_cndmask_b32 v10, v22, v50
	v_pk_fma_f32 v[22:23], v[42:43], v[6:7], v[40:41] neg_lo:[0,0,1] neg_hi:[0,0,1]
	v_pk_fma_f32 v[24:25], v[42:43], v[6:7], v[40:41] op_sel_hi:[0,1,1]
	v_dual_cndmask_b32 v15, v15, v19 :: v_dual_cndmask_b32 v14, v44, v38
	v_pk_fma_f32 v[18:19], v[16:17], v[6:7], v[46:47] op_sel_hi:[0,1,1]
	v_pk_fma_f32 v[40:41], v[16:17], v[6:7], v[46:47] neg_lo:[0,0,1] neg_hi:[0,0,1]
	s_delay_alu instid0(VALU_DEP_4) | instskip(SKIP_2) | instid1(VALU_DEP_3)
	v_dual_cndmask_b32 v13, v25, v13 :: v_dual_cndmask_b32 v12, v22, v42
	s_wait_loadcnt 0x1
	v_pk_add_f32 v[10:11], v[26:27], v[10:11]
	v_dual_cndmask_b32 v17, v19, v21 :: v_dual_cndmask_b32 v16, v40, v16
	s_wait_loadcnt 0x0
	v_pk_add_f32 v[14:15], v[30:31], v[14:15]
	v_pk_add_f32 v[12:13], v[28:29], v[12:13]
	s_delay_alu instid0(VALU_DEP_3)
	v_pk_add_f32 v[16:17], v[32:33], v[16:17]
	s_clause 0x1
	global_store_b128 v[34:35], v[10:13], off
	global_store_b128 v[34:35], v[14:17], off offset:16
	s_wait_xcnt 0x0
	s_and_not1_b32 exec_lo, exec_lo, s1
	s_cbranch_execnz .LBB8_32
.LBB8_33:
	s_sendmsg sendmsg(MSG_DEALLOC_VGPRS)
	s_endpgm
	.section	.rodata,"a",@progbits
	.p2align	6, 0x0
	.amdhsa_kernel _ZN2at6native12_GLOBAL__N_125multi_tensor_apply_kernelINS1_18TensorListMetadataILi4EEENS1_24PointwiseOpScalarFunctorIN3c107complexIfEELi4ELi3ELi3EEEJSt10multipliesIS8_ES8_EEEvT_T0_DpT1_
		.amdhsa_group_segment_fixed_size 0
		.amdhsa_private_segment_fixed_size 0
		.amdhsa_kernarg_size 3320
		.amdhsa_user_sgpr_count 2
		.amdhsa_user_sgpr_dispatch_ptr 0
		.amdhsa_user_sgpr_queue_ptr 0
		.amdhsa_user_sgpr_kernarg_segment_ptr 1
		.amdhsa_user_sgpr_dispatch_id 0
		.amdhsa_user_sgpr_kernarg_preload_length 0
		.amdhsa_user_sgpr_kernarg_preload_offset 0
		.amdhsa_user_sgpr_private_segment_size 0
		.amdhsa_wavefront_size32 1
		.amdhsa_uses_dynamic_stack 0
		.amdhsa_enable_private_segment 0
		.amdhsa_system_sgpr_workgroup_id_x 1
		.amdhsa_system_sgpr_workgroup_id_y 0
		.amdhsa_system_sgpr_workgroup_id_z 0
		.amdhsa_system_sgpr_workgroup_info 0
		.amdhsa_system_vgpr_workitem_id 0
		.amdhsa_next_free_vgpr 76
		.amdhsa_next_free_sgpr 36
		.amdhsa_named_barrier_count 0
		.amdhsa_reserve_vcc 1
		.amdhsa_float_round_mode_32 0
		.amdhsa_float_round_mode_16_64 0
		.amdhsa_float_denorm_mode_32 3
		.amdhsa_float_denorm_mode_16_64 3
		.amdhsa_fp16_overflow 0
		.amdhsa_memory_ordered 1
		.amdhsa_forward_progress 1
		.amdhsa_inst_pref_size 19
		.amdhsa_round_robin_scheduling 0
		.amdhsa_exception_fp_ieee_invalid_op 0
		.amdhsa_exception_fp_denorm_src 0
		.amdhsa_exception_fp_ieee_div_zero 0
		.amdhsa_exception_fp_ieee_overflow 0
		.amdhsa_exception_fp_ieee_underflow 0
		.amdhsa_exception_fp_ieee_inexact 0
		.amdhsa_exception_int_div_zero 0
	.end_amdhsa_kernel
	.section	.text._ZN2at6native12_GLOBAL__N_125multi_tensor_apply_kernelINS1_18TensorListMetadataILi4EEENS1_24PointwiseOpScalarFunctorIN3c107complexIfEELi4ELi3ELi3EEEJSt10multipliesIS8_ES8_EEEvT_T0_DpT1_,"axG",@progbits,_ZN2at6native12_GLOBAL__N_125multi_tensor_apply_kernelINS1_18TensorListMetadataILi4EEENS1_24PointwiseOpScalarFunctorIN3c107complexIfEELi4ELi3ELi3EEEJSt10multipliesIS8_ES8_EEEvT_T0_DpT1_,comdat
.Lfunc_end8:
	.size	_ZN2at6native12_GLOBAL__N_125multi_tensor_apply_kernelINS1_18TensorListMetadataILi4EEENS1_24PointwiseOpScalarFunctorIN3c107complexIfEELi4ELi3ELi3EEEJSt10multipliesIS8_ES8_EEEvT_T0_DpT1_, .Lfunc_end8-_ZN2at6native12_GLOBAL__N_125multi_tensor_apply_kernelINS1_18TensorListMetadataILi4EEENS1_24PointwiseOpScalarFunctorIN3c107complexIfEELi4ELi3ELi3EEEJSt10multipliesIS8_ES8_EEEvT_T0_DpT1_
                                        ; -- End function
	.set _ZN2at6native12_GLOBAL__N_125multi_tensor_apply_kernelINS1_18TensorListMetadataILi4EEENS1_24PointwiseOpScalarFunctorIN3c107complexIfEELi4ELi3ELi3EEEJSt10multipliesIS8_ES8_EEEvT_T0_DpT1_.num_vgpr, 76
	.set _ZN2at6native12_GLOBAL__N_125multi_tensor_apply_kernelINS1_18TensorListMetadataILi4EEENS1_24PointwiseOpScalarFunctorIN3c107complexIfEELi4ELi3ELi3EEEJSt10multipliesIS8_ES8_EEEvT_T0_DpT1_.num_agpr, 0
	.set _ZN2at6native12_GLOBAL__N_125multi_tensor_apply_kernelINS1_18TensorListMetadataILi4EEENS1_24PointwiseOpScalarFunctorIN3c107complexIfEELi4ELi3ELi3EEEJSt10multipliesIS8_ES8_EEEvT_T0_DpT1_.numbered_sgpr, 36
	.set _ZN2at6native12_GLOBAL__N_125multi_tensor_apply_kernelINS1_18TensorListMetadataILi4EEENS1_24PointwiseOpScalarFunctorIN3c107complexIfEELi4ELi3ELi3EEEJSt10multipliesIS8_ES8_EEEvT_T0_DpT1_.num_named_barrier, 0
	.set _ZN2at6native12_GLOBAL__N_125multi_tensor_apply_kernelINS1_18TensorListMetadataILi4EEENS1_24PointwiseOpScalarFunctorIN3c107complexIfEELi4ELi3ELi3EEEJSt10multipliesIS8_ES8_EEEvT_T0_DpT1_.private_seg_size, 0
	.set _ZN2at6native12_GLOBAL__N_125multi_tensor_apply_kernelINS1_18TensorListMetadataILi4EEENS1_24PointwiseOpScalarFunctorIN3c107complexIfEELi4ELi3ELi3EEEJSt10multipliesIS8_ES8_EEEvT_T0_DpT1_.uses_vcc, 1
	.set _ZN2at6native12_GLOBAL__N_125multi_tensor_apply_kernelINS1_18TensorListMetadataILi4EEENS1_24PointwiseOpScalarFunctorIN3c107complexIfEELi4ELi3ELi3EEEJSt10multipliesIS8_ES8_EEEvT_T0_DpT1_.uses_flat_scratch, 0
	.set _ZN2at6native12_GLOBAL__N_125multi_tensor_apply_kernelINS1_18TensorListMetadataILi4EEENS1_24PointwiseOpScalarFunctorIN3c107complexIfEELi4ELi3ELi3EEEJSt10multipliesIS8_ES8_EEEvT_T0_DpT1_.has_dyn_sized_stack, 0
	.set _ZN2at6native12_GLOBAL__N_125multi_tensor_apply_kernelINS1_18TensorListMetadataILi4EEENS1_24PointwiseOpScalarFunctorIN3c107complexIfEELi4ELi3ELi3EEEJSt10multipliesIS8_ES8_EEEvT_T0_DpT1_.has_recursion, 0
	.set _ZN2at6native12_GLOBAL__N_125multi_tensor_apply_kernelINS1_18TensorListMetadataILi4EEENS1_24PointwiseOpScalarFunctorIN3c107complexIfEELi4ELi3ELi3EEEJSt10multipliesIS8_ES8_EEEvT_T0_DpT1_.has_indirect_call, 0
	.section	.AMDGPU.csdata,"",@progbits
; Kernel info:
; codeLenInByte = 2340
; TotalNumSgprs: 38
; NumVgprs: 76
; ScratchSize: 0
; MemoryBound: 0
; FloatMode: 240
; IeeeMode: 1
; LDSByteSize: 0 bytes/workgroup (compile time only)
; SGPRBlocks: 0
; VGPRBlocks: 4
; NumSGPRsForWavesPerEU: 38
; NumVGPRsForWavesPerEU: 76
; NamedBarCnt: 0
; Occupancy: 12
; WaveLimiterHint : 0
; COMPUTE_PGM_RSRC2:SCRATCH_EN: 0
; COMPUTE_PGM_RSRC2:USER_SGPR: 2
; COMPUTE_PGM_RSRC2:TRAP_HANDLER: 0
; COMPUTE_PGM_RSRC2:TGID_X_EN: 1
; COMPUTE_PGM_RSRC2:TGID_Y_EN: 0
; COMPUTE_PGM_RSRC2:TGID_Z_EN: 0
; COMPUTE_PGM_RSRC2:TIDIG_COMP_CNT: 0
	.section	.text._ZN2at6native12_GLOBAL__N_125multi_tensor_apply_kernelINS1_18TensorListMetadataILi4EEENS1_24PointwiseOpScalarFunctorIN3c104HalfELi4ELi3ELi3EEEJSt10multipliesIfEfEEEvT_T0_DpT1_,"axG",@progbits,_ZN2at6native12_GLOBAL__N_125multi_tensor_apply_kernelINS1_18TensorListMetadataILi4EEENS1_24PointwiseOpScalarFunctorIN3c104HalfELi4ELi3ELi3EEEJSt10multipliesIfEfEEEvT_T0_DpT1_,comdat
	.globl	_ZN2at6native12_GLOBAL__N_125multi_tensor_apply_kernelINS1_18TensorListMetadataILi4EEENS1_24PointwiseOpScalarFunctorIN3c104HalfELi4ELi3ELi3EEEJSt10multipliesIfEfEEEvT_T0_DpT1_ ; -- Begin function _ZN2at6native12_GLOBAL__N_125multi_tensor_apply_kernelINS1_18TensorListMetadataILi4EEENS1_24PointwiseOpScalarFunctorIN3c104HalfELi4ELi3ELi3EEEJSt10multipliesIfEfEEEvT_T0_DpT1_
	.p2align	8
	.type	_ZN2at6native12_GLOBAL__N_125multi_tensor_apply_kernelINS1_18TensorListMetadataILi4EEENS1_24PointwiseOpScalarFunctorIN3c104HalfELi4ELi3ELi3EEEJSt10multipliesIfEfEEEvT_T0_DpT1_,@function
_ZN2at6native12_GLOBAL__N_125multi_tensor_apply_kernelINS1_18TensorListMetadataILi4EEENS1_24PointwiseOpScalarFunctorIN3c104HalfELi4ELi3ELi3EEEJSt10multipliesIfEfEEEvT_T0_DpT1_: ; @_ZN2at6native12_GLOBAL__N_125multi_tensor_apply_kernelINS1_18TensorListMetadataILi4EEENS1_24PointwiseOpScalarFunctorIN3c104HalfELi4ELi3ELi3EEEJSt10multipliesIfEfEEEvT_T0_DpT1_
; %bb.0:
	s_bfe_u32 s2, ttmp6, 0x4000c
	s_and_b32 s3, ttmp6, 15
	s_add_co_i32 s2, s2, 1
	s_getreg_b32 s4, hwreg(HW_REG_IB_STS2, 6, 4)
	s_mul_i32 s2, ttmp9, s2
	s_delay_alu instid0(SALU_CYCLE_1)
	s_add_co_i32 s3, s3, s2
	s_cmp_eq_u32 s4, 0
	s_cselect_b32 s2, ttmp9, s3
	s_mov_b32 s3, 0
	s_load_u8 s14, s[0:1], s2 offset:0x5a0
	s_add_nc_u64 s[4:5], s[0:1], s[2:3]
	s_mul_u64 s[6:7], s[2:3], 3
	s_delay_alu instid0(SALU_CYCLE_1)
	s_add_nc_u64 s[4:5], s[4:5], s[6:7]
	s_load_b32 s18, s[4:5], 0x6e0
	s_wait_kmcnt 0x0
	s_clause 0x4
	s_load_b64 s[6:7], s[0:1], s14 offset:0x120 scale_offset
	s_load_b64 s[8:9], s[0:1], s14 offset:0x0 scale_offset
	;; [unrolled: 1-line block ×5, first 2 shown]
	s_ashr_i32 s19, s18, 31
	s_wait_xcnt 0x0
	s_lshl_b64 s[14:15], s[18:19], 17
	s_wait_kmcnt 0x0
	s_add_nc_u64 s[4:5], s[6:7], s[14:15]
	s_add_nc_u64 s[16:17], s[10:11], s[14:15]
	s_and_b32 s2, s4, 7
	s_and_b64 s[4:5], s[8:9], 7
	s_cmp_eq_u64 s[2:3], 0
	s_cselect_b32 s17, -1, 0
	s_or_b32 s2, s12, s16
	s_load_b32 s16, s[0:1], 0xbec
	s_and_b32 s2, s2, 7
	s_delay_alu instid0(SALU_CYCLE_1)
	s_cmp_eq_u32 s2, 0
	s_cselect_b32 s22, -1, 0
	s_and_b32 s2, s20, 3
	s_and_b32 s17, s22, s17
	s_or_b64 s[2:3], s[4:5], s[2:3]
	s_lshl_b64 s[4:5], s[18:19], 16
	s_cmp_eq_u64 s[2:3], 0
	s_sub_nc_u64 s[18:19], s[20:21], s[4:5]
	s_cselect_b32 s2, -1, 0
	s_delay_alu instid0(SALU_CYCLE_1) | instskip(NEXT) | instid1(SALU_CYCLE_1)
	s_and_b32 s2, s17, s2
	s_and_b32 vcc_lo, exec_lo, s2
	s_mov_b32 s2, -1
	s_cbranch_vccnz .LBB9_29
; %bb.1:
	v_cmp_lt_i64_e64 s2, s[18:19], 1
	s_and_b32 vcc_lo, exec_lo, s2
	s_cbranch_vccnz .LBB9_28
; %bb.2:
	s_load_b32 s2, s[0:1], 0xbfc
	v_min_i64 v[2:3], 0x10000, s[18:19]
	v_min_u64 v[4:5], 0x10000, s[18:19]
	v_dual_mov_b32 v1, 0 :: v_dual_lshlrev_b32 v20, 1, v0
	s_mov_b32 s23, 0
	s_mov_b64 s[24:25], 0
	s_mov_b32 s3, s23
	s_delay_alu instid0(VALU_DEP_1) | instskip(SKIP_2) | instid1(VALU_DEP_1)
	v_dual_mov_b32 v21, v1 :: v_dual_mov_b32 v43, v1
	s_mov_b32 s21, s23
	s_mov_b32 s5, s23
	v_add_nc_u64_e32 v[6:7], s[8:9], v[20:21]
	v_add_nc_u64_e32 v[8:9], s[6:7], v[20:21]
	v_add_nc_u64_e32 v[10:11], s[10:11], v[20:21]
	v_add_nc_u64_e32 v[14:15], s[12:13], v[20:21]
	s_wait_kmcnt 0x0
	s_and_b32 s22, s2, 0xffff
	s_delay_alu instid0(SALU_CYCLE_1)
	s_lshl_b32 s4, s22, 1
	s_cmp_eq_f32 s16, 1.0
	v_add_nc_u64_e32 v[12:13], s[22:23], v[0:1]
	v_mad_nc_u64_u32 v[26:27], s22, 6, v[20:21]
	s_mul_i32 s2, s22, 3
	v_add_nc_u64_e32 v[18:19], s[4:5], v[0:1]
	v_add_nc_u64_e32 v[16:17], s[2:3], v[0:1]
	s_cselect_b32 s2, -1, 0
	s_lshl_b32 s20, s22, 2
	v_lshlrev_b32_e32 v42, 1, v12
	v_add_nc_u64_e32 v[38:39], s[20:21], v[20:21]
	s_lshl_b32 s22, s22, 3
	v_add_nc_u64_e32 v[20:21], s[8:9], v[26:27]
	v_add_nc_u64_e32 v[22:23], s[6:7], v[26:27]
	;; [unrolled: 1-line block ×12, first 2 shown]
	s_branch .LBB9_4
.LBB9_3:                                ;   in Loop: Header=BB9_4 Depth=1
	s_wait_xcnt 0x0
	s_or_b32 exec_lo, exec_lo, s3
	s_add_nc_u64 s[24:25], s[24:25], s[20:21]
	v_add_nc_u64_e32 v[6:7], s[22:23], v[6:7]
	v_cmp_lt_i64_e32 vcc_lo, s[24:25], v[2:3]
	v_add_nc_u64_e32 v[8:9], s[22:23], v[8:9]
	v_add_nc_u64_e32 v[10:11], s[22:23], v[10:11]
	v_add_nc_u64_e32 v[14:15], s[22:23], v[14:15]
	v_add_nc_u64_e32 v[20:21], s[22:23], v[20:21]
	v_add_nc_u64_e32 v[22:23], s[22:23], v[22:23]
	v_add_nc_u64_e32 v[24:25], s[22:23], v[24:25]
	v_add_nc_u64_e32 v[26:27], s[22:23], v[26:27]
	v_add_nc_u64_e32 v[32:33], s[22:23], v[32:33]
	v_add_nc_u64_e32 v[34:35], s[22:23], v[34:35]
	v_add_nc_u64_e32 v[36:37], s[22:23], v[36:37]
	v_add_nc_u64_e32 v[38:39], s[22:23], v[38:39]
	v_add_nc_u64_e32 v[28:29], s[22:23], v[28:29]
	v_add_nc_u64_e32 v[30:31], s[22:23], v[30:31]
	v_add_nc_u64_e32 v[40:41], s[22:23], v[40:41]
	v_add_nc_u64_e32 v[42:43], s[22:23], v[42:43]
	s_cbranch_vccz .LBB9_28
.LBB9_4:                                ; =>This Inner Loop Header: Depth=1
	v_add_nc_u64_e32 v[44:45], s[24:25], v[0:1]
	s_delay_alu instid0(VALU_DEP_1)
	v_cmp_lt_u64_e32 vcc_lo, v[44:45], v[4:5]
	v_dual_mov_b32 v45, 0 :: v_dual_mov_b32 v44, 0
	s_and_saveexec_b32 s3, vcc_lo
	s_cbranch_execz .LBB9_6
; %bb.5:                                ;   in Loop: Header=BB9_4 Depth=1
	v_add_nc_u64_e32 v[44:45], s[14:15], v[6:7]
	v_add_nc_u64_e32 v[46:47], s[14:15], v[8:9]
	global_load_u16 v48, v[44:45], off
	global_load_u16 v49, v[46:47], off
	s_wait_loadcnt 0x1
	s_wait_xcnt 0x1
	v_cvt_f32_f16_e32 v44, v48
	s_wait_loadcnt 0x0
	v_cvt_f32_f16_e32 v45, v49
.LBB9_6:                                ;   in Loop: Header=BB9_4 Depth=1
	s_wait_xcnt 0x0
	s_or_b32 exec_lo, exec_lo, s3
	v_dual_mov_b32 v46, 0 :: v_dual_mov_b32 v47, 0
	s_and_saveexec_b32 s3, vcc_lo
	s_cbranch_execz .LBB9_8
; %bb.7:                                ;   in Loop: Header=BB9_4 Depth=1
	v_add_nc_u64_e32 v[48:49], s[14:15], v[10:11]
	global_load_u16 v47, v[48:49], off
	s_wait_loadcnt 0x0
	v_cvt_f32_f16_e32 v47, v47
.LBB9_8:                                ;   in Loop: Header=BB9_4 Depth=1
	s_wait_xcnt 0x0
	s_or_b32 exec_lo, exec_lo, s3
	v_add_nc_u64_e32 v[48:49], s[24:25], v[12:13]
	s_delay_alu instid0(VALU_DEP_1)
	v_cmp_lt_u64_e64 s3, v[48:49], v[4:5]
	v_mov_b32_e32 v48, 0
	s_and_saveexec_b32 s4, s3
	s_cbranch_execz .LBB9_10
; %bb.9:                                ;   in Loop: Header=BB9_4 Depth=1
	v_add_nc_u64_e32 v[48:49], s[14:15], v[28:29]
	v_add_nc_u64_e32 v[50:51], s[14:15], v[30:31]
	global_load_u16 v46, v[48:49], off
	global_load_u16 v52, v[50:51], off
	s_wait_loadcnt 0x1
	s_wait_xcnt 0x1
	v_cvt_f32_f16_e32 v48, v46
	s_wait_loadcnt 0x0
	v_cvt_f32_f16_e32 v46, v52
.LBB9_10:                               ;   in Loop: Header=BB9_4 Depth=1
	s_wait_xcnt 0x0
	s_or_b32 exec_lo, exec_lo, s4
	v_dual_mov_b32 v49, 0 :: v_dual_mov_b32 v50, 0
	s_and_saveexec_b32 s4, s3
	s_cbranch_execz .LBB9_12
; %bb.11:                               ;   in Loop: Header=BB9_4 Depth=1
	v_add_nc_u64_e32 v[50:51], s[14:15], v[40:41]
	global_load_u16 v50, v[50:51], off
	s_wait_loadcnt 0x0
	s_wait_xcnt 0x0
	v_cvt_f32_f16_e32 v50, v50
.LBB9_12:                               ;   in Loop: Header=BB9_4 Depth=1
	s_or_b32 exec_lo, exec_lo, s4
	v_add_nc_u64_e32 v[52:53], s[24:25], v[18:19]
	v_mov_b32_e32 v51, 0
	s_delay_alu instid0(VALU_DEP_2)
	v_cmp_lt_u64_e64 s4, v[52:53], v[4:5]
	s_and_saveexec_b32 s5, s4
	s_cbranch_execz .LBB9_14
; %bb.13:                               ;   in Loop: Header=BB9_4 Depth=1
	v_add_nc_u64_e32 v[52:53], s[14:15], v[32:33]
	v_add_nc_u64_e32 v[54:55], s[14:15], v[34:35]
	global_load_u16 v49, v[52:53], off
	global_load_u16 v56, v[54:55], off
	s_wait_loadcnt 0x1
	v_cvt_f32_f16_e32 v51, v49
	s_wait_loadcnt 0x0
	v_cvt_f32_f16_e32 v49, v56
.LBB9_14:                               ;   in Loop: Header=BB9_4 Depth=1
	s_wait_xcnt 0x0
	s_or_b32 exec_lo, exec_lo, s5
	v_dual_mov_b32 v52, 0 :: v_dual_mov_b32 v53, 0
	s_and_saveexec_b32 s5, s4
	s_cbranch_execz .LBB9_16
; %bb.15:                               ;   in Loop: Header=BB9_4 Depth=1
	v_add_nc_u64_e32 v[54:55], s[14:15], v[36:37]
	global_load_u16 v53, v[54:55], off
	s_wait_loadcnt 0x0
	v_cvt_f32_f16_e32 v53, v53
.LBB9_16:                               ;   in Loop: Header=BB9_4 Depth=1
	s_wait_xcnt 0x0
	s_or_b32 exec_lo, exec_lo, s5
	v_add_nc_u64_e32 v[54:55], s[24:25], v[16:17]
	s_delay_alu instid0(VALU_DEP_1)
	v_cmp_lt_u64_e64 s5, v[54:55], v[4:5]
	v_mov_b32_e32 v54, 0
	s_and_saveexec_b32 s17, s5
	s_cbranch_execnz .LBB9_22
; %bb.17:                               ;   in Loop: Header=BB9_4 Depth=1
	s_or_b32 exec_lo, exec_lo, s17
	v_mov_b32_e32 v55, 0
	s_and_saveexec_b32 s17, s5
	s_cbranch_execnz .LBB9_23
.LBB9_18:                               ;   in Loop: Header=BB9_4 Depth=1
	s_or_b32 exec_lo, exec_lo, s17
	s_and_saveexec_b32 s17, vcc_lo
	s_cbranch_execnz .LBB9_24
.LBB9_19:                               ;   in Loop: Header=BB9_4 Depth=1
	s_or_b32 exec_lo, exec_lo, s17
	s_and_saveexec_b32 s17, s3
	s_cbranch_execnz .LBB9_25
.LBB9_20:                               ;   in Loop: Header=BB9_4 Depth=1
	s_or_b32 exec_lo, exec_lo, s17
	s_and_saveexec_b32 s3, s4
	s_cbranch_execnz .LBB9_26
.LBB9_21:                               ;   in Loop: Header=BB9_4 Depth=1
	s_or_b32 exec_lo, exec_lo, s3
	s_and_saveexec_b32 s3, s5
	s_cbranch_execz .LBB9_3
	s_branch .LBB9_27
.LBB9_22:                               ;   in Loop: Header=BB9_4 Depth=1
	v_add_nc_u64_e32 v[54:55], s[14:15], v[20:21]
	v_add_nc_u64_e32 v[56:57], s[14:15], v[22:23]
	global_load_u16 v52, v[54:55], off
	global_load_u16 v58, v[56:57], off
	s_wait_loadcnt 0x1
	s_wait_xcnt 0x1
	v_cvt_f32_f16_e32 v54, v52
	s_wait_loadcnt 0x0
	v_cvt_f32_f16_e32 v52, v58
	s_wait_xcnt 0x0
	s_or_b32 exec_lo, exec_lo, s17
	v_mov_b32_e32 v55, 0
	s_and_saveexec_b32 s17, s5
	s_cbranch_execz .LBB9_18
.LBB9_23:                               ;   in Loop: Header=BB9_4 Depth=1
	v_add_nc_u64_e32 v[56:57], s[14:15], v[24:25]
	global_load_u16 v55, v[56:57], off
	s_wait_loadcnt 0x0
	v_cvt_f32_f16_e32 v55, v55
	s_wait_xcnt 0x0
	s_or_b32 exec_lo, exec_lo, s17
	s_and_saveexec_b32 s17, vcc_lo
	s_cbranch_execz .LBB9_19
.LBB9_24:                               ;   in Loop: Header=BB9_4 Depth=1
	v_dual_mul_f32 v56, v45, v47 :: v_dual_fma_f32 v45, v45, v47, v44
	s_delay_alu instid0(VALU_DEP_1) | instskip(NEXT) | instid1(VALU_DEP_1)
	v_fmac_f32_e32 v44, s16, v56
	v_cndmask_b32_e64 v47, v44, v45, s2
	v_add_nc_u64_e32 v[44:45], s[14:15], v[14:15]
	s_delay_alu instid0(VALU_DEP_2)
	v_cvt_f16_f32_e32 v47, v47
	global_store_b16 v[44:45], v47, off
	s_wait_xcnt 0x0
	s_or_b32 exec_lo, exec_lo, s17
	s_and_saveexec_b32 s17, s3
	s_cbranch_execz .LBB9_20
.LBB9_25:                               ;   in Loop: Header=BB9_4 Depth=1
	v_dual_mul_f32 v44, v46, v50 :: v_dual_fma_f32 v45, v46, v50, v48
	s_delay_alu instid0(VALU_DEP_1) | instskip(NEXT) | instid1(VALU_DEP_1)
	v_fmac_f32_e32 v48, s16, v44
	v_cndmask_b32_e64 v46, v48, v45, s2
	v_add_nc_u64_e32 v[44:45], s[14:15], v[42:43]
	s_delay_alu instid0(VALU_DEP_2)
	v_cvt_f16_f32_e32 v46, v46
	global_store_b16 v[44:45], v46, off
	s_wait_xcnt 0x0
	s_or_b32 exec_lo, exec_lo, s17
	s_and_saveexec_b32 s3, s4
	s_cbranch_execz .LBB9_21
.LBB9_26:                               ;   in Loop: Header=BB9_4 Depth=1
	v_dual_mul_f32 v44, v49, v53 :: v_dual_fma_f32 v45, v49, v53, v51
	s_delay_alu instid0(VALU_DEP_1) | instskip(NEXT) | instid1(VALU_DEP_1)
	v_fmac_f32_e32 v51, s16, v44
	v_cndmask_b32_e64 v46, v51, v45, s2
	v_add_nc_u64_e32 v[44:45], s[14:15], v[38:39]
	s_delay_alu instid0(VALU_DEP_2)
	v_cvt_f16_f32_e32 v46, v46
	global_store_b16 v[44:45], v46, off
	s_wait_xcnt 0x0
	s_or_b32 exec_lo, exec_lo, s3
	s_and_saveexec_b32 s3, s5
	s_cbranch_execz .LBB9_3
.LBB9_27:                               ;   in Loop: Header=BB9_4 Depth=1
	v_dual_mul_f32 v44, v52, v55 :: v_dual_fma_f32 v45, v52, v55, v54
	s_delay_alu instid0(VALU_DEP_1) | instskip(NEXT) | instid1(VALU_DEP_1)
	v_fmac_f32_e32 v54, s16, v44
	v_cndmask_b32_e64 v46, v54, v45, s2
	v_add_nc_u64_e32 v[44:45], s[14:15], v[26:27]
	s_delay_alu instid0(VALU_DEP_2)
	v_cvt_f16_f32_e32 v46, v46
	global_store_b16 v[44:45], v46, off
	s_branch .LBB9_3
.LBB9_28:
	s_mov_b32 s2, 0
.LBB9_29:
	s_delay_alu instid0(SALU_CYCLE_1)
	s_and_not1_b32 vcc_lo, exec_lo, s2
	s_cbranch_vccnz .LBB9_33
; %bb.30:
	v_min_i64 v[2:3], 0x10000, s[18:19]
	v_dual_mov_b32 v9, 0 :: v_dual_lshlrev_b32 v8, 2, v0
	s_mov_b32 s2, exec_lo
	s_delay_alu instid0(VALU_DEP_1)
	v_cmpx_lt_i64_e64 v[8:9], v[2:3]
	s_cbranch_execz .LBB9_33
; %bb.31:
	s_wait_xcnt 0x0
	s_load_b32 s0, s[0:1], 0xbfc
	v_dual_mov_b32 v1, v9 :: v_dual_lshlrev_b32 v8, 3, v0
	s_wait_kmcnt 0x0
	s_mov_b32 s17, s16
	s_cmp_eq_f32 s16, 1.0
	v_mov_b64_e32 v[6:7], s[16:17]
	v_dual_mov_b32 v4, s16 :: v_dual_mov_b32 v5, s16
	v_add_nc_u64_e32 v[8:9], s[14:15], v[8:9]
	s_mov_b32 s3, 0
	s_cselect_b32 vcc_lo, -1, 0
	s_mov_b32 s5, s3
	s_mov_b32 s1, s3
	s_and_b32 s2, s0, 0xffff
	s_delay_alu instid0(SALU_CYCLE_1)
	s_lshl_b32 s4, s2, 3
.LBB9_32:                               ; =>This Inner Loop Header: Depth=1
	v_add_nc_u64_e32 v[10:11], s[6:7], v[8:9]
	v_add_nc_u64_e32 v[12:13], s[10:11], v[8:9]
	v_add_nc_u64_e32 v[14:15], s[8:9], v[8:9]
	v_add_nc_u64_e32 v[0:1], s[2:3], v[0:1]
	global_load_b64 v[16:17], v[10:11], off
	global_load_b64 v[18:19], v[12:13], off
	;; [unrolled: 1-line block ×3, first 2 shown]
	s_wait_xcnt 0x2
	v_lshlrev_b64_e32 v[10:11], 2, v[0:1]
	s_delay_alu instid0(VALU_DEP_1)
	v_cmp_ge_i64_e64 s0, v[10:11], v[2:3]
	v_add_nc_u64_e32 v[10:11], s[12:13], v[8:9]
	v_add_nc_u64_e32 v[8:9], s[4:5], v[8:9]
	s_or_b32 s1, s0, s1
	s_wait_loadcnt 0x1
	v_dual_lshrrev_b32 v23, 16, v18 :: v_dual_lshrrev_b32 v24, 16, v19
	s_wait_loadcnt 0x0
	s_wait_xcnt 0x1
	v_cvt_f32_f16_e32 v12, v20
	s_wait_xcnt 0x0
	v_dual_lshrrev_b32 v13, 16, v20 :: v_dual_lshrrev_b32 v15, 16, v21
	v_cvt_f32_f16_e32 v14, v21
	v_cvt_f32_f16_e32 v20, v16
	v_lshrrev_b32_e32 v21, 16, v16
	v_cvt_f32_f16_e32 v16, v17
	v_lshrrev_b32_e32 v17, 16, v17
	v_cvt_f32_f16_e32 v22, v18
	v_cvt_f32_f16_e32 v18, v19
	;; [unrolled: 1-line block ×8, first 2 shown]
	v_pk_mul_f32 v[24:25], v[20:21], v[22:23]
	s_delay_alu instid0(VALU_DEP_4) | instskip(NEXT) | instid1(VALU_DEP_4)
	v_pk_mul_f32 v[26:27], v[16:17], v[18:19]
	v_pk_fma_f32 v[16:17], v[16:17], v[18:19], v[14:15]
	s_delay_alu instid0(VALU_DEP_4) | instskip(NEXT) | instid1(VALU_DEP_4)
	v_pk_fma_f32 v[18:19], v[20:21], v[22:23], v[12:13]
	v_pk_fma_f32 v[12:13], v[6:7], v[24:25], v[12:13]
	s_delay_alu instid0(VALU_DEP_4) | instskip(NEXT) | instid1(VALU_DEP_2)
	v_pk_fma_f32 v[14:15], v[4:5], v[26:27], v[14:15]
	v_dual_cndmask_b32 v19, v13, v19 :: v_dual_cndmask_b32 v12, v12, v18
	s_delay_alu instid0(VALU_DEP_2) | instskip(NEXT) | instid1(VALU_DEP_2)
	v_dual_cndmask_b32 v14, v14, v16 :: v_dual_cndmask_b32 v13, v15, v17
	v_cvt_pk_f16_f32 v12, v12, v19
	s_delay_alu instid0(VALU_DEP_2)
	v_cvt_pk_f16_f32 v13, v14, v13
	global_store_b64 v[10:11], v[12:13], off
	s_wait_xcnt 0x0
	s_and_not1_b32 exec_lo, exec_lo, s1
	s_cbranch_execnz .LBB9_32
.LBB9_33:
	s_endpgm
	.section	.rodata,"a",@progbits
	.p2align	6, 0x0
	.amdhsa_kernel _ZN2at6native12_GLOBAL__N_125multi_tensor_apply_kernelINS1_18TensorListMetadataILi4EEENS1_24PointwiseOpScalarFunctorIN3c104HalfELi4ELi3ELi3EEEJSt10multipliesIfEfEEEvT_T0_DpT1_
		.amdhsa_group_segment_fixed_size 0
		.amdhsa_private_segment_fixed_size 0
		.amdhsa_kernarg_size 3312
		.amdhsa_user_sgpr_count 2
		.amdhsa_user_sgpr_dispatch_ptr 0
		.amdhsa_user_sgpr_queue_ptr 0
		.amdhsa_user_sgpr_kernarg_segment_ptr 1
		.amdhsa_user_sgpr_dispatch_id 0
		.amdhsa_user_sgpr_kernarg_preload_length 0
		.amdhsa_user_sgpr_kernarg_preload_offset 0
		.amdhsa_user_sgpr_private_segment_size 0
		.amdhsa_wavefront_size32 1
		.amdhsa_uses_dynamic_stack 0
		.amdhsa_enable_private_segment 0
		.amdhsa_system_sgpr_workgroup_id_x 1
		.amdhsa_system_sgpr_workgroup_id_y 0
		.amdhsa_system_sgpr_workgroup_id_z 0
		.amdhsa_system_sgpr_workgroup_info 0
		.amdhsa_system_vgpr_workitem_id 0
		.amdhsa_next_free_vgpr 59
		.amdhsa_next_free_sgpr 26
		.amdhsa_named_barrier_count 0
		.amdhsa_reserve_vcc 1
		.amdhsa_float_round_mode_32 0
		.amdhsa_float_round_mode_16_64 0
		.amdhsa_float_denorm_mode_32 3
		.amdhsa_float_denorm_mode_16_64 3
		.amdhsa_fp16_overflow 0
		.amdhsa_memory_ordered 1
		.amdhsa_forward_progress 1
		.amdhsa_inst_pref_size 15
		.amdhsa_round_robin_scheduling 0
		.amdhsa_exception_fp_ieee_invalid_op 0
		.amdhsa_exception_fp_denorm_src 0
		.amdhsa_exception_fp_ieee_div_zero 0
		.amdhsa_exception_fp_ieee_overflow 0
		.amdhsa_exception_fp_ieee_underflow 0
		.amdhsa_exception_fp_ieee_inexact 0
		.amdhsa_exception_int_div_zero 0
	.end_amdhsa_kernel
	.section	.text._ZN2at6native12_GLOBAL__N_125multi_tensor_apply_kernelINS1_18TensorListMetadataILi4EEENS1_24PointwiseOpScalarFunctorIN3c104HalfELi4ELi3ELi3EEEJSt10multipliesIfEfEEEvT_T0_DpT1_,"axG",@progbits,_ZN2at6native12_GLOBAL__N_125multi_tensor_apply_kernelINS1_18TensorListMetadataILi4EEENS1_24PointwiseOpScalarFunctorIN3c104HalfELi4ELi3ELi3EEEJSt10multipliesIfEfEEEvT_T0_DpT1_,comdat
.Lfunc_end9:
	.size	_ZN2at6native12_GLOBAL__N_125multi_tensor_apply_kernelINS1_18TensorListMetadataILi4EEENS1_24PointwiseOpScalarFunctorIN3c104HalfELi4ELi3ELi3EEEJSt10multipliesIfEfEEEvT_T0_DpT1_, .Lfunc_end9-_ZN2at6native12_GLOBAL__N_125multi_tensor_apply_kernelINS1_18TensorListMetadataILi4EEENS1_24PointwiseOpScalarFunctorIN3c104HalfELi4ELi3ELi3EEEJSt10multipliesIfEfEEEvT_T0_DpT1_
                                        ; -- End function
	.set _ZN2at6native12_GLOBAL__N_125multi_tensor_apply_kernelINS1_18TensorListMetadataILi4EEENS1_24PointwiseOpScalarFunctorIN3c104HalfELi4ELi3ELi3EEEJSt10multipliesIfEfEEEvT_T0_DpT1_.num_vgpr, 59
	.set _ZN2at6native12_GLOBAL__N_125multi_tensor_apply_kernelINS1_18TensorListMetadataILi4EEENS1_24PointwiseOpScalarFunctorIN3c104HalfELi4ELi3ELi3EEEJSt10multipliesIfEfEEEvT_T0_DpT1_.num_agpr, 0
	.set _ZN2at6native12_GLOBAL__N_125multi_tensor_apply_kernelINS1_18TensorListMetadataILi4EEENS1_24PointwiseOpScalarFunctorIN3c104HalfELi4ELi3ELi3EEEJSt10multipliesIfEfEEEvT_T0_DpT1_.numbered_sgpr, 26
	.set _ZN2at6native12_GLOBAL__N_125multi_tensor_apply_kernelINS1_18TensorListMetadataILi4EEENS1_24PointwiseOpScalarFunctorIN3c104HalfELi4ELi3ELi3EEEJSt10multipliesIfEfEEEvT_T0_DpT1_.num_named_barrier, 0
	.set _ZN2at6native12_GLOBAL__N_125multi_tensor_apply_kernelINS1_18TensorListMetadataILi4EEENS1_24PointwiseOpScalarFunctorIN3c104HalfELi4ELi3ELi3EEEJSt10multipliesIfEfEEEvT_T0_DpT1_.private_seg_size, 0
	.set _ZN2at6native12_GLOBAL__N_125multi_tensor_apply_kernelINS1_18TensorListMetadataILi4EEENS1_24PointwiseOpScalarFunctorIN3c104HalfELi4ELi3ELi3EEEJSt10multipliesIfEfEEEvT_T0_DpT1_.uses_vcc, 1
	.set _ZN2at6native12_GLOBAL__N_125multi_tensor_apply_kernelINS1_18TensorListMetadataILi4EEENS1_24PointwiseOpScalarFunctorIN3c104HalfELi4ELi3ELi3EEEJSt10multipliesIfEfEEEvT_T0_DpT1_.uses_flat_scratch, 0
	.set _ZN2at6native12_GLOBAL__N_125multi_tensor_apply_kernelINS1_18TensorListMetadataILi4EEENS1_24PointwiseOpScalarFunctorIN3c104HalfELi4ELi3ELi3EEEJSt10multipliesIfEfEEEvT_T0_DpT1_.has_dyn_sized_stack, 0
	.set _ZN2at6native12_GLOBAL__N_125multi_tensor_apply_kernelINS1_18TensorListMetadataILi4EEENS1_24PointwiseOpScalarFunctorIN3c104HalfELi4ELi3ELi3EEEJSt10multipliesIfEfEEEvT_T0_DpT1_.has_recursion, 0
	.set _ZN2at6native12_GLOBAL__N_125multi_tensor_apply_kernelINS1_18TensorListMetadataILi4EEENS1_24PointwiseOpScalarFunctorIN3c104HalfELi4ELi3ELi3EEEJSt10multipliesIfEfEEEvT_T0_DpT1_.has_indirect_call, 0
	.section	.AMDGPU.csdata,"",@progbits
; Kernel info:
; codeLenInByte = 1868
; TotalNumSgprs: 28
; NumVgprs: 59
; ScratchSize: 0
; MemoryBound: 0
; FloatMode: 240
; IeeeMode: 1
; LDSByteSize: 0 bytes/workgroup (compile time only)
; SGPRBlocks: 0
; VGPRBlocks: 3
; NumSGPRsForWavesPerEU: 28
; NumVGPRsForWavesPerEU: 59
; NamedBarCnt: 0
; Occupancy: 16
; WaveLimiterHint : 0
; COMPUTE_PGM_RSRC2:SCRATCH_EN: 0
; COMPUTE_PGM_RSRC2:USER_SGPR: 2
; COMPUTE_PGM_RSRC2:TRAP_HANDLER: 0
; COMPUTE_PGM_RSRC2:TGID_X_EN: 1
; COMPUTE_PGM_RSRC2:TGID_Y_EN: 0
; COMPUTE_PGM_RSRC2:TGID_Z_EN: 0
; COMPUTE_PGM_RSRC2:TIDIG_COMP_CNT: 0
	.section	.text._ZN2at6native12_GLOBAL__N_125multi_tensor_apply_kernelINS1_18TensorListMetadataILi4EEENS1_24PointwiseOpScalarFunctorIN3c108BFloat16ELi4ELi3ELi3EEEJSt10multipliesIfEfEEEvT_T0_DpT1_,"axG",@progbits,_ZN2at6native12_GLOBAL__N_125multi_tensor_apply_kernelINS1_18TensorListMetadataILi4EEENS1_24PointwiseOpScalarFunctorIN3c108BFloat16ELi4ELi3ELi3EEEJSt10multipliesIfEfEEEvT_T0_DpT1_,comdat
	.globl	_ZN2at6native12_GLOBAL__N_125multi_tensor_apply_kernelINS1_18TensorListMetadataILi4EEENS1_24PointwiseOpScalarFunctorIN3c108BFloat16ELi4ELi3ELi3EEEJSt10multipliesIfEfEEEvT_T0_DpT1_ ; -- Begin function _ZN2at6native12_GLOBAL__N_125multi_tensor_apply_kernelINS1_18TensorListMetadataILi4EEENS1_24PointwiseOpScalarFunctorIN3c108BFloat16ELi4ELi3ELi3EEEJSt10multipliesIfEfEEEvT_T0_DpT1_
	.p2align	8
	.type	_ZN2at6native12_GLOBAL__N_125multi_tensor_apply_kernelINS1_18TensorListMetadataILi4EEENS1_24PointwiseOpScalarFunctorIN3c108BFloat16ELi4ELi3ELi3EEEJSt10multipliesIfEfEEEvT_T0_DpT1_,@function
_ZN2at6native12_GLOBAL__N_125multi_tensor_apply_kernelINS1_18TensorListMetadataILi4EEENS1_24PointwiseOpScalarFunctorIN3c108BFloat16ELi4ELi3ELi3EEEJSt10multipliesIfEfEEEvT_T0_DpT1_: ; @_ZN2at6native12_GLOBAL__N_125multi_tensor_apply_kernelINS1_18TensorListMetadataILi4EEENS1_24PointwiseOpScalarFunctorIN3c108BFloat16ELi4ELi3ELi3EEEJSt10multipliesIfEfEEEvT_T0_DpT1_
; %bb.0:
	s_bfe_u32 s2, ttmp6, 0x4000c
	s_and_b32 s3, ttmp6, 15
	s_add_co_i32 s2, s2, 1
	s_getreg_b32 s4, hwreg(HW_REG_IB_STS2, 6, 4)
	s_mul_i32 s2, ttmp9, s2
	s_delay_alu instid0(SALU_CYCLE_1)
	s_add_co_i32 s3, s3, s2
	s_cmp_eq_u32 s4, 0
	s_cselect_b32 s2, ttmp9, s3
	s_mov_b32 s3, 0
	s_load_u8 s14, s[0:1], s2 offset:0x5a0
	s_add_nc_u64 s[4:5], s[0:1], s[2:3]
	s_mul_u64 s[6:7], s[2:3], 3
	s_delay_alu instid0(SALU_CYCLE_1)
	s_add_nc_u64 s[4:5], s[4:5], s[6:7]
	s_load_b32 s18, s[4:5], 0x6e0
	s_wait_kmcnt 0x0
	s_clause 0x4
	s_load_b64 s[6:7], s[0:1], s14 offset:0x120 scale_offset
	s_load_b64 s[8:9], s[0:1], s14 offset:0x0 scale_offset
	;; [unrolled: 1-line block ×5, first 2 shown]
	s_ashr_i32 s19, s18, 31
	s_wait_xcnt 0x0
	s_lshl_b64 s[14:15], s[18:19], 17
	s_wait_kmcnt 0x0
	s_add_nc_u64 s[4:5], s[6:7], s[14:15]
	s_add_nc_u64 s[16:17], s[10:11], s[14:15]
	s_and_b32 s2, s4, 7
	s_and_b64 s[4:5], s[8:9], 7
	s_cmp_eq_u64 s[2:3], 0
	s_cselect_b32 s17, -1, 0
	s_or_b32 s2, s12, s16
	s_load_b32 s16, s[0:1], 0xbec
	s_and_b32 s2, s2, 7
	s_delay_alu instid0(SALU_CYCLE_1)
	s_cmp_eq_u32 s2, 0
	s_cselect_b32 s22, -1, 0
	s_and_b32 s2, s20, 3
	s_and_b32 s17, s22, s17
	s_or_b64 s[2:3], s[4:5], s[2:3]
	s_lshl_b64 s[4:5], s[18:19], 16
	s_cmp_eq_u64 s[2:3], 0
	s_sub_nc_u64 s[18:19], s[20:21], s[4:5]
	s_cselect_b32 s2, -1, 0
	s_delay_alu instid0(SALU_CYCLE_1) | instskip(NEXT) | instid1(SALU_CYCLE_1)
	s_and_b32 s2, s17, s2
	s_and_b32 vcc_lo, exec_lo, s2
	s_mov_b32 s2, -1
	s_cbranch_vccnz .LBB10_29
; %bb.1:
	v_cmp_lt_i64_e64 s2, s[18:19], 1
	s_and_b32 vcc_lo, exec_lo, s2
	s_cbranch_vccnz .LBB10_28
; %bb.2:
	s_load_b32 s2, s[0:1], 0xbfc
	v_min_i64 v[2:3], 0x10000, s[18:19]
	v_min_u64 v[4:5], 0x10000, s[18:19]
	v_dual_mov_b32 v1, 0 :: v_dual_lshlrev_b32 v20, 1, v0
	s_mov_b32 s23, 0
	s_mov_b64 s[24:25], 0
	s_mov_b32 s3, s23
	s_delay_alu instid0(VALU_DEP_1) | instskip(SKIP_2) | instid1(VALU_DEP_1)
	v_dual_mov_b32 v21, v1 :: v_dual_mov_b32 v43, v1
	s_mov_b32 s21, s23
	s_mov_b32 s5, s23
	v_add_nc_u64_e32 v[6:7], s[8:9], v[20:21]
	v_add_nc_u64_e32 v[8:9], s[6:7], v[20:21]
	;; [unrolled: 1-line block ×4, first 2 shown]
	s_wait_kmcnt 0x0
	s_and_b32 s22, s2, 0xffff
	s_delay_alu instid0(SALU_CYCLE_1)
	s_lshl_b32 s4, s22, 1
	s_cmp_eq_f32 s16, 1.0
	v_add_nc_u64_e32 v[12:13], s[22:23], v[0:1]
	v_mad_nc_u64_u32 v[26:27], s22, 6, v[20:21]
	s_mul_i32 s2, s22, 3
	v_add_nc_u64_e32 v[18:19], s[4:5], v[0:1]
	v_add_nc_u64_e32 v[16:17], s[2:3], v[0:1]
	s_cselect_b32 s2, -1, 0
	s_lshl_b32 s20, s22, 2
	v_lshlrev_b32_e32 v42, 1, v12
	v_add_nc_u64_e32 v[38:39], s[20:21], v[20:21]
	s_lshl_b32 s22, s22, 3
	v_add_nc_u64_e32 v[20:21], s[8:9], v[26:27]
	v_add_nc_u64_e32 v[22:23], s[6:7], v[26:27]
	;; [unrolled: 1-line block ×12, first 2 shown]
	s_branch .LBB10_4
.LBB10_3:                               ;   in Loop: Header=BB10_4 Depth=1
	s_wait_xcnt 0x0
	s_or_b32 exec_lo, exec_lo, s3
	s_add_nc_u64 s[24:25], s[24:25], s[20:21]
	v_add_nc_u64_e32 v[6:7], s[22:23], v[6:7]
	v_cmp_lt_i64_e32 vcc_lo, s[24:25], v[2:3]
	v_add_nc_u64_e32 v[8:9], s[22:23], v[8:9]
	v_add_nc_u64_e32 v[10:11], s[22:23], v[10:11]
	;; [unrolled: 1-line block ×15, first 2 shown]
	s_cbranch_vccz .LBB10_28
.LBB10_4:                               ; =>This Inner Loop Header: Depth=1
	v_add_nc_u64_e32 v[44:45], s[24:25], v[0:1]
	s_delay_alu instid0(VALU_DEP_1)
	v_cmp_lt_u64_e32 vcc_lo, v[44:45], v[4:5]
	v_dual_mov_b32 v45, 0 :: v_dual_mov_b32 v44, 0
	s_and_saveexec_b32 s3, vcc_lo
	s_cbranch_execz .LBB10_6
; %bb.5:                                ;   in Loop: Header=BB10_4 Depth=1
	v_add_nc_u64_e32 v[44:45], s[14:15], v[8:9]
	v_add_nc_u64_e32 v[46:47], s[14:15], v[6:7]
	global_load_u16 v48, v[44:45], off
	global_load_u16 v49, v[46:47], off
	s_wait_loadcnt 0x0
	s_wait_xcnt 0x1
	v_dual_lshlrev_b32 v45, 16, v48 :: v_dual_lshlrev_b32 v44, 16, v49
.LBB10_6:                               ;   in Loop: Header=BB10_4 Depth=1
	s_wait_xcnt 0x0
	s_or_b32 exec_lo, exec_lo, s3
	v_dual_mov_b32 v46, 0 :: v_dual_mov_b32 v48, 0
	s_and_saveexec_b32 s3, vcc_lo
	s_cbranch_execz .LBB10_8
; %bb.7:                                ;   in Loop: Header=BB10_4 Depth=1
	v_add_nc_u64_e32 v[48:49], s[14:15], v[10:11]
	global_load_u16 v47, v[48:49], off
	s_wait_loadcnt 0x0
	s_wait_xcnt 0x0
	v_lshlrev_b32_e32 v48, 16, v47
.LBB10_8:                               ;   in Loop: Header=BB10_4 Depth=1
	s_or_b32 exec_lo, exec_lo, s3
	v_add_nc_u64_e32 v[50:51], s[24:25], v[12:13]
	v_mov_b32_e32 v47, 0
	s_delay_alu instid0(VALU_DEP_2)
	v_cmp_lt_u64_e64 s3, v[50:51], v[4:5]
	s_and_saveexec_b32 s4, s3
	s_cbranch_execz .LBB10_10
; %bb.9:                                ;   in Loop: Header=BB10_4 Depth=1
	v_add_nc_u64_e32 v[46:47], s[14:15], v[30:31]
	v_add_nc_u64_e32 v[50:51], s[14:15], v[28:29]
	global_load_u16 v49, v[46:47], off
	global_load_u16 v52, v[50:51], off
	s_wait_loadcnt 0x0
	s_wait_xcnt 0x1
	v_dual_lshlrev_b32 v46, 16, v49 :: v_dual_lshlrev_b32 v47, 16, v52
.LBB10_10:                              ;   in Loop: Header=BB10_4 Depth=1
	s_wait_xcnt 0x0
	s_or_b32 exec_lo, exec_lo, s4
	v_dual_mov_b32 v49, 0 :: v_dual_mov_b32 v51, 0
	s_and_saveexec_b32 s4, s3
	s_cbranch_execz .LBB10_12
; %bb.11:                               ;   in Loop: Header=BB10_4 Depth=1
	v_add_nc_u64_e32 v[50:51], s[14:15], v[40:41]
	global_load_u16 v50, v[50:51], off
	s_wait_loadcnt 0x0
	s_wait_xcnt 0x0
	v_lshlrev_b32_e32 v51, 16, v50
.LBB10_12:                              ;   in Loop: Header=BB10_4 Depth=1
	s_or_b32 exec_lo, exec_lo, s4
	v_add_nc_u64_e32 v[52:53], s[24:25], v[18:19]
	v_mov_b32_e32 v50, 0
	s_delay_alu instid0(VALU_DEP_2)
	v_cmp_lt_u64_e64 s4, v[52:53], v[4:5]
	s_and_saveexec_b32 s5, s4
	s_cbranch_execz .LBB10_14
; %bb.13:                               ;   in Loop: Header=BB10_4 Depth=1
	v_add_nc_u64_e32 v[52:53], s[14:15], v[34:35]
	v_add_nc_u64_e32 v[54:55], s[14:15], v[32:33]
	global_load_u16 v49, v[52:53], off
	global_load_u16 v50, v[54:55], off
	s_wait_loadcnt 0x0
	v_dual_lshlrev_b32 v49, 16, v49 :: v_dual_lshlrev_b32 v50, 16, v50
.LBB10_14:                              ;   in Loop: Header=BB10_4 Depth=1
	s_wait_xcnt 0x0
	s_or_b32 exec_lo, exec_lo, s5
	v_dual_mov_b32 v52, 0 :: v_dual_mov_b32 v53, 0
	s_and_saveexec_b32 s5, s4
	s_cbranch_execz .LBB10_16
; %bb.15:                               ;   in Loop: Header=BB10_4 Depth=1
	v_add_nc_u64_e32 v[54:55], s[14:15], v[36:37]
	global_load_u16 v53, v[54:55], off
	s_wait_loadcnt 0x0
	v_lshlrev_b32_e32 v53, 16, v53
.LBB10_16:                              ;   in Loop: Header=BB10_4 Depth=1
	s_wait_xcnt 0x0
	s_or_b32 exec_lo, exec_lo, s5
	v_add_nc_u64_e32 v[54:55], s[24:25], v[16:17]
	s_delay_alu instid0(VALU_DEP_1)
	v_cmp_lt_u64_e64 s5, v[54:55], v[4:5]
	v_mov_b32_e32 v54, 0
	s_and_saveexec_b32 s17, s5
	s_cbranch_execnz .LBB10_22
; %bb.17:                               ;   in Loop: Header=BB10_4 Depth=1
	s_or_b32 exec_lo, exec_lo, s17
	v_mov_b32_e32 v55, 0
	s_and_saveexec_b32 s17, s5
	s_cbranch_execnz .LBB10_23
.LBB10_18:                              ;   in Loop: Header=BB10_4 Depth=1
	s_or_b32 exec_lo, exec_lo, s17
	s_and_saveexec_b32 s17, vcc_lo
	s_cbranch_execnz .LBB10_24
.LBB10_19:                              ;   in Loop: Header=BB10_4 Depth=1
	s_or_b32 exec_lo, exec_lo, s17
	s_and_saveexec_b32 s17, s3
	s_cbranch_execnz .LBB10_25
.LBB10_20:                              ;   in Loop: Header=BB10_4 Depth=1
	s_or_b32 exec_lo, exec_lo, s17
	s_and_saveexec_b32 s3, s4
	s_cbranch_execnz .LBB10_26
.LBB10_21:                              ;   in Loop: Header=BB10_4 Depth=1
	s_or_b32 exec_lo, exec_lo, s3
	s_and_saveexec_b32 s3, s5
	s_cbranch_execz .LBB10_3
	s_branch .LBB10_27
.LBB10_22:                              ;   in Loop: Header=BB10_4 Depth=1
	v_add_nc_u64_e32 v[54:55], s[14:15], v[22:23]
	v_add_nc_u64_e32 v[56:57], s[14:15], v[20:21]
	global_load_u16 v52, v[54:55], off
	global_load_u16 v58, v[56:57], off
	s_wait_loadcnt 0x0
	s_wait_xcnt 0x1
	v_dual_lshlrev_b32 v52, 16, v52 :: v_dual_lshlrev_b32 v54, 16, v58
	s_wait_xcnt 0x0
	s_or_b32 exec_lo, exec_lo, s17
	v_mov_b32_e32 v55, 0
	s_and_saveexec_b32 s17, s5
	s_cbranch_execz .LBB10_18
.LBB10_23:                              ;   in Loop: Header=BB10_4 Depth=1
	v_add_nc_u64_e32 v[56:57], s[14:15], v[24:25]
	global_load_u16 v55, v[56:57], off
	s_wait_loadcnt 0x0
	v_lshlrev_b32_e32 v55, 16, v55
	s_wait_xcnt 0x0
	s_or_b32 exec_lo, exec_lo, s17
	s_and_saveexec_b32 s17, vcc_lo
	s_cbranch_execz .LBB10_19
.LBB10_24:                              ;   in Loop: Header=BB10_4 Depth=1
	v_dual_mul_f32 v56, v45, v48 :: v_dual_fma_f32 v45, v45, v48, v44
	s_delay_alu instid0(VALU_DEP_1) | instskip(NEXT) | instid1(VALU_DEP_1)
	v_fmac_f32_e32 v44, s16, v56
	v_cndmask_b32_e64 v48, v44, v45, s2
	s_delay_alu instid0(VALU_DEP_1) | instskip(NEXT) | instid1(VALU_DEP_1)
	v_bfe_u32 v44, v48, 16, 1
	v_add3_u32 v44, v48, v44, 0x7fff
	s_delay_alu instid0(VALU_DEP_1) | instskip(SKIP_2) | instid1(VALU_DEP_3)
	v_lshrrev_b32_e32 v56, 16, v44
	v_cmp_o_f32_e32 vcc_lo, v48, v48
	v_add_nc_u64_e32 v[44:45], s[14:15], v[14:15]
	v_cndmask_b32_e32 v48, 0x7fc0, v56, vcc_lo
	global_store_b16 v[44:45], v48, off
	s_wait_xcnt 0x0
	s_or_b32 exec_lo, exec_lo, s17
	s_and_saveexec_b32 s17, s3
	s_cbranch_execz .LBB10_20
.LBB10_25:                              ;   in Loop: Header=BB10_4 Depth=1
	v_dual_mul_f32 v44, v46, v51 :: v_dual_fma_f32 v45, v46, v51, v47
	s_delay_alu instid0(VALU_DEP_1) | instskip(NEXT) | instid1(VALU_DEP_1)
	v_fmac_f32_e32 v47, s16, v44
	v_cndmask_b32_e64 v46, v47, v45, s2
	s_delay_alu instid0(VALU_DEP_1) | instskip(NEXT) | instid1(VALU_DEP_1)
	v_bfe_u32 v44, v46, 16, 1
	v_add3_u32 v44, v46, v44, 0x7fff
	s_delay_alu instid0(VALU_DEP_1) | instskip(SKIP_2) | instid1(VALU_DEP_3)
	v_lshrrev_b32_e32 v47, 16, v44
	v_cmp_o_f32_e32 vcc_lo, v46, v46
	v_add_nc_u64_e32 v[44:45], s[14:15], v[42:43]
	v_cndmask_b32_e32 v46, 0x7fc0, v47, vcc_lo
	global_store_b16 v[44:45], v46, off
	s_wait_xcnt 0x0
	s_or_b32 exec_lo, exec_lo, s17
	s_and_saveexec_b32 s3, s4
	s_cbranch_execz .LBB10_21
.LBB10_26:                              ;   in Loop: Header=BB10_4 Depth=1
	v_dual_mul_f32 v44, v49, v53 :: v_dual_fma_f32 v45, v49, v53, v50
	s_delay_alu instid0(VALU_DEP_1) | instskip(NEXT) | instid1(VALU_DEP_1)
	v_fmac_f32_e32 v50, s16, v44
	v_cndmask_b32_e64 v46, v50, v45, s2
	s_delay_alu instid0(VALU_DEP_1) | instskip(SKIP_1) | instid1(VALU_DEP_2)
	v_bfe_u32 v44, v46, 16, 1
	v_cmp_o_f32_e32 vcc_lo, v46, v46
	v_add3_u32 v44, v46, v44, 0x7fff
	s_delay_alu instid0(VALU_DEP_1) | instskip(SKIP_1) | instid1(VALU_DEP_2)
	v_lshrrev_b32_e32 v47, 16, v44
	v_add_nc_u64_e32 v[44:45], s[14:15], v[38:39]
	v_cndmask_b32_e32 v46, 0x7fc0, v47, vcc_lo
	global_store_b16 v[44:45], v46, off
	s_wait_xcnt 0x0
	s_or_b32 exec_lo, exec_lo, s3
	s_and_saveexec_b32 s3, s5
	s_cbranch_execz .LBB10_3
.LBB10_27:                              ;   in Loop: Header=BB10_4 Depth=1
	v_dual_mul_f32 v44, v52, v55 :: v_dual_fma_f32 v45, v52, v55, v54
	s_delay_alu instid0(VALU_DEP_1) | instskip(NEXT) | instid1(VALU_DEP_1)
	v_fmac_f32_e32 v54, s16, v44
	v_cndmask_b32_e64 v46, v54, v45, s2
	s_delay_alu instid0(VALU_DEP_1) | instskip(SKIP_1) | instid1(VALU_DEP_2)
	v_bfe_u32 v44, v46, 16, 1
	v_cmp_o_f32_e32 vcc_lo, v46, v46
	v_add3_u32 v44, v46, v44, 0x7fff
	s_delay_alu instid0(VALU_DEP_1) | instskip(SKIP_1) | instid1(VALU_DEP_2)
	v_lshrrev_b32_e32 v47, 16, v44
	v_add_nc_u64_e32 v[44:45], s[14:15], v[26:27]
	v_cndmask_b32_e32 v46, 0x7fc0, v47, vcc_lo
	global_store_b16 v[44:45], v46, off
	s_branch .LBB10_3
.LBB10_28:
	s_mov_b32 s2, 0
.LBB10_29:
	s_delay_alu instid0(SALU_CYCLE_1)
	s_and_not1_b32 vcc_lo, exec_lo, s2
	s_cbranch_vccnz .LBB10_33
; %bb.30:
	v_min_i64 v[2:3], 0x10000, s[18:19]
	v_dual_mov_b32 v7, 0 :: v_dual_lshlrev_b32 v6, 2, v0
	s_mov_b32 s2, exec_lo
	s_delay_alu instid0(VALU_DEP_1)
	v_cmpx_lt_i64_e64 v[6:7], v[2:3]
	s_cbranch_execz .LBB10_33
; %bb.31:
	s_wait_xcnt 0x0
	s_load_b32 s0, s[0:1], 0xbfc
	v_dual_mov_b32 v1, v7 :: v_dual_lshlrev_b32 v6, 3, v0
	s_wait_kmcnt 0x0
	s_mov_b32 s17, s16
	s_cmp_eq_f32 s16, 1.0
	v_mov_b64_e32 v[4:5], s[16:17]
	s_mov_b32 s3, 0
	v_add_nc_u64_e32 v[6:7], s[14:15], v[6:7]
	s_cselect_b32 vcc_lo, -1, 0
	s_mov_b32 s5, s3
	s_mov_b32 s14, s3
	s_and_b32 s2, s0, 0xffff
	s_delay_alu instid0(SALU_CYCLE_1)
	s_lshl_b32 s4, s2, 3
.LBB10_32:                              ; =>This Inner Loop Header: Depth=1
	s_delay_alu instid0(VALU_DEP_1)
	v_add_nc_u64_e32 v[8:9], s[6:7], v[6:7]
	v_add_nc_u64_e32 v[10:11], s[10:11], v[6:7]
	v_add_nc_u64_e32 v[12:13], s[8:9], v[6:7]
	v_add_nc_u64_e32 v[0:1], s[2:3], v[0:1]
	global_load_b64 v[14:15], v[8:9], off
	global_load_b64 v[16:17], v[10:11], off
	;; [unrolled: 1-line block ×3, first 2 shown]
	s_wait_xcnt 0x2
	v_lshlrev_b64_e32 v[8:9], 2, v[0:1]
	s_wait_loadcnt 0x2
	s_wait_xcnt 0x0
	v_lshlrev_b32_e32 v13, 16, v14
	v_and_b32_e32 v12, 0xffff0000, v14
	s_wait_loadcnt 0x0
	v_dual_lshlrev_b32 v11, 16, v18 :: v_dual_lshlrev_b32 v21, 16, v16
	v_and_b32_e32 v10, 0xffff0000, v18
	v_and_b32_e32 v20, 0xffff0000, v16
	v_alignbit_b32 v24, v19, v18, 16
	v_and_b32_e32 v18, 0xffff0000, v19
	v_alignbit_b32 v19, v15, v14, 16
	v_alignbit_b32 v25, v17, v16, 16
	v_and_b32_e32 v14, 0xffff0000, v15
	v_and_b32_e32 v16, 0xffff0000, v17
	v_pk_mul_f32 v[22:23], v[12:13], v[20:21]
	v_and_b32_e32 v15, 0xffff0000, v19
	v_and_b32_e32 v17, 0xffff0000, v25
	v_pk_fma_f32 v[12:13], v[12:13], v[20:21], v[10:11]
	v_and_b32_e32 v19, 0xffff0000, v24
	v_pk_fma_f32 v[10:11], v[4:5], v[22:23], v[10:11]
	s_delay_alu instid0(VALU_DEP_4) | instskip(NEXT) | instid1(VALU_DEP_3)
	v_pk_mul_f32 v[20:21], v[14:15], v[16:17]
	v_pk_fma_f32 v[14:15], v[14:15], v[16:17], v[18:19]
	s_delay_alu instid0(VALU_DEP_3) | instskip(NEXT) | instid1(VALU_DEP_3)
	v_dual_cndmask_b32 v13, v11, v13 :: v_dual_cndmask_b32 v12, v10, v12
	v_pk_fma_f32 v[10:11], v[4:5], v[20:21], v[18:19]
	s_delay_alu instid0(VALU_DEP_2) | instskip(NEXT) | instid1(VALU_DEP_2)
	v_bfe_u32 v17, v12, 16, 1
	v_cndmask_b32_e32 v11, v11, v15, vcc_lo
	s_delay_alu instid0(VALU_DEP_4) | instskip(NEXT) | instid1(VALU_DEP_4)
	v_bfe_u32 v16, v13, 16, 1
	v_cndmask_b32_e32 v10, v10, v14, vcc_lo
	v_cmp_o_f32_e64 s0, v12, v12
	v_add3_u32 v15, v12, v17, 0x7fff
	v_cmp_o_f32_e64 s1, v13, v13
	v_add3_u32 v14, v13, v16, 0x7fff
	v_bfe_u32 v16, v11, 16, 1
	s_delay_alu instid0(VALU_DEP_4) | instskip(NEXT) | instid1(VALU_DEP_3)
	v_and_b32_e32 v15, 0xffff0000, v15
	v_lshrrev_b32_e32 v14, 16, v14
	v_bfe_u32 v17, v10, 16, 1
	s_delay_alu instid0(VALU_DEP_4) | instskip(NEXT) | instid1(VALU_DEP_4)
	v_add3_u32 v16, v11, v16, 0x7fff
	v_cndmask_b32_e64 v15, 0x7fc00000, v15, s0
	v_cmp_o_f32_e64 s0, v10, v10
	v_cndmask_b32_e64 v12, 0x7fc0, v14, s1
	v_add3_u32 v17, v10, v17, 0x7fff
	v_lshrrev_b32_e32 v13, 16, v16
	v_cmp_o_f32_e64 s1, v11, v11
	s_delay_alu instid0(VALU_DEP_4) | instskip(NEXT) | instid1(VALU_DEP_4)
	v_or_b32_e32 v12, v12, v15
	v_and_b32_e32 v14, 0xffff0000, v17
	s_delay_alu instid0(VALU_DEP_3) | instskip(NEXT) | instid1(VALU_DEP_2)
	v_cndmask_b32_e64 v10, 0x7fc0, v13, s1
	v_cndmask_b32_e64 v11, 0x7fc00000, v14, s0
	v_cmp_ge_i64_e64 s0, v[8:9], v[2:3]
	v_add_nc_u64_e32 v[8:9], s[12:13], v[6:7]
	v_add_nc_u64_e32 v[6:7], s[4:5], v[6:7]
	s_delay_alu instid0(VALU_DEP_4)
	v_or3_b32 v11, 0, v10, v11
	v_or3_b32 v10, v12, 0, 0
	s_or_b32 s14, s0, s14
	global_store_b64 v[8:9], v[10:11], off
	s_wait_xcnt 0x0
	s_and_not1_b32 exec_lo, exec_lo, s14
	s_cbranch_execnz .LBB10_32
.LBB10_33:
	s_endpgm
	.section	.rodata,"a",@progbits
	.p2align	6, 0x0
	.amdhsa_kernel _ZN2at6native12_GLOBAL__N_125multi_tensor_apply_kernelINS1_18TensorListMetadataILi4EEENS1_24PointwiseOpScalarFunctorIN3c108BFloat16ELi4ELi3ELi3EEEJSt10multipliesIfEfEEEvT_T0_DpT1_
		.amdhsa_group_segment_fixed_size 0
		.amdhsa_private_segment_fixed_size 0
		.amdhsa_kernarg_size 3312
		.amdhsa_user_sgpr_count 2
		.amdhsa_user_sgpr_dispatch_ptr 0
		.amdhsa_user_sgpr_queue_ptr 0
		.amdhsa_user_sgpr_kernarg_segment_ptr 1
		.amdhsa_user_sgpr_dispatch_id 0
		.amdhsa_user_sgpr_kernarg_preload_length 0
		.amdhsa_user_sgpr_kernarg_preload_offset 0
		.amdhsa_user_sgpr_private_segment_size 0
		.amdhsa_wavefront_size32 1
		.amdhsa_uses_dynamic_stack 0
		.amdhsa_enable_private_segment 0
		.amdhsa_system_sgpr_workgroup_id_x 1
		.amdhsa_system_sgpr_workgroup_id_y 0
		.amdhsa_system_sgpr_workgroup_id_z 0
		.amdhsa_system_sgpr_workgroup_info 0
		.amdhsa_system_vgpr_workitem_id 0
		.amdhsa_next_free_vgpr 59
		.amdhsa_next_free_sgpr 26
		.amdhsa_named_barrier_count 0
		.amdhsa_reserve_vcc 1
		.amdhsa_float_round_mode_32 0
		.amdhsa_float_round_mode_16_64 0
		.amdhsa_float_denorm_mode_32 3
		.amdhsa_float_denorm_mode_16_64 3
		.amdhsa_fp16_overflow 0
		.amdhsa_memory_ordered 1
		.amdhsa_forward_progress 1
		.amdhsa_inst_pref_size 18
		.amdhsa_round_robin_scheduling 0
		.amdhsa_exception_fp_ieee_invalid_op 0
		.amdhsa_exception_fp_denorm_src 0
		.amdhsa_exception_fp_ieee_div_zero 0
		.amdhsa_exception_fp_ieee_overflow 0
		.amdhsa_exception_fp_ieee_underflow 0
		.amdhsa_exception_fp_ieee_inexact 0
		.amdhsa_exception_int_div_zero 0
	.end_amdhsa_kernel
	.section	.text._ZN2at6native12_GLOBAL__N_125multi_tensor_apply_kernelINS1_18TensorListMetadataILi4EEENS1_24PointwiseOpScalarFunctorIN3c108BFloat16ELi4ELi3ELi3EEEJSt10multipliesIfEfEEEvT_T0_DpT1_,"axG",@progbits,_ZN2at6native12_GLOBAL__N_125multi_tensor_apply_kernelINS1_18TensorListMetadataILi4EEENS1_24PointwiseOpScalarFunctorIN3c108BFloat16ELi4ELi3ELi3EEEJSt10multipliesIfEfEEEvT_T0_DpT1_,comdat
.Lfunc_end10:
	.size	_ZN2at6native12_GLOBAL__N_125multi_tensor_apply_kernelINS1_18TensorListMetadataILi4EEENS1_24PointwiseOpScalarFunctorIN3c108BFloat16ELi4ELi3ELi3EEEJSt10multipliesIfEfEEEvT_T0_DpT1_, .Lfunc_end10-_ZN2at6native12_GLOBAL__N_125multi_tensor_apply_kernelINS1_18TensorListMetadataILi4EEENS1_24PointwiseOpScalarFunctorIN3c108BFloat16ELi4ELi3ELi3EEEJSt10multipliesIfEfEEEvT_T0_DpT1_
                                        ; -- End function
	.set _ZN2at6native12_GLOBAL__N_125multi_tensor_apply_kernelINS1_18TensorListMetadataILi4EEENS1_24PointwiseOpScalarFunctorIN3c108BFloat16ELi4ELi3ELi3EEEJSt10multipliesIfEfEEEvT_T0_DpT1_.num_vgpr, 59
	.set _ZN2at6native12_GLOBAL__N_125multi_tensor_apply_kernelINS1_18TensorListMetadataILi4EEENS1_24PointwiseOpScalarFunctorIN3c108BFloat16ELi4ELi3ELi3EEEJSt10multipliesIfEfEEEvT_T0_DpT1_.num_agpr, 0
	.set _ZN2at6native12_GLOBAL__N_125multi_tensor_apply_kernelINS1_18TensorListMetadataILi4EEENS1_24PointwiseOpScalarFunctorIN3c108BFloat16ELi4ELi3ELi3EEEJSt10multipliesIfEfEEEvT_T0_DpT1_.numbered_sgpr, 26
	.set _ZN2at6native12_GLOBAL__N_125multi_tensor_apply_kernelINS1_18TensorListMetadataILi4EEENS1_24PointwiseOpScalarFunctorIN3c108BFloat16ELi4ELi3ELi3EEEJSt10multipliesIfEfEEEvT_T0_DpT1_.num_named_barrier, 0
	.set _ZN2at6native12_GLOBAL__N_125multi_tensor_apply_kernelINS1_18TensorListMetadataILi4EEENS1_24PointwiseOpScalarFunctorIN3c108BFloat16ELi4ELi3ELi3EEEJSt10multipliesIfEfEEEvT_T0_DpT1_.private_seg_size, 0
	.set _ZN2at6native12_GLOBAL__N_125multi_tensor_apply_kernelINS1_18TensorListMetadataILi4EEENS1_24PointwiseOpScalarFunctorIN3c108BFloat16ELi4ELi3ELi3EEEJSt10multipliesIfEfEEEvT_T0_DpT1_.uses_vcc, 1
	.set _ZN2at6native12_GLOBAL__N_125multi_tensor_apply_kernelINS1_18TensorListMetadataILi4EEENS1_24PointwiseOpScalarFunctorIN3c108BFloat16ELi4ELi3ELi3EEEJSt10multipliesIfEfEEEvT_T0_DpT1_.uses_flat_scratch, 0
	.set _ZN2at6native12_GLOBAL__N_125multi_tensor_apply_kernelINS1_18TensorListMetadataILi4EEENS1_24PointwiseOpScalarFunctorIN3c108BFloat16ELi4ELi3ELi3EEEJSt10multipliesIfEfEEEvT_T0_DpT1_.has_dyn_sized_stack, 0
	.set _ZN2at6native12_GLOBAL__N_125multi_tensor_apply_kernelINS1_18TensorListMetadataILi4EEENS1_24PointwiseOpScalarFunctorIN3c108BFloat16ELi4ELi3ELi3EEEJSt10multipliesIfEfEEEvT_T0_DpT1_.has_recursion, 0
	.set _ZN2at6native12_GLOBAL__N_125multi_tensor_apply_kernelINS1_18TensorListMetadataILi4EEENS1_24PointwiseOpScalarFunctorIN3c108BFloat16ELi4ELi3ELi3EEEJSt10multipliesIfEfEEEvT_T0_DpT1_.has_indirect_call, 0
	.section	.AMDGPU.csdata,"",@progbits
; Kernel info:
; codeLenInByte = 2244
; TotalNumSgprs: 28
; NumVgprs: 59
; ScratchSize: 0
; MemoryBound: 0
; FloatMode: 240
; IeeeMode: 1
; LDSByteSize: 0 bytes/workgroup (compile time only)
; SGPRBlocks: 0
; VGPRBlocks: 3
; NumSGPRsForWavesPerEU: 28
; NumVGPRsForWavesPerEU: 59
; NamedBarCnt: 0
; Occupancy: 16
; WaveLimiterHint : 0
; COMPUTE_PGM_RSRC2:SCRATCH_EN: 0
; COMPUTE_PGM_RSRC2:USER_SGPR: 2
; COMPUTE_PGM_RSRC2:TRAP_HANDLER: 0
; COMPUTE_PGM_RSRC2:TGID_X_EN: 1
; COMPUTE_PGM_RSRC2:TGID_Y_EN: 0
; COMPUTE_PGM_RSRC2:TGID_Z_EN: 0
; COMPUTE_PGM_RSRC2:TIDIG_COMP_CNT: 0
	.section	.text._ZN2at6native12_GLOBAL__N_125multi_tensor_apply_kernelINS1_18TensorListMetadataILi4EEENS1_32PointwiseOpScalar0dTensorFunctorIhLi4ELi2ELi3EEEJSt10multipliesIhEhEEEvT_T0_DpT1_,"axG",@progbits,_ZN2at6native12_GLOBAL__N_125multi_tensor_apply_kernelINS1_18TensorListMetadataILi4EEENS1_32PointwiseOpScalar0dTensorFunctorIhLi4ELi2ELi3EEEJSt10multipliesIhEhEEEvT_T0_DpT1_,comdat
	.globl	_ZN2at6native12_GLOBAL__N_125multi_tensor_apply_kernelINS1_18TensorListMetadataILi4EEENS1_32PointwiseOpScalar0dTensorFunctorIhLi4ELi2ELi3EEEJSt10multipliesIhEhEEEvT_T0_DpT1_ ; -- Begin function _ZN2at6native12_GLOBAL__N_125multi_tensor_apply_kernelINS1_18TensorListMetadataILi4EEENS1_32PointwiseOpScalar0dTensorFunctorIhLi4ELi2ELi3EEEJSt10multipliesIhEhEEEvT_T0_DpT1_
	.p2align	8
	.type	_ZN2at6native12_GLOBAL__N_125multi_tensor_apply_kernelINS1_18TensorListMetadataILi4EEENS1_32PointwiseOpScalar0dTensorFunctorIhLi4ELi2ELi3EEEJSt10multipliesIhEhEEEvT_T0_DpT1_,@function
_ZN2at6native12_GLOBAL__N_125multi_tensor_apply_kernelINS1_18TensorListMetadataILi4EEENS1_32PointwiseOpScalar0dTensorFunctorIhLi4ELi2ELi3EEEJSt10multipliesIhEhEEEvT_T0_DpT1_: ; @_ZN2at6native12_GLOBAL__N_125multi_tensor_apply_kernelINS1_18TensorListMetadataILi4EEENS1_32PointwiseOpScalar0dTensorFunctorIhLi4ELi2ELi3EEEJSt10multipliesIhEhEEEvT_T0_DpT1_
; %bb.0:
	s_bfe_u32 s2, ttmp6, 0x4000c
	s_and_b32 s3, ttmp6, 15
	s_add_co_i32 s2, s2, 1
	s_getreg_b32 s4, hwreg(HW_REG_IB_STS2, 6, 4)
	s_mul_i32 s2, ttmp9, s2
	s_mov_b32 s11, 0
	s_add_co_i32 s3, s3, s2
	s_cmp_eq_u32 s4, 0
	v_mov_b32_e32 v5, 0
	s_cselect_b32 s10, ttmp9, s3
	s_clause 0x1
	s_load_b32 s16, s[0:1], 0xbe8
	s_load_u8 s9, s[0:1], s10 offset:0x5a0
	s_add_nc_u64 s[2:3], s[0:1], s[10:11]
	s_mul_u64 s[4:5], s[10:11], 3
	s_delay_alu instid0(SALU_CYCLE_1)
	s_add_nc_u64 s[2:3], s[2:3], s[4:5]
	s_load_b32 s8, s[2:3], 0x6e0
	s_wait_kmcnt 0x0
	s_clause 0x2
	s_load_b64 s[12:13], s[0:1], s9 offset:0x120 scale_offset
	s_load_b64 s[2:3], s[0:1], s9 offset:0x240 scale_offset
	;; [unrolled: 1-line block ×3, first 2 shown]
	s_wait_kmcnt 0x0
	global_load_u8 v8, v5, s[12:13]
	s_clause 0x1
	s_load_b64 s[6:7], s[0:1], s9 offset:0x0 scale_offset
	s_load_b64 s[14:15], s[0:1], s9 offset:0x480 scale_offset
	s_wait_xcnt 0x0
	s_ashr_i32 s9, s8, 31
	s_delay_alu instid0(SALU_CYCLE_1) | instskip(NEXT) | instid1(SALU_CYCLE_1)
	s_lshl_b64 s[8:9], s[8:9], 16
	s_add_nc_u64 s[12:13], s[12:13], s[8:9]
	s_delay_alu instid0(SALU_CYCLE_1) | instskip(SKIP_4) | instid1(SALU_CYCLE_1)
	s_and_b32 s10, s12, 3
	s_add_nc_u64 s[12:13], s[2:3], s[8:9]
	s_cmp_lg_u64 s[10:11], 0
	s_cselect_b32 s17, -1, 0
	s_or_b32 s10, s4, s12
	s_and_b32 s10, s10, 3
	s_delay_alu instid0(SALU_CYCLE_1) | instskip(SKIP_3) | instid1(SALU_CYCLE_1)
	s_cmp_lg_u32 s10, 0
	s_cselect_b32 s18, -1, 0
	s_wait_kmcnt 0x0
	s_add_nc_u64 s[12:13], s[6:7], s[8:9]
	s_or_b64 s[12:13], s[14:15], s[12:13]
	s_delay_alu instid0(SALU_CYCLE_1) | instskip(SKIP_3) | instid1(SALU_CYCLE_1)
	s_and_b32 s10, s12, 3
	s_or_b32 s12, s18, s17
	s_cmp_lg_u64 s[10:11], 0
	s_cselect_b32 s10, -1, 0
	s_or_b32 s12, s12, s10
	s_sub_nc_u64 s[10:11], s[14:15], s[8:9]
	s_and_not1_b32 vcc_lo, exec_lo, s12
	s_mov_b32 s12, -1
	s_cbranch_vccz .LBB11_5
; %bb.1:
	v_min_i64 v[2:3], 0x10000, s[10:11]
	v_lshlrev_b32_e32 v4, 2, v0
	s_mov_b32 s17, exec_lo
	s_delay_alu instid0(VALU_DEP_1)
	v_cmpx_lt_i64_e64 v[4:5], v[2:3]
	s_cbranch_execz .LBB11_4
; %bb.2:
	s_load_b32 s12, s[0:1], 0xbfc
	s_lshr_b32 s13, s16, 16
	v_mov_b32_e32 v1, v5
	s_wait_loadcnt 0x0
	v_mul_lo_u32 v9, v8, s13
	v_add_nc_u64_e32 v[4:5], s[8:9], v[4:5]
	s_mov_b32 s13, 0
	v_mov_b64_e32 v[6:7], v[0:1]
	s_mov_b32 s15, s13
	s_mov_b32 s18, s13
	s_wait_kmcnt 0x0
	s_and_b32 s12, s12, 0xffff
	s_delay_alu instid0(SALU_CYCLE_1)
	s_lshl_b32 s14, s12, 2
.LBB11_3:                               ; =>This Inner Loop Header: Depth=1
	v_add_nc_u64_e32 v[10:11], s[6:7], v[4:5]
	v_add_nc_u64_e32 v[12:13], s[2:3], v[4:5]
	;; [unrolled: 1-line block ×3, first 2 shown]
	global_load_b32 v1, v[10:11], off
	global_load_b32 v14, v[12:13], off
	s_wait_loadcnt 0x0
	s_wait_xcnt 0x1
	v_dual_lshrrev_b32 v10, 8, v1 :: v_dual_lshrrev_b32 v11, 8, v14
	s_wait_xcnt 0x0
	v_dual_lshrrev_b32 v12, 16, v1 :: v_dual_lshrrev_b32 v13, 16, v14
	v_dual_lshrrev_b32 v15, 24, v1 :: v_dual_lshrrev_b32 v16, 24, v14
	s_delay_alu instid0(VALU_DEP_3) | instskip(SKIP_1) | instid1(VALU_DEP_4)
	v_mad_u16 v17, v9, v11, v10
	v_lshlrev_b64_e32 v[10:11], 2, v[6:7]
	v_mad_u16 v12, v9, v13, v12
	v_mad_u16 v1, v9, v14, v1
	;; [unrolled: 1-line block ×3, first 2 shown]
	v_and_b32_e32 v14, 0xff, v17
	s_delay_alu instid0(VALU_DEP_4) | instskip(SKIP_1) | instid1(VALU_DEP_4)
	v_and_b32_e32 v12, 0xff, v12
	v_cmp_ge_i64_e32 vcc_lo, v[10:11], v[2:3]
	v_lshlrev_b32_e32 v13, 24, v13
	s_delay_alu instid0(VALU_DEP_4) | instskip(SKIP_4) | instid1(VALU_DEP_2)
	v_perm_b32 v1, v14, v1, 0x6050400
	v_add_nc_u64_e32 v[10:11], s[4:5], v[4:5]
	v_lshlrev_b32_e32 v12, 16, v12
	v_add_nc_u64_e32 v[4:5], s[14:15], v[4:5]
	s_or_b32 s18, vcc_lo, s18
	v_or3_b32 v1, v1, v12, v13
	global_store_b32 v[10:11], v1, off
	s_wait_xcnt 0x0
	s_and_not1_b32 exec_lo, exec_lo, s18
	s_cbranch_execnz .LBB11_3
.LBB11_4:
	s_or_b32 exec_lo, exec_lo, s17
	s_mov_b32 s12, 0
.LBB11_5:
	s_delay_alu instid0(SALU_CYCLE_1)
	s_and_not1_b32 vcc_lo, exec_lo, s12
	s_cbranch_vccnz .LBB11_25
; %bb.6:
	v_cmp_lt_i64_e64 s12, s[10:11], 1
	s_and_b32 vcc_lo, exec_lo, s12
	s_cbranch_vccnz .LBB11_25
; %bb.7:
	s_load_b32 s0, s[0:1], 0xbfc
	v_min_i64 v[2:3], 0x10000, s[10:11]
	v_min_u64 v[4:5], 0x10000, s[10:11]
	v_mov_b32_e32 v1, 0
	s_lshr_b32 s12, s16, 16
	s_wait_xcnt 0x0
	s_mov_b32 s1, 0
	s_wait_loadcnt 0x0
	v_mul_lo_u32 v44, v8, s12
	s_mov_b32 s11, s1
	v_add_nc_u64_e32 v[12:13], s[8:9], v[0:1]
	s_mov_b32 s13, s1
	s_delay_alu instid0(VALU_DEP_1) | instskip(SKIP_4) | instid1(SALU_CYCLE_1)
	v_add_nc_u64_e32 v[6:7], s[6:7], v[12:13]
	v_add_nc_u64_e32 v[8:9], s[2:3], v[12:13]
	;; [unrolled: 1-line block ×3, first 2 shown]
	s_wait_kmcnt 0x0
	s_and_b32 s0, s0, 0xffff
	s_lshl_b32 s10, s0, 1
	s_mul_i32 s12, s0, 3
	v_add_nc_u64_e32 v[20:21], s[0:1], v[12:13]
	s_add_nc_u64 s[14:15], s[8:9], s[12:13]
	s_add_nc_u64 s[8:9], s[8:9], s[10:11]
	v_add_nc_u64_e32 v[26:27], s[14:15], v[0:1]
	v_add_nc_u64_e32 v[32:33], s[8:9], v[0:1]
	;; [unrolled: 1-line block ×14, first 2 shown]
	s_lshl_b32 s0, s0, 2
	s_mov_b64 s[2:3], 0
	s_branch .LBB11_9
.LBB11_8:                               ;   in Loop: Header=BB11_9 Depth=1
	s_wait_xcnt 0x0
	s_or_b32 exec_lo, exec_lo, s4
	s_add_nc_u64 s[2:3], s[2:3], s[0:1]
	s_delay_alu instid0(SALU_CYCLE_1)
	v_cmp_ge_i64_e32 vcc_lo, s[2:3], v[2:3]
	s_cbranch_vccnz .LBB11_25
.LBB11_9:                               ; =>This Inner Loop Header: Depth=1
	v_add_nc_u64_e32 v[36:37], s[2:3], v[0:1]
	s_wait_loadcnt 0x0
	v_dual_mov_b32 v45, 0 :: v_dual_mov_b32 v46, 0
	s_mov_b32 s4, exec_lo
	s_delay_alu instid0(VALU_DEP_2)
	v_cmpx_lt_i64_e64 v[36:37], v[2:3]
	s_cbranch_execz .LBB11_11
; %bb.10:                               ;   in Loop: Header=BB11_9 Depth=1
	v_add_nc_u64_e32 v[38:39], s[2:3], v[6:7]
	v_add_nc_u64_e32 v[40:41], s[2:3], v[8:9]
	global_load_u8 v46, v[38:39], off
	global_load_u8 v45, v[40:41], off
.LBB11_11:                              ;   in Loop: Header=BB11_9 Depth=1
	s_wait_xcnt 0x0
	s_or_b32 exec_lo, exec_lo, s4
	v_add_nc_u64_e32 v[38:39], s[2:3], v[34:35]
	s_mov_b32 s4, exec_lo
	s_delay_alu instid0(VALU_DEP_1)
	v_cmpx_lt_i64_e64 v[38:39], v[2:3]
	s_cbranch_execz .LBB11_13
; %bb.12:                               ;   in Loop: Header=BB11_9 Depth=1
	v_add_nc_u64_e32 v[40:41], s[2:3], v[16:17]
	v_add_nc_u64_e32 v[42:43], s[2:3], v[18:19]
	global_load_u8 v47, v[40:41], off
	global_load_u8 v48, v[42:43], off
	s_wait_loadcnt 0x1
	v_lshl_or_b32 v46, v47, 8, v46
	s_wait_loadcnt 0x0
	v_lshl_or_b32 v45, v48, 8, v45
.LBB11_13:                              ;   in Loop: Header=BB11_9 Depth=1
	s_wait_xcnt 0x0
	s_or_b32 exec_lo, exec_lo, s4
	v_add_nc_u64_e32 v[40:41], s[2:3], v[14:15]
	s_mov_b32 s4, exec_lo
	s_delay_alu instid0(VALU_DEP_1)
	v_cmpx_lt_i64_e64 v[40:41], v[2:3]
	s_cbranch_execz .LBB11_15
; %bb.14:                               ;   in Loop: Header=BB11_9 Depth=1
	v_add_nc_u64_e32 v[42:43], s[2:3], v[28:29]
	v_add_nc_u64_e32 v[48:49], s[2:3], v[30:31]
	global_load_u8 v47, v[42:43], off
	global_load_u8 v50, v[48:49], off
	s_wait_loadcnt 0x1
	v_lshl_or_b32 v46, v47, 16, v46
	s_wait_loadcnt 0x0
	v_lshl_or_b32 v45, v50, 16, v45
.LBB11_15:                              ;   in Loop: Header=BB11_9 Depth=1
	s_wait_xcnt 0x0
	s_or_b32 exec_lo, exec_lo, s4
	v_add_nc_u64_e32 v[42:43], s[2:3], v[12:13]
	s_mov_b32 s4, exec_lo
	s_delay_alu instid0(VALU_DEP_1)
	v_cmpx_lt_i64_e64 v[42:43], v[2:3]
	s_cbranch_execnz .LBB11_20
; %bb.16:                               ;   in Loop: Header=BB11_9 Depth=1
	s_or_b32 exec_lo, exec_lo, s4
	s_delay_alu instid0(SALU_CYCLE_1)
	s_mov_b32 s4, exec_lo
	v_cmpx_lt_u64_e64 v[36:37], v[4:5]
	s_cbranch_execnz .LBB11_21
.LBB11_17:                              ;   in Loop: Header=BB11_9 Depth=1
	s_or_b32 exec_lo, exec_lo, s4
	s_delay_alu instid0(SALU_CYCLE_1)
	s_mov_b32 s4, exec_lo
	v_cmpx_lt_u64_e64 v[38:39], v[4:5]
	s_cbranch_execnz .LBB11_22
.LBB11_18:                              ;   in Loop: Header=BB11_9 Depth=1
	s_or_b32 exec_lo, exec_lo, s4
	s_delay_alu instid0(SALU_CYCLE_1)
	s_mov_b32 s4, exec_lo
	v_cmpx_lt_u64_e64 v[40:41], v[4:5]
	s_cbranch_execnz .LBB11_23
.LBB11_19:                              ;   in Loop: Header=BB11_9 Depth=1
	s_or_b32 exec_lo, exec_lo, s4
	s_delay_alu instid0(SALU_CYCLE_1)
	s_mov_b32 s4, exec_lo
	v_cmpx_lt_u64_e64 v[42:43], v[4:5]
	s_cbranch_execz .LBB11_8
	s_branch .LBB11_24
.LBB11_20:                              ;   in Loop: Header=BB11_9 Depth=1
	v_add_nc_u64_e32 v[48:49], s[2:3], v[22:23]
	v_add_nc_u64_e32 v[50:51], s[2:3], v[24:25]
	global_load_u8 v47, v[48:49], off
	global_load_u8 v52, v[50:51], off
	s_wait_loadcnt 0x1
	v_lshl_or_b32 v46, v47, 24, v46
	s_wait_loadcnt 0x0
	v_lshl_or_b32 v45, v52, 24, v45
	s_wait_xcnt 0x0
	s_or_b32 exec_lo, exec_lo, s4
	s_delay_alu instid0(SALU_CYCLE_1)
	s_mov_b32 s4, exec_lo
	v_cmpx_lt_u64_e64 v[36:37], v[4:5]
	s_cbranch_execz .LBB11_17
.LBB11_21:                              ;   in Loop: Header=BB11_9 Depth=1
	v_add_nc_u64_e32 v[36:37], s[2:3], v[10:11]
	s_wait_loadcnt 0x0
	v_mad_u16 v47, v44, v45, v46
	global_store_b8 v[36:37], v47, off
	s_wait_xcnt 0x0
	s_or_b32 exec_lo, exec_lo, s4
	s_delay_alu instid0(SALU_CYCLE_1)
	s_mov_b32 s4, exec_lo
	v_cmpx_lt_u64_e64 v[38:39], v[4:5]
	s_cbranch_execz .LBB11_18
.LBB11_22:                              ;   in Loop: Header=BB11_9 Depth=1
	s_wait_loadcnt 0x0
	v_dual_lshrrev_b32 v38, 8, v46 :: v_dual_lshrrev_b32 v39, 8, v45
	v_add_nc_u64_e32 v[36:37], s[2:3], v[20:21]
	s_delay_alu instid0(VALU_DEP_2) | instskip(SKIP_3) | instid1(SALU_CYCLE_1)
	v_mad_u16 v38, v44, v39, v38
	global_store_b8 v[36:37], v38, off
	s_wait_xcnt 0x0
	s_or_b32 exec_lo, exec_lo, s4
	s_mov_b32 s4, exec_lo
	v_cmpx_lt_u64_e64 v[40:41], v[4:5]
	s_cbranch_execz .LBB11_19
.LBB11_23:                              ;   in Loop: Header=BB11_9 Depth=1
	s_wait_loadcnt 0x0
	v_dual_lshrrev_b32 v38, 16, v46 :: v_dual_lshrrev_b32 v39, 16, v45
	v_add_nc_u64_e32 v[36:37], s[2:3], v[32:33]
	s_delay_alu instid0(VALU_DEP_2) | instskip(SKIP_3) | instid1(SALU_CYCLE_1)
	v_mad_u16 v38, v44, v39, v38
	global_store_b8 v[36:37], v38, off
	s_wait_xcnt 0x0
	s_or_b32 exec_lo, exec_lo, s4
	s_mov_b32 s4, exec_lo
	v_cmpx_lt_u64_e64 v[42:43], v[4:5]
	s_cbranch_execz .LBB11_8
.LBB11_24:                              ;   in Loop: Header=BB11_9 Depth=1
	s_wait_loadcnt 0x0
	v_dual_lshrrev_b32 v38, 24, v46 :: v_dual_lshrrev_b32 v39, 24, v45
	v_add_nc_u64_e32 v[36:37], s[2:3], v[26:27]
	s_delay_alu instid0(VALU_DEP_2)
	v_mad_u16 v38, v44, v39, v38
	global_store_b8 v[36:37], v38, off
	s_branch .LBB11_8
.LBB11_25:
	s_endpgm
	.section	.rodata,"a",@progbits
	.p2align	6, 0x0
	.amdhsa_kernel _ZN2at6native12_GLOBAL__N_125multi_tensor_apply_kernelINS1_18TensorListMetadataILi4EEENS1_32PointwiseOpScalar0dTensorFunctorIhLi4ELi2ELi3EEEJSt10multipliesIhEhEEEvT_T0_DpT1_
		.amdhsa_group_segment_fixed_size 0
		.amdhsa_private_segment_fixed_size 0
		.amdhsa_kernarg_size 3312
		.amdhsa_user_sgpr_count 2
		.amdhsa_user_sgpr_dispatch_ptr 0
		.amdhsa_user_sgpr_queue_ptr 0
		.amdhsa_user_sgpr_kernarg_segment_ptr 1
		.amdhsa_user_sgpr_dispatch_id 0
		.amdhsa_user_sgpr_kernarg_preload_length 0
		.amdhsa_user_sgpr_kernarg_preload_offset 0
		.amdhsa_user_sgpr_private_segment_size 0
		.amdhsa_wavefront_size32 1
		.amdhsa_uses_dynamic_stack 0
		.amdhsa_enable_private_segment 0
		.amdhsa_system_sgpr_workgroup_id_x 1
		.amdhsa_system_sgpr_workgroup_id_y 0
		.amdhsa_system_sgpr_workgroup_id_z 0
		.amdhsa_system_sgpr_workgroup_info 0
		.amdhsa_system_vgpr_workitem_id 0
		.amdhsa_next_free_vgpr 53
		.amdhsa_next_free_sgpr 19
		.amdhsa_named_barrier_count 0
		.amdhsa_reserve_vcc 1
		.amdhsa_float_round_mode_32 0
		.amdhsa_float_round_mode_16_64 0
		.amdhsa_float_denorm_mode_32 3
		.amdhsa_float_denorm_mode_16_64 3
		.amdhsa_fp16_overflow 0
		.amdhsa_memory_ordered 1
		.amdhsa_forward_progress 1
		.amdhsa_inst_pref_size 13
		.amdhsa_round_robin_scheduling 0
		.amdhsa_exception_fp_ieee_invalid_op 0
		.amdhsa_exception_fp_denorm_src 0
		.amdhsa_exception_fp_ieee_div_zero 0
		.amdhsa_exception_fp_ieee_overflow 0
		.amdhsa_exception_fp_ieee_underflow 0
		.amdhsa_exception_fp_ieee_inexact 0
		.amdhsa_exception_int_div_zero 0
	.end_amdhsa_kernel
	.section	.text._ZN2at6native12_GLOBAL__N_125multi_tensor_apply_kernelINS1_18TensorListMetadataILi4EEENS1_32PointwiseOpScalar0dTensorFunctorIhLi4ELi2ELi3EEEJSt10multipliesIhEhEEEvT_T0_DpT1_,"axG",@progbits,_ZN2at6native12_GLOBAL__N_125multi_tensor_apply_kernelINS1_18TensorListMetadataILi4EEENS1_32PointwiseOpScalar0dTensorFunctorIhLi4ELi2ELi3EEEJSt10multipliesIhEhEEEvT_T0_DpT1_,comdat
.Lfunc_end11:
	.size	_ZN2at6native12_GLOBAL__N_125multi_tensor_apply_kernelINS1_18TensorListMetadataILi4EEENS1_32PointwiseOpScalar0dTensorFunctorIhLi4ELi2ELi3EEEJSt10multipliesIhEhEEEvT_T0_DpT1_, .Lfunc_end11-_ZN2at6native12_GLOBAL__N_125multi_tensor_apply_kernelINS1_18TensorListMetadataILi4EEENS1_32PointwiseOpScalar0dTensorFunctorIhLi4ELi2ELi3EEEJSt10multipliesIhEhEEEvT_T0_DpT1_
                                        ; -- End function
	.set _ZN2at6native12_GLOBAL__N_125multi_tensor_apply_kernelINS1_18TensorListMetadataILi4EEENS1_32PointwiseOpScalar0dTensorFunctorIhLi4ELi2ELi3EEEJSt10multipliesIhEhEEEvT_T0_DpT1_.num_vgpr, 53
	.set _ZN2at6native12_GLOBAL__N_125multi_tensor_apply_kernelINS1_18TensorListMetadataILi4EEENS1_32PointwiseOpScalar0dTensorFunctorIhLi4ELi2ELi3EEEJSt10multipliesIhEhEEEvT_T0_DpT1_.num_agpr, 0
	.set _ZN2at6native12_GLOBAL__N_125multi_tensor_apply_kernelINS1_18TensorListMetadataILi4EEENS1_32PointwiseOpScalar0dTensorFunctorIhLi4ELi2ELi3EEEJSt10multipliesIhEhEEEvT_T0_DpT1_.numbered_sgpr, 19
	.set _ZN2at6native12_GLOBAL__N_125multi_tensor_apply_kernelINS1_18TensorListMetadataILi4EEENS1_32PointwiseOpScalar0dTensorFunctorIhLi4ELi2ELi3EEEJSt10multipliesIhEhEEEvT_T0_DpT1_.num_named_barrier, 0
	.set _ZN2at6native12_GLOBAL__N_125multi_tensor_apply_kernelINS1_18TensorListMetadataILi4EEENS1_32PointwiseOpScalar0dTensorFunctorIhLi4ELi2ELi3EEEJSt10multipliesIhEhEEEvT_T0_DpT1_.private_seg_size, 0
	.set _ZN2at6native12_GLOBAL__N_125multi_tensor_apply_kernelINS1_18TensorListMetadataILi4EEENS1_32PointwiseOpScalar0dTensorFunctorIhLi4ELi2ELi3EEEJSt10multipliesIhEhEEEvT_T0_DpT1_.uses_vcc, 1
	.set _ZN2at6native12_GLOBAL__N_125multi_tensor_apply_kernelINS1_18TensorListMetadataILi4EEENS1_32PointwiseOpScalar0dTensorFunctorIhLi4ELi2ELi3EEEJSt10multipliesIhEhEEEvT_T0_DpT1_.uses_flat_scratch, 0
	.set _ZN2at6native12_GLOBAL__N_125multi_tensor_apply_kernelINS1_18TensorListMetadataILi4EEENS1_32PointwiseOpScalar0dTensorFunctorIhLi4ELi2ELi3EEEJSt10multipliesIhEhEEEvT_T0_DpT1_.has_dyn_sized_stack, 0
	.set _ZN2at6native12_GLOBAL__N_125multi_tensor_apply_kernelINS1_18TensorListMetadataILi4EEENS1_32PointwiseOpScalar0dTensorFunctorIhLi4ELi2ELi3EEEJSt10multipliesIhEhEEEvT_T0_DpT1_.has_recursion, 0
	.set _ZN2at6native12_GLOBAL__N_125multi_tensor_apply_kernelINS1_18TensorListMetadataILi4EEENS1_32PointwiseOpScalar0dTensorFunctorIhLi4ELi2ELi3EEEJSt10multipliesIhEhEEEvT_T0_DpT1_.has_indirect_call, 0
	.section	.AMDGPU.csdata,"",@progbits
; Kernel info:
; codeLenInByte = 1540
; TotalNumSgprs: 21
; NumVgprs: 53
; ScratchSize: 0
; MemoryBound: 0
; FloatMode: 240
; IeeeMode: 1
; LDSByteSize: 0 bytes/workgroup (compile time only)
; SGPRBlocks: 0
; VGPRBlocks: 3
; NumSGPRsForWavesPerEU: 21
; NumVGPRsForWavesPerEU: 53
; NamedBarCnt: 0
; Occupancy: 16
; WaveLimiterHint : 0
; COMPUTE_PGM_RSRC2:SCRATCH_EN: 0
; COMPUTE_PGM_RSRC2:USER_SGPR: 2
; COMPUTE_PGM_RSRC2:TRAP_HANDLER: 0
; COMPUTE_PGM_RSRC2:TGID_X_EN: 1
; COMPUTE_PGM_RSRC2:TGID_Y_EN: 0
; COMPUTE_PGM_RSRC2:TGID_Z_EN: 0
; COMPUTE_PGM_RSRC2:TIDIG_COMP_CNT: 0
	.section	.text._ZN2at6native12_GLOBAL__N_125multi_tensor_apply_kernelINS1_18TensorListMetadataILi4EEENS1_32PointwiseOpScalar0dTensorFunctorIaLi4ELi2ELi3EEEJSt10multipliesIaEaEEEvT_T0_DpT1_,"axG",@progbits,_ZN2at6native12_GLOBAL__N_125multi_tensor_apply_kernelINS1_18TensorListMetadataILi4EEENS1_32PointwiseOpScalar0dTensorFunctorIaLi4ELi2ELi3EEEJSt10multipliesIaEaEEEvT_T0_DpT1_,comdat
	.globl	_ZN2at6native12_GLOBAL__N_125multi_tensor_apply_kernelINS1_18TensorListMetadataILi4EEENS1_32PointwiseOpScalar0dTensorFunctorIaLi4ELi2ELi3EEEJSt10multipliesIaEaEEEvT_T0_DpT1_ ; -- Begin function _ZN2at6native12_GLOBAL__N_125multi_tensor_apply_kernelINS1_18TensorListMetadataILi4EEENS1_32PointwiseOpScalar0dTensorFunctorIaLi4ELi2ELi3EEEJSt10multipliesIaEaEEEvT_T0_DpT1_
	.p2align	8
	.type	_ZN2at6native12_GLOBAL__N_125multi_tensor_apply_kernelINS1_18TensorListMetadataILi4EEENS1_32PointwiseOpScalar0dTensorFunctorIaLi4ELi2ELi3EEEJSt10multipliesIaEaEEEvT_T0_DpT1_,@function
_ZN2at6native12_GLOBAL__N_125multi_tensor_apply_kernelINS1_18TensorListMetadataILi4EEENS1_32PointwiseOpScalar0dTensorFunctorIaLi4ELi2ELi3EEEJSt10multipliesIaEaEEEvT_T0_DpT1_: ; @_ZN2at6native12_GLOBAL__N_125multi_tensor_apply_kernelINS1_18TensorListMetadataILi4EEENS1_32PointwiseOpScalar0dTensorFunctorIaLi4ELi2ELi3EEEJSt10multipliesIaEaEEEvT_T0_DpT1_
; %bb.0:
	s_bfe_u32 s2, ttmp6, 0x4000c
	s_and_b32 s3, ttmp6, 15
	s_add_co_i32 s2, s2, 1
	s_getreg_b32 s4, hwreg(HW_REG_IB_STS2, 6, 4)
	s_mul_i32 s2, ttmp9, s2
	s_mov_b32 s11, 0
	s_add_co_i32 s3, s3, s2
	s_cmp_eq_u32 s4, 0
	v_mov_b32_e32 v5, 0
	s_cselect_b32 s10, ttmp9, s3
	s_clause 0x1
	s_load_b32 s16, s[0:1], 0xbe8
	s_load_u8 s9, s[0:1], s10 offset:0x5a0
	s_add_nc_u64 s[2:3], s[0:1], s[10:11]
	s_mul_u64 s[4:5], s[10:11], 3
	s_delay_alu instid0(SALU_CYCLE_1)
	s_add_nc_u64 s[2:3], s[2:3], s[4:5]
	s_load_b32 s8, s[2:3], 0x6e0
	s_wait_kmcnt 0x0
	s_clause 0x2
	s_load_b64 s[12:13], s[0:1], s9 offset:0x120 scale_offset
	s_load_b64 s[2:3], s[0:1], s9 offset:0x240 scale_offset
	;; [unrolled: 1-line block ×3, first 2 shown]
	s_wait_kmcnt 0x0
	global_load_u8 v8, v5, s[12:13]
	s_clause 0x1
	s_load_b64 s[6:7], s[0:1], s9 offset:0x0 scale_offset
	s_load_b64 s[14:15], s[0:1], s9 offset:0x480 scale_offset
	s_wait_xcnt 0x0
	s_ashr_i32 s9, s8, 31
	s_delay_alu instid0(SALU_CYCLE_1) | instskip(NEXT) | instid1(SALU_CYCLE_1)
	s_lshl_b64 s[8:9], s[8:9], 16
	s_add_nc_u64 s[12:13], s[12:13], s[8:9]
	s_delay_alu instid0(SALU_CYCLE_1) | instskip(SKIP_4) | instid1(SALU_CYCLE_1)
	s_and_b32 s10, s12, 3
	s_add_nc_u64 s[12:13], s[2:3], s[8:9]
	s_cmp_lg_u64 s[10:11], 0
	s_cselect_b32 s17, -1, 0
	s_or_b32 s10, s4, s12
	s_and_b32 s10, s10, 3
	s_delay_alu instid0(SALU_CYCLE_1) | instskip(SKIP_3) | instid1(SALU_CYCLE_1)
	s_cmp_lg_u32 s10, 0
	s_cselect_b32 s18, -1, 0
	s_wait_kmcnt 0x0
	s_add_nc_u64 s[12:13], s[6:7], s[8:9]
	s_or_b64 s[12:13], s[14:15], s[12:13]
	s_delay_alu instid0(SALU_CYCLE_1) | instskip(SKIP_3) | instid1(SALU_CYCLE_1)
	s_and_b32 s10, s12, 3
	s_or_b32 s12, s18, s17
	s_cmp_lg_u64 s[10:11], 0
	s_cselect_b32 s10, -1, 0
	s_or_b32 s12, s12, s10
	s_sub_nc_u64 s[10:11], s[14:15], s[8:9]
	s_and_not1_b32 vcc_lo, exec_lo, s12
	s_mov_b32 s12, -1
	s_cbranch_vccz .LBB12_5
; %bb.1:
	v_min_i64 v[2:3], 0x10000, s[10:11]
	v_lshlrev_b32_e32 v4, 2, v0
	s_mov_b32 s17, exec_lo
	s_delay_alu instid0(VALU_DEP_1)
	v_cmpx_lt_i64_e64 v[4:5], v[2:3]
	s_cbranch_execz .LBB12_4
; %bb.2:
	s_load_b32 s12, s[0:1], 0xbfc
	s_lshr_b32 s13, s16, 16
	v_mov_b32_e32 v1, v5
	s_wait_loadcnt 0x0
	v_mul_lo_u32 v9, v8, s13
	v_add_nc_u64_e32 v[4:5], s[8:9], v[4:5]
	s_mov_b32 s13, 0
	v_mov_b64_e32 v[6:7], v[0:1]
	s_mov_b32 s15, s13
	s_mov_b32 s18, s13
	s_wait_kmcnt 0x0
	s_and_b32 s12, s12, 0xffff
	s_delay_alu instid0(SALU_CYCLE_1)
	s_lshl_b32 s14, s12, 2
.LBB12_3:                               ; =>This Inner Loop Header: Depth=1
	v_add_nc_u64_e32 v[10:11], s[6:7], v[4:5]
	v_add_nc_u64_e32 v[12:13], s[2:3], v[4:5]
	;; [unrolled: 1-line block ×3, first 2 shown]
	global_load_b32 v1, v[10:11], off
	global_load_b32 v14, v[12:13], off
	s_wait_loadcnt 0x0
	s_wait_xcnt 0x1
	v_dual_lshrrev_b32 v10, 8, v1 :: v_dual_lshrrev_b32 v11, 8, v14
	s_wait_xcnt 0x0
	v_dual_lshrrev_b32 v12, 16, v1 :: v_dual_lshrrev_b32 v13, 16, v14
	v_dual_lshrrev_b32 v15, 24, v1 :: v_dual_lshrrev_b32 v16, 24, v14
	s_delay_alu instid0(VALU_DEP_3) | instskip(SKIP_1) | instid1(VALU_DEP_4)
	v_mad_u16 v17, v9, v11, v10
	v_lshlrev_b64_e32 v[10:11], 2, v[6:7]
	v_mad_u16 v12, v9, v13, v12
	v_mad_u16 v1, v9, v14, v1
	;; [unrolled: 1-line block ×3, first 2 shown]
	v_and_b32_e32 v14, 0xff, v17
	s_delay_alu instid0(VALU_DEP_4) | instskip(SKIP_1) | instid1(VALU_DEP_4)
	v_and_b32_e32 v12, 0xff, v12
	v_cmp_ge_i64_e32 vcc_lo, v[10:11], v[2:3]
	v_lshlrev_b32_e32 v13, 24, v13
	s_delay_alu instid0(VALU_DEP_4) | instskip(SKIP_4) | instid1(VALU_DEP_2)
	v_perm_b32 v1, v14, v1, 0x6050400
	v_add_nc_u64_e32 v[10:11], s[4:5], v[4:5]
	v_lshlrev_b32_e32 v12, 16, v12
	v_add_nc_u64_e32 v[4:5], s[14:15], v[4:5]
	s_or_b32 s18, vcc_lo, s18
	v_or3_b32 v1, v1, v12, v13
	global_store_b32 v[10:11], v1, off
	s_wait_xcnt 0x0
	s_and_not1_b32 exec_lo, exec_lo, s18
	s_cbranch_execnz .LBB12_3
.LBB12_4:
	s_or_b32 exec_lo, exec_lo, s17
	s_mov_b32 s12, 0
.LBB12_5:
	s_delay_alu instid0(SALU_CYCLE_1)
	s_and_not1_b32 vcc_lo, exec_lo, s12
	s_cbranch_vccnz .LBB12_25
; %bb.6:
	v_cmp_lt_i64_e64 s12, s[10:11], 1
	s_and_b32 vcc_lo, exec_lo, s12
	s_cbranch_vccnz .LBB12_25
; %bb.7:
	s_load_b32 s0, s[0:1], 0xbfc
	v_min_i64 v[2:3], 0x10000, s[10:11]
	v_min_u64 v[4:5], 0x10000, s[10:11]
	v_mov_b32_e32 v1, 0
	s_lshr_b32 s12, s16, 16
	s_wait_xcnt 0x0
	s_mov_b32 s1, 0
	s_wait_loadcnt 0x0
	v_mul_lo_u32 v44, v8, s12
	s_mov_b32 s11, s1
	v_add_nc_u64_e32 v[12:13], s[8:9], v[0:1]
	s_mov_b32 s13, s1
	s_delay_alu instid0(VALU_DEP_1) | instskip(SKIP_4) | instid1(SALU_CYCLE_1)
	v_add_nc_u64_e32 v[6:7], s[6:7], v[12:13]
	v_add_nc_u64_e32 v[8:9], s[2:3], v[12:13]
	;; [unrolled: 1-line block ×3, first 2 shown]
	s_wait_kmcnt 0x0
	s_and_b32 s0, s0, 0xffff
	s_lshl_b32 s10, s0, 1
	s_mul_i32 s12, s0, 3
	v_add_nc_u64_e32 v[20:21], s[0:1], v[12:13]
	s_add_nc_u64 s[14:15], s[8:9], s[12:13]
	s_add_nc_u64 s[8:9], s[8:9], s[10:11]
	v_add_nc_u64_e32 v[26:27], s[14:15], v[0:1]
	v_add_nc_u64_e32 v[32:33], s[8:9], v[0:1]
	;; [unrolled: 1-line block ×14, first 2 shown]
	s_lshl_b32 s0, s0, 2
	s_mov_b64 s[2:3], 0
	s_branch .LBB12_9
.LBB12_8:                               ;   in Loop: Header=BB12_9 Depth=1
	s_wait_xcnt 0x0
	s_or_b32 exec_lo, exec_lo, s4
	s_add_nc_u64 s[2:3], s[2:3], s[0:1]
	s_delay_alu instid0(SALU_CYCLE_1)
	v_cmp_ge_i64_e32 vcc_lo, s[2:3], v[2:3]
	s_cbranch_vccnz .LBB12_25
.LBB12_9:                               ; =>This Inner Loop Header: Depth=1
	v_add_nc_u64_e32 v[36:37], s[2:3], v[0:1]
	s_wait_loadcnt 0x0
	v_dual_mov_b32 v45, 0 :: v_dual_mov_b32 v46, 0
	s_mov_b32 s4, exec_lo
	s_delay_alu instid0(VALU_DEP_2)
	v_cmpx_lt_i64_e64 v[36:37], v[2:3]
	s_cbranch_execz .LBB12_11
; %bb.10:                               ;   in Loop: Header=BB12_9 Depth=1
	v_add_nc_u64_e32 v[38:39], s[2:3], v[6:7]
	v_add_nc_u64_e32 v[40:41], s[2:3], v[8:9]
	global_load_u8 v46, v[38:39], off
	global_load_u8 v45, v[40:41], off
.LBB12_11:                              ;   in Loop: Header=BB12_9 Depth=1
	s_wait_xcnt 0x0
	s_or_b32 exec_lo, exec_lo, s4
	v_add_nc_u64_e32 v[38:39], s[2:3], v[34:35]
	s_mov_b32 s4, exec_lo
	s_delay_alu instid0(VALU_DEP_1)
	v_cmpx_lt_i64_e64 v[38:39], v[2:3]
	s_cbranch_execz .LBB12_13
; %bb.12:                               ;   in Loop: Header=BB12_9 Depth=1
	v_add_nc_u64_e32 v[40:41], s[2:3], v[16:17]
	v_add_nc_u64_e32 v[42:43], s[2:3], v[18:19]
	global_load_u8 v47, v[40:41], off
	global_load_u8 v48, v[42:43], off
	s_wait_loadcnt 0x1
	v_lshl_or_b32 v46, v47, 8, v46
	s_wait_loadcnt 0x0
	v_lshl_or_b32 v45, v48, 8, v45
.LBB12_13:                              ;   in Loop: Header=BB12_9 Depth=1
	s_wait_xcnt 0x0
	s_or_b32 exec_lo, exec_lo, s4
	v_add_nc_u64_e32 v[40:41], s[2:3], v[14:15]
	s_mov_b32 s4, exec_lo
	s_delay_alu instid0(VALU_DEP_1)
	v_cmpx_lt_i64_e64 v[40:41], v[2:3]
	s_cbranch_execz .LBB12_15
; %bb.14:                               ;   in Loop: Header=BB12_9 Depth=1
	v_add_nc_u64_e32 v[42:43], s[2:3], v[28:29]
	v_add_nc_u64_e32 v[48:49], s[2:3], v[30:31]
	global_load_u8 v47, v[42:43], off
	global_load_u8 v50, v[48:49], off
	s_wait_loadcnt 0x1
	v_lshl_or_b32 v46, v47, 16, v46
	s_wait_loadcnt 0x0
	v_lshl_or_b32 v45, v50, 16, v45
.LBB12_15:                              ;   in Loop: Header=BB12_9 Depth=1
	s_wait_xcnt 0x0
	s_or_b32 exec_lo, exec_lo, s4
	v_add_nc_u64_e32 v[42:43], s[2:3], v[12:13]
	s_mov_b32 s4, exec_lo
	s_delay_alu instid0(VALU_DEP_1)
	v_cmpx_lt_i64_e64 v[42:43], v[2:3]
	s_cbranch_execnz .LBB12_20
; %bb.16:                               ;   in Loop: Header=BB12_9 Depth=1
	s_or_b32 exec_lo, exec_lo, s4
	s_delay_alu instid0(SALU_CYCLE_1)
	s_mov_b32 s4, exec_lo
	v_cmpx_lt_u64_e64 v[36:37], v[4:5]
	s_cbranch_execnz .LBB12_21
.LBB12_17:                              ;   in Loop: Header=BB12_9 Depth=1
	s_or_b32 exec_lo, exec_lo, s4
	s_delay_alu instid0(SALU_CYCLE_1)
	s_mov_b32 s4, exec_lo
	v_cmpx_lt_u64_e64 v[38:39], v[4:5]
	s_cbranch_execnz .LBB12_22
.LBB12_18:                              ;   in Loop: Header=BB12_9 Depth=1
	s_or_b32 exec_lo, exec_lo, s4
	s_delay_alu instid0(SALU_CYCLE_1)
	s_mov_b32 s4, exec_lo
	v_cmpx_lt_u64_e64 v[40:41], v[4:5]
	s_cbranch_execnz .LBB12_23
.LBB12_19:                              ;   in Loop: Header=BB12_9 Depth=1
	s_or_b32 exec_lo, exec_lo, s4
	s_delay_alu instid0(SALU_CYCLE_1)
	s_mov_b32 s4, exec_lo
	v_cmpx_lt_u64_e64 v[42:43], v[4:5]
	s_cbranch_execz .LBB12_8
	s_branch .LBB12_24
.LBB12_20:                              ;   in Loop: Header=BB12_9 Depth=1
	v_add_nc_u64_e32 v[48:49], s[2:3], v[22:23]
	v_add_nc_u64_e32 v[50:51], s[2:3], v[24:25]
	global_load_u8 v47, v[48:49], off
	global_load_u8 v52, v[50:51], off
	s_wait_loadcnt 0x1
	v_lshl_or_b32 v46, v47, 24, v46
	s_wait_loadcnt 0x0
	v_lshl_or_b32 v45, v52, 24, v45
	s_wait_xcnt 0x0
	s_or_b32 exec_lo, exec_lo, s4
	s_delay_alu instid0(SALU_CYCLE_1)
	s_mov_b32 s4, exec_lo
	v_cmpx_lt_u64_e64 v[36:37], v[4:5]
	s_cbranch_execz .LBB12_17
.LBB12_21:                              ;   in Loop: Header=BB12_9 Depth=1
	v_add_nc_u64_e32 v[36:37], s[2:3], v[10:11]
	s_wait_loadcnt 0x0
	v_mad_u16 v47, v44, v45, v46
	global_store_b8 v[36:37], v47, off
	s_wait_xcnt 0x0
	s_or_b32 exec_lo, exec_lo, s4
	s_delay_alu instid0(SALU_CYCLE_1)
	s_mov_b32 s4, exec_lo
	v_cmpx_lt_u64_e64 v[38:39], v[4:5]
	s_cbranch_execz .LBB12_18
.LBB12_22:                              ;   in Loop: Header=BB12_9 Depth=1
	s_wait_loadcnt 0x0
	v_dual_lshrrev_b32 v38, 8, v46 :: v_dual_lshrrev_b32 v39, 8, v45
	v_add_nc_u64_e32 v[36:37], s[2:3], v[20:21]
	s_delay_alu instid0(VALU_DEP_2) | instskip(SKIP_3) | instid1(SALU_CYCLE_1)
	v_mad_u16 v38, v44, v39, v38
	global_store_b8 v[36:37], v38, off
	s_wait_xcnt 0x0
	s_or_b32 exec_lo, exec_lo, s4
	s_mov_b32 s4, exec_lo
	v_cmpx_lt_u64_e64 v[40:41], v[4:5]
	s_cbranch_execz .LBB12_19
.LBB12_23:                              ;   in Loop: Header=BB12_9 Depth=1
	s_wait_loadcnt 0x0
	v_dual_lshrrev_b32 v38, 16, v46 :: v_dual_lshrrev_b32 v39, 16, v45
	v_add_nc_u64_e32 v[36:37], s[2:3], v[32:33]
	s_delay_alu instid0(VALU_DEP_2) | instskip(SKIP_3) | instid1(SALU_CYCLE_1)
	v_mad_u16 v38, v44, v39, v38
	global_store_b8 v[36:37], v38, off
	s_wait_xcnt 0x0
	s_or_b32 exec_lo, exec_lo, s4
	s_mov_b32 s4, exec_lo
	v_cmpx_lt_u64_e64 v[42:43], v[4:5]
	s_cbranch_execz .LBB12_8
.LBB12_24:                              ;   in Loop: Header=BB12_9 Depth=1
	s_wait_loadcnt 0x0
	v_dual_lshrrev_b32 v38, 24, v46 :: v_dual_lshrrev_b32 v39, 24, v45
	v_add_nc_u64_e32 v[36:37], s[2:3], v[26:27]
	s_delay_alu instid0(VALU_DEP_2)
	v_mad_u16 v38, v44, v39, v38
	global_store_b8 v[36:37], v38, off
	s_branch .LBB12_8
.LBB12_25:
	s_endpgm
	.section	.rodata,"a",@progbits
	.p2align	6, 0x0
	.amdhsa_kernel _ZN2at6native12_GLOBAL__N_125multi_tensor_apply_kernelINS1_18TensorListMetadataILi4EEENS1_32PointwiseOpScalar0dTensorFunctorIaLi4ELi2ELi3EEEJSt10multipliesIaEaEEEvT_T0_DpT1_
		.amdhsa_group_segment_fixed_size 0
		.amdhsa_private_segment_fixed_size 0
		.amdhsa_kernarg_size 3312
		.amdhsa_user_sgpr_count 2
		.amdhsa_user_sgpr_dispatch_ptr 0
		.amdhsa_user_sgpr_queue_ptr 0
		.amdhsa_user_sgpr_kernarg_segment_ptr 1
		.amdhsa_user_sgpr_dispatch_id 0
		.amdhsa_user_sgpr_kernarg_preload_length 0
		.amdhsa_user_sgpr_kernarg_preload_offset 0
		.amdhsa_user_sgpr_private_segment_size 0
		.amdhsa_wavefront_size32 1
		.amdhsa_uses_dynamic_stack 0
		.amdhsa_enable_private_segment 0
		.amdhsa_system_sgpr_workgroup_id_x 1
		.amdhsa_system_sgpr_workgroup_id_y 0
		.amdhsa_system_sgpr_workgroup_id_z 0
		.amdhsa_system_sgpr_workgroup_info 0
		.amdhsa_system_vgpr_workitem_id 0
		.amdhsa_next_free_vgpr 53
		.amdhsa_next_free_sgpr 19
		.amdhsa_named_barrier_count 0
		.amdhsa_reserve_vcc 1
		.amdhsa_float_round_mode_32 0
		.amdhsa_float_round_mode_16_64 0
		.amdhsa_float_denorm_mode_32 3
		.amdhsa_float_denorm_mode_16_64 3
		.amdhsa_fp16_overflow 0
		.amdhsa_memory_ordered 1
		.amdhsa_forward_progress 1
		.amdhsa_inst_pref_size 13
		.amdhsa_round_robin_scheduling 0
		.amdhsa_exception_fp_ieee_invalid_op 0
		.amdhsa_exception_fp_denorm_src 0
		.amdhsa_exception_fp_ieee_div_zero 0
		.amdhsa_exception_fp_ieee_overflow 0
		.amdhsa_exception_fp_ieee_underflow 0
		.amdhsa_exception_fp_ieee_inexact 0
		.amdhsa_exception_int_div_zero 0
	.end_amdhsa_kernel
	.section	.text._ZN2at6native12_GLOBAL__N_125multi_tensor_apply_kernelINS1_18TensorListMetadataILi4EEENS1_32PointwiseOpScalar0dTensorFunctorIaLi4ELi2ELi3EEEJSt10multipliesIaEaEEEvT_T0_DpT1_,"axG",@progbits,_ZN2at6native12_GLOBAL__N_125multi_tensor_apply_kernelINS1_18TensorListMetadataILi4EEENS1_32PointwiseOpScalar0dTensorFunctorIaLi4ELi2ELi3EEEJSt10multipliesIaEaEEEvT_T0_DpT1_,comdat
.Lfunc_end12:
	.size	_ZN2at6native12_GLOBAL__N_125multi_tensor_apply_kernelINS1_18TensorListMetadataILi4EEENS1_32PointwiseOpScalar0dTensorFunctorIaLi4ELi2ELi3EEEJSt10multipliesIaEaEEEvT_T0_DpT1_, .Lfunc_end12-_ZN2at6native12_GLOBAL__N_125multi_tensor_apply_kernelINS1_18TensorListMetadataILi4EEENS1_32PointwiseOpScalar0dTensorFunctorIaLi4ELi2ELi3EEEJSt10multipliesIaEaEEEvT_T0_DpT1_
                                        ; -- End function
	.set _ZN2at6native12_GLOBAL__N_125multi_tensor_apply_kernelINS1_18TensorListMetadataILi4EEENS1_32PointwiseOpScalar0dTensorFunctorIaLi4ELi2ELi3EEEJSt10multipliesIaEaEEEvT_T0_DpT1_.num_vgpr, 53
	.set _ZN2at6native12_GLOBAL__N_125multi_tensor_apply_kernelINS1_18TensorListMetadataILi4EEENS1_32PointwiseOpScalar0dTensorFunctorIaLi4ELi2ELi3EEEJSt10multipliesIaEaEEEvT_T0_DpT1_.num_agpr, 0
	.set _ZN2at6native12_GLOBAL__N_125multi_tensor_apply_kernelINS1_18TensorListMetadataILi4EEENS1_32PointwiseOpScalar0dTensorFunctorIaLi4ELi2ELi3EEEJSt10multipliesIaEaEEEvT_T0_DpT1_.numbered_sgpr, 19
	.set _ZN2at6native12_GLOBAL__N_125multi_tensor_apply_kernelINS1_18TensorListMetadataILi4EEENS1_32PointwiseOpScalar0dTensorFunctorIaLi4ELi2ELi3EEEJSt10multipliesIaEaEEEvT_T0_DpT1_.num_named_barrier, 0
	.set _ZN2at6native12_GLOBAL__N_125multi_tensor_apply_kernelINS1_18TensorListMetadataILi4EEENS1_32PointwiseOpScalar0dTensorFunctorIaLi4ELi2ELi3EEEJSt10multipliesIaEaEEEvT_T0_DpT1_.private_seg_size, 0
	.set _ZN2at6native12_GLOBAL__N_125multi_tensor_apply_kernelINS1_18TensorListMetadataILi4EEENS1_32PointwiseOpScalar0dTensorFunctorIaLi4ELi2ELi3EEEJSt10multipliesIaEaEEEvT_T0_DpT1_.uses_vcc, 1
	.set _ZN2at6native12_GLOBAL__N_125multi_tensor_apply_kernelINS1_18TensorListMetadataILi4EEENS1_32PointwiseOpScalar0dTensorFunctorIaLi4ELi2ELi3EEEJSt10multipliesIaEaEEEvT_T0_DpT1_.uses_flat_scratch, 0
	.set _ZN2at6native12_GLOBAL__N_125multi_tensor_apply_kernelINS1_18TensorListMetadataILi4EEENS1_32PointwiseOpScalar0dTensorFunctorIaLi4ELi2ELi3EEEJSt10multipliesIaEaEEEvT_T0_DpT1_.has_dyn_sized_stack, 0
	.set _ZN2at6native12_GLOBAL__N_125multi_tensor_apply_kernelINS1_18TensorListMetadataILi4EEENS1_32PointwiseOpScalar0dTensorFunctorIaLi4ELi2ELi3EEEJSt10multipliesIaEaEEEvT_T0_DpT1_.has_recursion, 0
	.set _ZN2at6native12_GLOBAL__N_125multi_tensor_apply_kernelINS1_18TensorListMetadataILi4EEENS1_32PointwiseOpScalar0dTensorFunctorIaLi4ELi2ELi3EEEJSt10multipliesIaEaEEEvT_T0_DpT1_.has_indirect_call, 0
	.section	.AMDGPU.csdata,"",@progbits
; Kernel info:
; codeLenInByte = 1540
; TotalNumSgprs: 21
; NumVgprs: 53
; ScratchSize: 0
; MemoryBound: 0
; FloatMode: 240
; IeeeMode: 1
; LDSByteSize: 0 bytes/workgroup (compile time only)
; SGPRBlocks: 0
; VGPRBlocks: 3
; NumSGPRsForWavesPerEU: 21
; NumVGPRsForWavesPerEU: 53
; NamedBarCnt: 0
; Occupancy: 16
; WaveLimiterHint : 0
; COMPUTE_PGM_RSRC2:SCRATCH_EN: 0
; COMPUTE_PGM_RSRC2:USER_SGPR: 2
; COMPUTE_PGM_RSRC2:TRAP_HANDLER: 0
; COMPUTE_PGM_RSRC2:TGID_X_EN: 1
; COMPUTE_PGM_RSRC2:TGID_Y_EN: 0
; COMPUTE_PGM_RSRC2:TGID_Z_EN: 0
; COMPUTE_PGM_RSRC2:TIDIG_COMP_CNT: 0
	.section	.text._ZN2at6native12_GLOBAL__N_125multi_tensor_apply_kernelINS1_18TensorListMetadataILi4EEENS1_32PointwiseOpScalar0dTensorFunctorIiLi4ELi2ELi3EEEJSt10multipliesIiEiEEEvT_T0_DpT1_,"axG",@progbits,_ZN2at6native12_GLOBAL__N_125multi_tensor_apply_kernelINS1_18TensorListMetadataILi4EEENS1_32PointwiseOpScalar0dTensorFunctorIiLi4ELi2ELi3EEEJSt10multipliesIiEiEEEvT_T0_DpT1_,comdat
	.globl	_ZN2at6native12_GLOBAL__N_125multi_tensor_apply_kernelINS1_18TensorListMetadataILi4EEENS1_32PointwiseOpScalar0dTensorFunctorIiLi4ELi2ELi3EEEJSt10multipliesIiEiEEEvT_T0_DpT1_ ; -- Begin function _ZN2at6native12_GLOBAL__N_125multi_tensor_apply_kernelINS1_18TensorListMetadataILi4EEENS1_32PointwiseOpScalar0dTensorFunctorIiLi4ELi2ELi3EEEJSt10multipliesIiEiEEEvT_T0_DpT1_
	.p2align	8
	.type	_ZN2at6native12_GLOBAL__N_125multi_tensor_apply_kernelINS1_18TensorListMetadataILi4EEENS1_32PointwiseOpScalar0dTensorFunctorIiLi4ELi2ELi3EEEJSt10multipliesIiEiEEEvT_T0_DpT1_,@function
_ZN2at6native12_GLOBAL__N_125multi_tensor_apply_kernelINS1_18TensorListMetadataILi4EEENS1_32PointwiseOpScalar0dTensorFunctorIiLi4ELi2ELi3EEEJSt10multipliesIiEiEEEvT_T0_DpT1_: ; @_ZN2at6native12_GLOBAL__N_125multi_tensor_apply_kernelINS1_18TensorListMetadataILi4EEENS1_32PointwiseOpScalar0dTensorFunctorIiLi4ELi2ELi3EEEJSt10multipliesIiEiEEEvT_T0_DpT1_
; %bb.0:
	s_bfe_u32 s2, ttmp6, 0x4000c
	s_and_b32 s3, ttmp6, 15
	s_add_co_i32 s2, s2, 1
	s_getreg_b32 s4, hwreg(HW_REG_IB_STS2, 6, 4)
	s_mul_i32 s2, ttmp9, s2
	s_mov_b32 s11, 0
	s_add_co_i32 s3, s3, s2
	s_cmp_eq_u32 s4, 0
	s_load_b32 s20, s[0:1], 0xbec
	s_cselect_b32 s10, ttmp9, s3
	s_load_u8 s6, s[0:1], s10 offset:0x5a0
	s_add_nc_u64 s[2:3], s[0:1], s[10:11]
	s_mul_u64 s[4:5], s[10:11], 3
	s_delay_alu instid0(SALU_CYCLE_1)
	s_add_nc_u64 s[2:3], s[2:3], s[4:5]
	s_load_b32 s18, s[2:3], 0x6e0
	s_wait_kmcnt 0x0
	s_clause 0x4
	s_load_b64 s[12:13], s[0:1], s6 offset:0x0 scale_offset
	s_load_b64 s[22:23], s[0:1], s6 offset:0x120 scale_offset
	;; [unrolled: 1-line block ×5, first 2 shown]
	s_ashr_i32 s19, s18, 31
	s_delay_alu instid0(SALU_CYCLE_1)
	s_lshl_b64 s[16:17], s[18:19], 18
	s_wait_kmcnt 0x0
	s_load_b32 s21, s[22:23], 0x0
	s_add_nc_u64 s[6:7], s[22:23], s[16:17]
	s_add_nc_u64 s[2:3], s[12:13], s[16:17]
	s_and_b32 s10, s6, 15
	s_and_b64 s[26:27], s[2:3], 15
	s_add_nc_u64 s[4:5], s[14:15], s[16:17]
	s_cmp_lg_u64 s[10:11], 0
	s_add_nc_u64 s[6:7], s[8:9], s[16:17]
	s_cselect_b32 s28, -1, 0
	s_or_b32 s10, s6, s4
	s_delay_alu instid0(SALU_CYCLE_1) | instskip(NEXT) | instid1(SALU_CYCLE_1)
	s_and_b32 s10, s10, 15
	s_cmp_lg_u32 s10, 0
	s_wait_xcnt 0x0
	s_cselect_b32 s22, -1, 0
	s_and_b32 s10, s24, 3
	s_lshl_b64 s[18:19], s[18:19], 16
	s_or_b64 s[10:11], s[26:27], s[10:11]
	s_or_b32 s22, s22, s28
	s_cmp_lg_u64 s[10:11], 0
	s_cselect_b32 s10, -1, 0
	s_delay_alu instid0(SALU_CYCLE_1)
	s_or_b32 s22, s22, s10
	s_sub_nc_u64 s[10:11], s[24:25], s[18:19]
	s_and_not1_b32 vcc_lo, exec_lo, s22
	s_mov_b32 s18, -1
	s_cbranch_vccz .LBB13_5
; %bb.1:
	v_min_i64 v[2:3], 0x10000, s[10:11]
	v_dual_mov_b32 v5, 0 :: v_dual_lshlrev_b32 v4, 2, v0
	s_mov_b32 s22, exec_lo
	s_delay_alu instid0(VALU_DEP_1)
	v_cmpx_lt_i64_e64 v[4:5], v[2:3]
	s_cbranch_execz .LBB13_4
; %bb.2:
	s_load_b32 s18, s[0:1], 0xbfc
	v_dual_mov_b32 v1, v5 :: v_dual_lshlrev_b32 v4, 4, v0
	s_wait_kmcnt 0x0
	s_mul_i32 s23, s21, s20
	s_mov_b32 s19, 0
	s_add_nc_u64 s[12:13], s[12:13], 8
	v_mov_b64_e32 v[6:7], v[0:1]
	v_add_nc_u64_e32 v[4:5], s[16:17], v[4:5]
	s_add_nc_u64 s[14:15], s[14:15], 8
	s_mov_b32 s24, s23
	s_mov_b32 s17, s19
	;; [unrolled: 1-line block ×3, first 2 shown]
	s_and_b32 s18, s18, 0xffff
	s_delay_alu instid0(SALU_CYCLE_1)
	s_lshl_b32 s16, s18, 4
.LBB13_3:                               ; =>This Inner Loop Header: Depth=1
	v_add_nc_u64_e32 v[16:17], s[12:13], v[4:5]
	v_add_nc_u64_e32 v[18:19], s[14:15], v[4:5]
	;; [unrolled: 1-line block ×3, first 2 shown]
	global_load_b128 v[8:11], v[16:17], off offset:-8
	global_load_b128 v[12:15], v[18:19], off offset:-8
	s_wait_xcnt 0x1
	v_lshlrev_b64_e32 v[16:17], 2, v[6:7]
	s_delay_alu instid0(VALU_DEP_1)
	v_cmp_ge_i64_e32 vcc_lo, v[16:17], v[2:3]
	s_or_b32 s25, vcc_lo, s25
	s_wait_loadcnt 0x0
	v_mad_u32 v9, v13, s24, v9
	v_mad_u32 v8, v12, s23, v8
	;; [unrolled: 1-line block ×4, first 2 shown]
	v_add_nc_u64_e32 v[12:13], s[8:9], v[4:5]
	v_add_nc_u64_e32 v[4:5], s[16:17], v[4:5]
	global_store_b128 v[12:13], v[8:11], off
	s_wait_xcnt 0x0
	s_and_not1_b32 exec_lo, exec_lo, s25
	s_cbranch_execnz .LBB13_3
.LBB13_4:
	s_or_b32 exec_lo, exec_lo, s22
	s_mov_b32 s18, 0
.LBB13_5:
	s_delay_alu instid0(SALU_CYCLE_1)
	s_and_not1_b32 vcc_lo, exec_lo, s18
	s_cbranch_vccnz .LBB13_25
; %bb.6:
	v_cmp_lt_i64_e64 s8, s[10:11], 1
	s_and_b32 vcc_lo, exec_lo, s8
	s_cbranch_vccnz .LBB13_25
; %bb.7:
	v_min_i64 v[2:3], 0x10000, s[10:11]
	v_min_u64 v[4:5], 0x10000, s[10:11]
	s_load_b32 s0, s[0:1], 0xbfc
	v_mov_b32_e32 v1, 0
	s_wait_xcnt 0x0
	s_mov_b32 s1, 0
	s_wait_kmcnt 0x0
	s_mul_i32 s16, s21, s20
	s_mov_b32 s9, s1
	s_mov_b32 s11, s1
	;; [unrolled: 1-line block ×3, first 2 shown]
	s_mov_b64 s[14:15], 0
	s_and_b32 s0, s0, 0xffff
	s_delay_alu instid0(SALU_CYCLE_1)
	s_lshl_b32 s8, s0, 1
	s_mul_i32 s10, s0, 3
	s_lshl_b32 s12, s0, 2
	s_branch .LBB13_9
.LBB13_8:                               ;   in Loop: Header=BB13_9 Depth=1
	s_wait_xcnt 0x0
	s_or_b32 exec_lo, exec_lo, s17
	s_add_nc_u64 s[14:15], s[14:15], s[12:13]
	s_delay_alu instid0(SALU_CYCLE_1)
	v_cmp_ge_i64_e32 vcc_lo, s[14:15], v[2:3]
	s_cbranch_vccnz .LBB13_25
.LBB13_9:                               ; =>This Inner Loop Header: Depth=1
	v_add_nc_u64_e32 v[6:7], s[14:15], v[0:1]
	s_wait_loadcnt 0x0
	v_dual_mov_b32 v15, 0 :: v_dual_mov_b32 v16, 0
	s_mov_b32 s17, exec_lo
	s_delay_alu instid0(VALU_DEP_2)
	v_cmpx_lt_i64_e64 v[6:7], v[2:3]
	s_cbranch_execz .LBB13_11
; %bb.10:                               ;   in Loop: Header=BB13_9 Depth=1
	v_lshlrev_b64_e32 v[8:9], 2, v[6:7]
	s_delay_alu instid0(VALU_DEP_1)
	v_add_nc_u64_e32 v[10:11], s[2:3], v[8:9]
	v_add_nc_u64_e32 v[8:9], s[4:5], v[8:9]
	global_load_b32 v16, v[10:11], off
	global_load_b32 v15, v[8:9], off
.LBB13_11:                              ;   in Loop: Header=BB13_9 Depth=1
	s_wait_xcnt 0x0
	s_or_b32 exec_lo, exec_lo, s17
	v_add_nc_u64_e32 v[8:9], s[0:1], v[6:7]
	v_dual_mov_b32 v14, 0 :: v_dual_mov_b32 v17, 0
	v_mov_b32_e32 v18, 0
	s_mov_b32 s17, exec_lo
	s_delay_alu instid0(VALU_DEP_3)
	v_cmpx_lt_i64_e64 v[8:9], v[2:3]
	s_cbranch_execz .LBB13_13
; %bb.12:                               ;   in Loop: Header=BB13_9 Depth=1
	v_lshlrev_b64_e32 v[10:11], 2, v[8:9]
	s_delay_alu instid0(VALU_DEP_1)
	v_add_nc_u64_e32 v[12:13], s[2:3], v[10:11]
	v_add_nc_u64_e32 v[10:11], s[4:5], v[10:11]
	global_load_b32 v18, v[12:13], off
	global_load_b32 v17, v[10:11], off
.LBB13_13:                              ;   in Loop: Header=BB13_9 Depth=1
	s_wait_xcnt 0x0
	s_or_b32 exec_lo, exec_lo, s17
	v_add_nc_u64_e32 v[10:11], s[8:9], v[6:7]
	v_mov_b32_e32 v19, 0
	s_mov_b32 s17, exec_lo
	s_delay_alu instid0(VALU_DEP_2)
	v_cmpx_lt_i64_e64 v[10:11], v[2:3]
	s_cbranch_execz .LBB13_15
; %bb.14:                               ;   in Loop: Header=BB13_9 Depth=1
	v_lshlrev_b64_e32 v[12:13], 2, v[10:11]
	s_delay_alu instid0(VALU_DEP_1)
	v_add_nc_u64_e32 v[20:21], s[2:3], v[12:13]
	v_add_nc_u64_e32 v[12:13], s[4:5], v[12:13]
	global_load_b32 v19, v[20:21], off
	global_load_b32 v14, v[12:13], off
.LBB13_15:                              ;   in Loop: Header=BB13_9 Depth=1
	s_wait_xcnt 0x0
	s_or_b32 exec_lo, exec_lo, s17
	v_add_nc_u64_e32 v[12:13], s[10:11], v[6:7]
	v_dual_mov_b32 v20, 0 :: v_dual_mov_b32 v21, 0
	s_mov_b32 s17, exec_lo
	s_delay_alu instid0(VALU_DEP_2)
	v_cmpx_lt_i64_e64 v[12:13], v[2:3]
	s_cbranch_execnz .LBB13_20
; %bb.16:                               ;   in Loop: Header=BB13_9 Depth=1
	s_or_b32 exec_lo, exec_lo, s17
	s_delay_alu instid0(SALU_CYCLE_1)
	s_mov_b32 s17, exec_lo
	v_cmpx_lt_u64_e64 v[6:7], v[4:5]
	s_cbranch_execnz .LBB13_21
.LBB13_17:                              ;   in Loop: Header=BB13_9 Depth=1
	s_or_b32 exec_lo, exec_lo, s17
	s_delay_alu instid0(SALU_CYCLE_1)
	s_mov_b32 s17, exec_lo
	v_cmpx_lt_u64_e64 v[8:9], v[4:5]
	s_cbranch_execnz .LBB13_22
.LBB13_18:                              ;   in Loop: Header=BB13_9 Depth=1
	s_or_b32 exec_lo, exec_lo, s17
	s_delay_alu instid0(SALU_CYCLE_1)
	s_mov_b32 s17, exec_lo
	v_cmpx_lt_u64_e64 v[10:11], v[4:5]
	s_cbranch_execnz .LBB13_23
.LBB13_19:                              ;   in Loop: Header=BB13_9 Depth=1
	s_or_b32 exec_lo, exec_lo, s17
	s_delay_alu instid0(SALU_CYCLE_1)
	s_mov_b32 s17, exec_lo
	v_cmpx_lt_u64_e64 v[12:13], v[4:5]
	s_cbranch_execz .LBB13_8
	s_branch .LBB13_24
.LBB13_20:                              ;   in Loop: Header=BB13_9 Depth=1
	v_lshlrev_b64_e32 v[20:21], 2, v[12:13]
	s_delay_alu instid0(VALU_DEP_1)
	v_add_nc_u64_e32 v[22:23], s[2:3], v[20:21]
	v_add_nc_u64_e32 v[24:25], s[4:5], v[20:21]
	global_load_b32 v21, v[22:23], off
	global_load_b32 v20, v[24:25], off
	s_wait_xcnt 0x0
	s_or_b32 exec_lo, exec_lo, s17
	s_delay_alu instid0(SALU_CYCLE_1)
	s_mov_b32 s17, exec_lo
	v_cmpx_lt_u64_e64 v[6:7], v[4:5]
	s_cbranch_execz .LBB13_17
.LBB13_21:                              ;   in Loop: Header=BB13_9 Depth=1
	s_wait_loadcnt 0x0
	v_mad_u32 v15, v15, s16, v16
	v_lshl_add_u64 v[6:7], v[6:7], 2, s[6:7]
	global_store_b32 v[6:7], v15, off
	s_wait_xcnt 0x0
	s_or_b32 exec_lo, exec_lo, s17
	s_delay_alu instid0(SALU_CYCLE_1)
	s_mov_b32 s17, exec_lo
	v_cmpx_lt_u64_e64 v[8:9], v[4:5]
	s_cbranch_execz .LBB13_18
.LBB13_22:                              ;   in Loop: Header=BB13_9 Depth=1
	s_wait_loadcnt 0x0
	v_mad_u32 v15, v17, s16, v18
	v_lshl_add_u64 v[6:7], v[8:9], 2, s[6:7]
	global_store_b32 v[6:7], v15, off
	s_wait_xcnt 0x0
	s_or_b32 exec_lo, exec_lo, s17
	s_delay_alu instid0(SALU_CYCLE_1)
	s_mov_b32 s17, exec_lo
	v_cmpx_lt_u64_e64 v[10:11], v[4:5]
	s_cbranch_execz .LBB13_19
.LBB13_23:                              ;   in Loop: Header=BB13_9 Depth=1
	s_wait_loadcnt 0x0
	v_mad_u32 v8, v14, s16, v19
	v_lshl_add_u64 v[6:7], v[10:11], 2, s[6:7]
	global_store_b32 v[6:7], v8, off
	s_wait_xcnt 0x0
	s_or_b32 exec_lo, exec_lo, s17
	s_delay_alu instid0(SALU_CYCLE_1)
	s_mov_b32 s17, exec_lo
	v_cmpx_lt_u64_e64 v[12:13], v[4:5]
	s_cbranch_execz .LBB13_8
.LBB13_24:                              ;   in Loop: Header=BB13_9 Depth=1
	s_wait_loadcnt 0x0
	v_mad_u32 v8, v20, s16, v21
	v_lshl_add_u64 v[6:7], v[12:13], 2, s[6:7]
	global_store_b32 v[6:7], v8, off
	s_branch .LBB13_8
.LBB13_25:
	s_endpgm
	.section	.rodata,"a",@progbits
	.p2align	6, 0x0
	.amdhsa_kernel _ZN2at6native12_GLOBAL__N_125multi_tensor_apply_kernelINS1_18TensorListMetadataILi4EEENS1_32PointwiseOpScalar0dTensorFunctorIiLi4ELi2ELi3EEEJSt10multipliesIiEiEEEvT_T0_DpT1_
		.amdhsa_group_segment_fixed_size 0
		.amdhsa_private_segment_fixed_size 0
		.amdhsa_kernarg_size 3312
		.amdhsa_user_sgpr_count 2
		.amdhsa_user_sgpr_dispatch_ptr 0
		.amdhsa_user_sgpr_queue_ptr 0
		.amdhsa_user_sgpr_kernarg_segment_ptr 1
		.amdhsa_user_sgpr_dispatch_id 0
		.amdhsa_user_sgpr_kernarg_preload_length 0
		.amdhsa_user_sgpr_kernarg_preload_offset 0
		.amdhsa_user_sgpr_private_segment_size 0
		.amdhsa_wavefront_size32 1
		.amdhsa_uses_dynamic_stack 0
		.amdhsa_enable_private_segment 0
		.amdhsa_system_sgpr_workgroup_id_x 1
		.amdhsa_system_sgpr_workgroup_id_y 0
		.amdhsa_system_sgpr_workgroup_id_z 0
		.amdhsa_system_sgpr_workgroup_info 0
		.amdhsa_system_vgpr_workitem_id 0
		.amdhsa_next_free_vgpr 26
		.amdhsa_next_free_sgpr 29
		.amdhsa_named_barrier_count 0
		.amdhsa_reserve_vcc 1
		.amdhsa_float_round_mode_32 0
		.amdhsa_float_round_mode_16_64 0
		.amdhsa_float_denorm_mode_32 3
		.amdhsa_float_denorm_mode_16_64 3
		.amdhsa_fp16_overflow 0
		.amdhsa_memory_ordered 1
		.amdhsa_forward_progress 1
		.amdhsa_inst_pref_size 11
		.amdhsa_round_robin_scheduling 0
		.amdhsa_exception_fp_ieee_invalid_op 0
		.amdhsa_exception_fp_denorm_src 0
		.amdhsa_exception_fp_ieee_div_zero 0
		.amdhsa_exception_fp_ieee_overflow 0
		.amdhsa_exception_fp_ieee_underflow 0
		.amdhsa_exception_fp_ieee_inexact 0
		.amdhsa_exception_int_div_zero 0
	.end_amdhsa_kernel
	.section	.text._ZN2at6native12_GLOBAL__N_125multi_tensor_apply_kernelINS1_18TensorListMetadataILi4EEENS1_32PointwiseOpScalar0dTensorFunctorIiLi4ELi2ELi3EEEJSt10multipliesIiEiEEEvT_T0_DpT1_,"axG",@progbits,_ZN2at6native12_GLOBAL__N_125multi_tensor_apply_kernelINS1_18TensorListMetadataILi4EEENS1_32PointwiseOpScalar0dTensorFunctorIiLi4ELi2ELi3EEEJSt10multipliesIiEiEEEvT_T0_DpT1_,comdat
.Lfunc_end13:
	.size	_ZN2at6native12_GLOBAL__N_125multi_tensor_apply_kernelINS1_18TensorListMetadataILi4EEENS1_32PointwiseOpScalar0dTensorFunctorIiLi4ELi2ELi3EEEJSt10multipliesIiEiEEEvT_T0_DpT1_, .Lfunc_end13-_ZN2at6native12_GLOBAL__N_125multi_tensor_apply_kernelINS1_18TensorListMetadataILi4EEENS1_32PointwiseOpScalar0dTensorFunctorIiLi4ELi2ELi3EEEJSt10multipliesIiEiEEEvT_T0_DpT1_
                                        ; -- End function
	.set _ZN2at6native12_GLOBAL__N_125multi_tensor_apply_kernelINS1_18TensorListMetadataILi4EEENS1_32PointwiseOpScalar0dTensorFunctorIiLi4ELi2ELi3EEEJSt10multipliesIiEiEEEvT_T0_DpT1_.num_vgpr, 26
	.set _ZN2at6native12_GLOBAL__N_125multi_tensor_apply_kernelINS1_18TensorListMetadataILi4EEENS1_32PointwiseOpScalar0dTensorFunctorIiLi4ELi2ELi3EEEJSt10multipliesIiEiEEEvT_T0_DpT1_.num_agpr, 0
	.set _ZN2at6native12_GLOBAL__N_125multi_tensor_apply_kernelINS1_18TensorListMetadataILi4EEENS1_32PointwiseOpScalar0dTensorFunctorIiLi4ELi2ELi3EEEJSt10multipliesIiEiEEEvT_T0_DpT1_.numbered_sgpr, 29
	.set _ZN2at6native12_GLOBAL__N_125multi_tensor_apply_kernelINS1_18TensorListMetadataILi4EEENS1_32PointwiseOpScalar0dTensorFunctorIiLi4ELi2ELi3EEEJSt10multipliesIiEiEEEvT_T0_DpT1_.num_named_barrier, 0
	.set _ZN2at6native12_GLOBAL__N_125multi_tensor_apply_kernelINS1_18TensorListMetadataILi4EEENS1_32PointwiseOpScalar0dTensorFunctorIiLi4ELi2ELi3EEEJSt10multipliesIiEiEEEvT_T0_DpT1_.private_seg_size, 0
	.set _ZN2at6native12_GLOBAL__N_125multi_tensor_apply_kernelINS1_18TensorListMetadataILi4EEENS1_32PointwiseOpScalar0dTensorFunctorIiLi4ELi2ELi3EEEJSt10multipliesIiEiEEEvT_T0_DpT1_.uses_vcc, 1
	.set _ZN2at6native12_GLOBAL__N_125multi_tensor_apply_kernelINS1_18TensorListMetadataILi4EEENS1_32PointwiseOpScalar0dTensorFunctorIiLi4ELi2ELi3EEEJSt10multipliesIiEiEEEvT_T0_DpT1_.uses_flat_scratch, 0
	.set _ZN2at6native12_GLOBAL__N_125multi_tensor_apply_kernelINS1_18TensorListMetadataILi4EEENS1_32PointwiseOpScalar0dTensorFunctorIiLi4ELi2ELi3EEEJSt10multipliesIiEiEEEvT_T0_DpT1_.has_dyn_sized_stack, 0
	.set _ZN2at6native12_GLOBAL__N_125multi_tensor_apply_kernelINS1_18TensorListMetadataILi4EEENS1_32PointwiseOpScalar0dTensorFunctorIiLi4ELi2ELi3EEEJSt10multipliesIiEiEEEvT_T0_DpT1_.has_recursion, 0
	.set _ZN2at6native12_GLOBAL__N_125multi_tensor_apply_kernelINS1_18TensorListMetadataILi4EEENS1_32PointwiseOpScalar0dTensorFunctorIiLi4ELi2ELi3EEEJSt10multipliesIiEiEEEvT_T0_DpT1_.has_indirect_call, 0
	.section	.AMDGPU.csdata,"",@progbits
; Kernel info:
; codeLenInByte = 1312
; TotalNumSgprs: 31
; NumVgprs: 26
; ScratchSize: 0
; MemoryBound: 0
; FloatMode: 240
; IeeeMode: 1
; LDSByteSize: 0 bytes/workgroup (compile time only)
; SGPRBlocks: 0
; VGPRBlocks: 1
; NumSGPRsForWavesPerEU: 31
; NumVGPRsForWavesPerEU: 26
; NamedBarCnt: 0
; Occupancy: 16
; WaveLimiterHint : 0
; COMPUTE_PGM_RSRC2:SCRATCH_EN: 0
; COMPUTE_PGM_RSRC2:USER_SGPR: 2
; COMPUTE_PGM_RSRC2:TRAP_HANDLER: 0
; COMPUTE_PGM_RSRC2:TGID_X_EN: 1
; COMPUTE_PGM_RSRC2:TGID_Y_EN: 0
; COMPUTE_PGM_RSRC2:TGID_Z_EN: 0
; COMPUTE_PGM_RSRC2:TIDIG_COMP_CNT: 0
	.section	.text._ZN2at6native12_GLOBAL__N_125multi_tensor_apply_kernelINS1_18TensorListMetadataILi4EEENS1_32PointwiseOpScalar0dTensorFunctorIlLi4ELi2ELi3EEEJSt10multipliesIlElEEEvT_T0_DpT1_,"axG",@progbits,_ZN2at6native12_GLOBAL__N_125multi_tensor_apply_kernelINS1_18TensorListMetadataILi4EEENS1_32PointwiseOpScalar0dTensorFunctorIlLi4ELi2ELi3EEEJSt10multipliesIlElEEEvT_T0_DpT1_,comdat
	.globl	_ZN2at6native12_GLOBAL__N_125multi_tensor_apply_kernelINS1_18TensorListMetadataILi4EEENS1_32PointwiseOpScalar0dTensorFunctorIlLi4ELi2ELi3EEEJSt10multipliesIlElEEEvT_T0_DpT1_ ; -- Begin function _ZN2at6native12_GLOBAL__N_125multi_tensor_apply_kernelINS1_18TensorListMetadataILi4EEENS1_32PointwiseOpScalar0dTensorFunctorIlLi4ELi2ELi3EEEJSt10multipliesIlElEEEvT_T0_DpT1_
	.p2align	8
	.type	_ZN2at6native12_GLOBAL__N_125multi_tensor_apply_kernelINS1_18TensorListMetadataILi4EEENS1_32PointwiseOpScalar0dTensorFunctorIlLi4ELi2ELi3EEEJSt10multipliesIlElEEEvT_T0_DpT1_,@function
_ZN2at6native12_GLOBAL__N_125multi_tensor_apply_kernelINS1_18TensorListMetadataILi4EEENS1_32PointwiseOpScalar0dTensorFunctorIlLi4ELi2ELi3EEEJSt10multipliesIlElEEEvT_T0_DpT1_: ; @_ZN2at6native12_GLOBAL__N_125multi_tensor_apply_kernelINS1_18TensorListMetadataILi4EEENS1_32PointwiseOpScalar0dTensorFunctorIlLi4ELi2ELi3EEEJSt10multipliesIlElEEEvT_T0_DpT1_
; %bb.0:
	s_bfe_u32 s2, ttmp6, 0x4000c
	s_and_b32 s3, ttmp6, 15
	s_add_co_i32 s2, s2, 1
	s_getreg_b32 s4, hwreg(HW_REG_IB_STS2, 6, 4)
	s_mul_i32 s2, ttmp9, s2
	s_mov_b32 s13, 0
	s_add_co_i32 s3, s3, s2
	s_cmp_eq_u32 s4, 0
	s_cselect_b32 s12, ttmp9, s3
	s_load_u8 s15, s[0:1], s12 offset:0x5a0
	s_add_nc_u64 s[2:3], s[0:1], s[12:13]
	s_mul_u64 s[4:5], s[12:13], 3
	s_delay_alu instid0(SALU_CYCLE_1)
	s_add_nc_u64 s[2:3], s[2:3], s[4:5]
	s_load_b32 s14, s[2:3], 0x6e0
	s_wait_kmcnt 0x0
	s_clause 0x4
	s_load_b64 s[4:5], s[0:1], s15 offset:0x0 scale_offset
	s_load_b64 s[10:11], s[0:1], s15 offset:0x120 scale_offset
	;; [unrolled: 1-line block ×5, first 2 shown]
	s_wait_xcnt 0x0
	s_ashr_i32 s15, s14, 31
	s_delay_alu instid0(SALU_CYCLE_1)
	s_lshl_b64 s[18:19], s[14:15], 19
	s_wait_kmcnt 0x0
	s_add_nc_u64 s[20:21], s[10:11], s[18:19]
	s_add_nc_u64 s[2:3], s[4:5], s[18:19]
	s_and_b32 s12, s20, 31
	s_and_b64 s[20:21], s[2:3], 31
	s_add_nc_u64 s[4:5], s[6:7], s[18:19]
	s_cmp_lg_u64 s[12:13], 0
	s_add_nc_u64 s[6:7], s[8:9], s[18:19]
	s_cselect_b32 s18, -1, 0
	s_or_b32 s8, s6, s4
	s_load_b64 s[10:11], s[10:11], 0x0
	s_and_b32 s12, s8, 31
	s_load_b64 s[8:9], s[0:1], 0xbf0
	s_cmp_lg_u32 s12, 0
	s_cselect_b32 s19, -1, 0
	s_and_b32 s12, s16, 3
	s_lshl_b64 s[14:15], s[14:15], 16
	s_or_b64 s[12:13], s[20:21], s[12:13]
	s_or_b32 s18, s19, s18
	s_cmp_lg_u64 s[12:13], 0
	s_cselect_b32 s12, -1, 0
	s_delay_alu instid0(SALU_CYCLE_1)
	s_or_b32 s18, s18, s12
	s_sub_nc_u64 s[12:13], s[16:17], s[14:15]
	s_and_not1_b32 vcc_lo, exec_lo, s18
	s_mov_b32 s14, -1
	s_cbranch_vccz .LBB14_5
; %bb.1:
	v_min_i64 v[2:3], 0x10000, s[12:13]
	v_dual_mov_b32 v5, 0 :: v_dual_lshlrev_b32 v4, 2, v0
	s_mov_b32 s26, exec_lo
	s_delay_alu instid0(VALU_DEP_1)
	v_cmpx_lt_i64_e64 v[4:5], v[2:3]
	s_cbranch_execz .LBB14_4
; %bb.2:
	s_load_b32 s16, s[0:1], 0xc04
	v_dual_mov_b32 v1, v5 :: v_dual_lshlrev_b32 v4, 5, v0
	s_mov_b32 s17, 0
	s_wait_kmcnt 0x0
	s_mul_u64 s[14:15], s[10:11], s[8:9]
	s_mov_b64 s[18:19], s[4:5]
	v_mov_b64_e32 v[6:7], v[0:1]
	s_mov_b64 s[20:21], s[2:3]
	s_mov_b32 s23, s17
	s_mov_b32 s27, s17
	s_mov_b64 s[24:25], s[6:7]
	s_and_b32 s16, s16, 0xffff
	s_delay_alu instid0(SALU_CYCLE_1)
	s_lshl_b32 s22, s16, 5
.LBB14_3:                               ; =>This Inner Loop Header: Depth=1
	v_add_nc_u64_e32 v[24:25], s[18:19], v[4:5]
	v_add_nc_u64_e32 v[26:27], s[20:21], v[4:5]
	v_add_nc_u64_e32 v[6:7], s[16:17], v[6:7]
	s_add_nc_u64 s[20:21], s[20:21], s[22:23]
	s_add_nc_u64 s[18:19], s[18:19], s[22:23]
	global_load_b128 v[8:11], v[24:25], off
	s_clause 0x1
	global_load_b128 v[12:15], v[26:27], off
	global_load_b128 v[16:19], v[26:27], off offset:16
	global_load_b128 v[20:23], v[24:25], off offset:16
	s_wait_xcnt 0x0
	v_lshlrev_b64_e32 v[24:25], 2, v[6:7]
	s_delay_alu instid0(VALU_DEP_1)
	v_cmp_ge_i64_e32 vcc_lo, v[24:25], v[2:3]
	s_or_b32 s27, vcc_lo, s27
	s_wait_loadcnt 0x2
	v_mad_nc_u64_u32 v[12:13], v8, s14, v[12:13]
	v_mad_nc_u64_u32 v[14:15], v10, s14, v[14:15]
	s_wait_loadcnt 0x0
	v_mad_nc_u64_u32 v[16:17], v20, s14, v[16:17]
	v_mad_nc_u64_u32 v[18:19], v22, s14, v[18:19]
	s_delay_alu instid0(VALU_DEP_4) | instskip(NEXT) | instid1(VALU_DEP_4)
	v_mad_u32 v1, v9, s14, v13
	v_mad_u32 v9, v11, s14, v15
	s_delay_alu instid0(VALU_DEP_4) | instskip(NEXT) | instid1(VALU_DEP_4)
	v_mad_u32 v11, v21, s14, v17
	v_mad_u32 v19, v23, s14, v19
	;; [unrolled: 3-line block ×4, first 2 shown]
	v_add_nc_u64_e32 v[8:9], s[24:25], v[4:5]
	s_add_nc_u64 s[24:25], s[24:25], s[22:23]
	s_clause 0x1
	global_store_b128 v[8:9], v[12:15], off
	global_store_b128 v[8:9], v[16:19], off offset:16
	s_wait_xcnt 0x0
	s_and_not1_b32 exec_lo, exec_lo, s27
	s_cbranch_execnz .LBB14_3
.LBB14_4:
	s_or_b32 exec_lo, exec_lo, s26
	s_mov_b32 s14, 0
.LBB14_5:
	s_delay_alu instid0(SALU_CYCLE_1)
	s_and_not1_b32 vcc_lo, exec_lo, s14
	s_cbranch_vccnz .LBB14_25
; %bb.6:
	v_cmp_lt_i64_e64 s14, s[12:13], 1
	s_and_b32 vcc_lo, exec_lo, s14
	s_cbranch_vccnz .LBB14_25
; %bb.7:
	v_min_i64 v[2:3], 0x10000, s[12:13]
	v_min_u64 v[4:5], 0x10000, s[12:13]
	s_wait_xcnt 0x0
	s_load_b32 s0, s[0:1], 0xc04
	v_mov_b32_e32 v1, 0
	s_wait_xcnt 0x0
	s_mov_b32 s1, 0
	s_wait_kmcnt 0x0
	s_mul_u64 s[8:9], s[10:11], s[8:9]
	s_mov_b32 s11, s1
	s_mov_b32 s13, s1
	;; [unrolled: 1-line block ×3, first 2 shown]
	s_mov_b64 s[16:17], 0
	s_and_b32 s0, s0, 0xffff
	s_delay_alu instid0(SALU_CYCLE_1)
	s_lshl_b32 s10, s0, 1
	s_mul_i32 s12, s0, 3
	s_lshl_b32 s14, s0, 2
	s_branch .LBB14_9
.LBB14_8:                               ;   in Loop: Header=BB14_9 Depth=1
	s_wait_xcnt 0x0
	s_or_b32 exec_lo, exec_lo, s18
	s_add_nc_u64 s[16:17], s[16:17], s[14:15]
	s_delay_alu instid0(SALU_CYCLE_1)
	v_cmp_ge_i64_e32 vcc_lo, s[16:17], v[2:3]
	s_cbranch_vccnz .LBB14_25
.LBB14_9:                               ; =>This Inner Loop Header: Depth=1
	v_add_nc_u64_e32 v[8:9], s[16:17], v[0:1]
	s_wait_loadcnt 0x0
	v_mov_b64_e32 v[6:7], 0
	v_mov_b64_e32 v[14:15], 0
	v_mov_b64_e32 v[16:17], 0
	s_mov_b32 s18, exec_lo
	s_delay_alu instid0(VALU_DEP_4)
	v_cmpx_lt_i64_e64 v[8:9], v[2:3]
	s_cbranch_execz .LBB14_11
; %bb.10:                               ;   in Loop: Header=BB14_9 Depth=1
	v_lshlrev_b64_e32 v[10:11], 3, v[8:9]
	s_delay_alu instid0(VALU_DEP_1)
	v_add_nc_u64_e32 v[12:13], s[2:3], v[10:11]
	v_add_nc_u64_e32 v[10:11], s[4:5], v[10:11]
	global_load_b64 v[16:17], v[12:13], off
	global_load_b64 v[14:15], v[10:11], off
.LBB14_11:                              ;   in Loop: Header=BB14_9 Depth=1
	s_wait_xcnt 0x0
	s_or_b32 exec_lo, exec_lo, s18
	v_add_nc_u64_e32 v[10:11], s[0:1], v[8:9]
	v_mov_b64_e32 v[20:21], 0
	s_mov_b32 s18, exec_lo
	s_delay_alu instid0(VALU_DEP_2)
	v_cmpx_lt_i64_e64 v[10:11], v[2:3]
	s_cbranch_execz .LBB14_13
; %bb.12:                               ;   in Loop: Header=BB14_9 Depth=1
	v_lshlrev_b64_e32 v[6:7], 3, v[10:11]
	s_delay_alu instid0(VALU_DEP_1)
	v_add_nc_u64_e32 v[12:13], s[2:3], v[6:7]
	v_add_nc_u64_e32 v[18:19], s[4:5], v[6:7]
	global_load_b64 v[20:21], v[12:13], off
	global_load_b64 v[6:7], v[18:19], off
.LBB14_13:                              ;   in Loop: Header=BB14_9 Depth=1
	s_wait_xcnt 0x0
	s_or_b32 exec_lo, exec_lo, s18
	v_add_nc_u64_e32 v[18:19], s[10:11], v[8:9]
	v_mov_b64_e32 v[12:13], 0
	v_mov_b64_e32 v[24:25], 0
	;; [unrolled: 1-line block ×3, first 2 shown]
	s_mov_b32 s18, exec_lo
	s_delay_alu instid0(VALU_DEP_4)
	v_cmpx_lt_i64_e64 v[18:19], v[2:3]
	s_cbranch_execz .LBB14_15
; %bb.14:                               ;   in Loop: Header=BB14_9 Depth=1
	v_lshlrev_b64_e32 v[22:23], 3, v[18:19]
	s_delay_alu instid0(VALU_DEP_1)
	v_add_nc_u64_e32 v[28:29], s[2:3], v[22:23]
	v_add_nc_u64_e32 v[22:23], s[4:5], v[22:23]
	global_load_b64 v[26:27], v[28:29], off
	global_load_b64 v[24:25], v[22:23], off
.LBB14_15:                              ;   in Loop: Header=BB14_9 Depth=1
	s_wait_xcnt 0x0
	s_or_b32 exec_lo, exec_lo, s18
	v_add_nc_u64_e32 v[22:23], s[12:13], v[8:9]
	v_mov_b64_e32 v[28:29], 0
	s_mov_b32 s18, exec_lo
	s_delay_alu instid0(VALU_DEP_2)
	v_cmpx_lt_i64_e64 v[22:23], v[2:3]
	s_cbranch_execnz .LBB14_20
; %bb.16:                               ;   in Loop: Header=BB14_9 Depth=1
	s_or_b32 exec_lo, exec_lo, s18
	s_delay_alu instid0(SALU_CYCLE_1)
	s_mov_b32 s18, exec_lo
	v_cmpx_lt_u64_e64 v[8:9], v[4:5]
	s_cbranch_execnz .LBB14_21
.LBB14_17:                              ;   in Loop: Header=BB14_9 Depth=1
	s_or_b32 exec_lo, exec_lo, s18
	s_delay_alu instid0(SALU_CYCLE_1)
	s_mov_b32 s18, exec_lo
	v_cmpx_lt_u64_e64 v[10:11], v[4:5]
	s_cbranch_execnz .LBB14_22
.LBB14_18:                              ;   in Loop: Header=BB14_9 Depth=1
	s_or_b32 exec_lo, exec_lo, s18
	s_delay_alu instid0(SALU_CYCLE_1)
	s_mov_b32 s18, exec_lo
	v_cmpx_lt_u64_e64 v[18:19], v[4:5]
	s_cbranch_execnz .LBB14_23
.LBB14_19:                              ;   in Loop: Header=BB14_9 Depth=1
	s_or_b32 exec_lo, exec_lo, s18
	s_delay_alu instid0(SALU_CYCLE_1)
	s_mov_b32 s18, exec_lo
	v_cmpx_lt_u64_e64 v[22:23], v[4:5]
	s_cbranch_execz .LBB14_8
	s_branch .LBB14_24
.LBB14_20:                              ;   in Loop: Header=BB14_9 Depth=1
	v_lshlrev_b64_e32 v[12:13], 3, v[22:23]
	s_delay_alu instid0(VALU_DEP_1)
	v_add_nc_u64_e32 v[30:31], s[2:3], v[12:13]
	v_add_nc_u64_e32 v[32:33], s[4:5], v[12:13]
	global_load_b64 v[28:29], v[30:31], off
	global_load_b64 v[12:13], v[32:33], off
	s_wait_xcnt 0x0
	s_or_b32 exec_lo, exec_lo, s18
	s_delay_alu instid0(SALU_CYCLE_1)
	s_mov_b32 s18, exec_lo
	v_cmpx_lt_u64_e64 v[8:9], v[4:5]
	s_cbranch_execz .LBB14_17
.LBB14_21:                              ;   in Loop: Header=BB14_9 Depth=1
	s_wait_loadcnt 0x0
	v_mad_nc_u64_u32 v[16:17], v14, s8, v[16:17]
	v_lshl_add_u64 v[8:9], v[8:9], 3, s[6:7]
	s_delay_alu instid0(VALU_DEP_2) | instskip(NEXT) | instid1(VALU_DEP_1)
	v_mad_u32 v15, v15, s8, v17
	v_mad_u32 v17, v14, s9, v15
	global_store_b64 v[8:9], v[16:17], off
	s_wait_xcnt 0x0
	s_or_b32 exec_lo, exec_lo, s18
	s_delay_alu instid0(SALU_CYCLE_1)
	s_mov_b32 s18, exec_lo
	v_cmpx_lt_u64_e64 v[10:11], v[4:5]
	s_cbranch_execz .LBB14_18
.LBB14_22:                              ;   in Loop: Header=BB14_9 Depth=1
	s_wait_loadcnt 0x0
	v_mad_nc_u64_u32 v[8:9], v6, s8, v[20:21]
	s_delay_alu instid0(VALU_DEP_1) | instskip(NEXT) | instid1(VALU_DEP_1)
	v_mad_u32 v7, v7, s8, v9
	v_mad_u32 v9, v6, s9, v7
	v_lshl_add_u64 v[6:7], v[10:11], 3, s[6:7]
	global_store_b64 v[6:7], v[8:9], off
	s_wait_xcnt 0x0
	s_or_b32 exec_lo, exec_lo, s18
	s_delay_alu instid0(SALU_CYCLE_1)
	s_mov_b32 s18, exec_lo
	v_cmpx_lt_u64_e64 v[18:19], v[4:5]
	s_cbranch_execz .LBB14_19
.LBB14_23:                              ;   in Loop: Header=BB14_9 Depth=1
	s_wait_loadcnt 0x0
	v_mad_nc_u64_u32 v[6:7], v24, s8, v[26:27]
	v_lshl_add_u64 v[8:9], v[18:19], 3, s[6:7]
	s_delay_alu instid0(VALU_DEP_2) | instskip(NEXT) | instid1(VALU_DEP_1)
	v_mad_u32 v7, v25, s8, v7
	v_mad_u32 v7, v24, s9, v7
	global_store_b64 v[8:9], v[6:7], off
	s_wait_xcnt 0x0
	s_or_b32 exec_lo, exec_lo, s18
	s_delay_alu instid0(SALU_CYCLE_1)
	s_mov_b32 s18, exec_lo
	v_cmpx_lt_u64_e64 v[22:23], v[4:5]
	s_cbranch_execz .LBB14_8
.LBB14_24:                              ;   in Loop: Header=BB14_9 Depth=1
	s_wait_loadcnt 0x0
	v_mad_nc_u64_u32 v[6:7], v12, s8, v[28:29]
	v_lshl_add_u64 v[8:9], v[22:23], 3, s[6:7]
	s_delay_alu instid0(VALU_DEP_2) | instskip(NEXT) | instid1(VALU_DEP_1)
	v_mad_u32 v7, v13, s8, v7
	v_mad_u32 v7, v12, s9, v7
	global_store_b64 v[8:9], v[6:7], off
	s_branch .LBB14_8
.LBB14_25:
	s_endpgm
	.section	.rodata,"a",@progbits
	.p2align	6, 0x0
	.amdhsa_kernel _ZN2at6native12_GLOBAL__N_125multi_tensor_apply_kernelINS1_18TensorListMetadataILi4EEENS1_32PointwiseOpScalar0dTensorFunctorIlLi4ELi2ELi3EEEJSt10multipliesIlElEEEvT_T0_DpT1_
		.amdhsa_group_segment_fixed_size 0
		.amdhsa_private_segment_fixed_size 0
		.amdhsa_kernarg_size 3320
		.amdhsa_user_sgpr_count 2
		.amdhsa_user_sgpr_dispatch_ptr 0
		.amdhsa_user_sgpr_queue_ptr 0
		.amdhsa_user_sgpr_kernarg_segment_ptr 1
		.amdhsa_user_sgpr_dispatch_id 0
		.amdhsa_user_sgpr_kernarg_preload_length 0
		.amdhsa_user_sgpr_kernarg_preload_offset 0
		.amdhsa_user_sgpr_private_segment_size 0
		.amdhsa_wavefront_size32 1
		.amdhsa_uses_dynamic_stack 0
		.amdhsa_enable_private_segment 0
		.amdhsa_system_sgpr_workgroup_id_x 1
		.amdhsa_system_sgpr_workgroup_id_y 0
		.amdhsa_system_sgpr_workgroup_id_z 0
		.amdhsa_system_sgpr_workgroup_info 0
		.amdhsa_system_vgpr_workitem_id 0
		.amdhsa_next_free_vgpr 34
		.amdhsa_next_free_sgpr 28
		.amdhsa_named_barrier_count 0
		.amdhsa_reserve_vcc 1
		.amdhsa_float_round_mode_32 0
		.amdhsa_float_round_mode_16_64 0
		.amdhsa_float_denorm_mode_32 3
		.amdhsa_float_denorm_mode_16_64 3
		.amdhsa_fp16_overflow 0
		.amdhsa_memory_ordered 1
		.amdhsa_forward_progress 1
		.amdhsa_inst_pref_size 12
		.amdhsa_round_robin_scheduling 0
		.amdhsa_exception_fp_ieee_invalid_op 0
		.amdhsa_exception_fp_denorm_src 0
		.amdhsa_exception_fp_ieee_div_zero 0
		.amdhsa_exception_fp_ieee_overflow 0
		.amdhsa_exception_fp_ieee_underflow 0
		.amdhsa_exception_fp_ieee_inexact 0
		.amdhsa_exception_int_div_zero 0
	.end_amdhsa_kernel
	.section	.text._ZN2at6native12_GLOBAL__N_125multi_tensor_apply_kernelINS1_18TensorListMetadataILi4EEENS1_32PointwiseOpScalar0dTensorFunctorIlLi4ELi2ELi3EEEJSt10multipliesIlElEEEvT_T0_DpT1_,"axG",@progbits,_ZN2at6native12_GLOBAL__N_125multi_tensor_apply_kernelINS1_18TensorListMetadataILi4EEENS1_32PointwiseOpScalar0dTensorFunctorIlLi4ELi2ELi3EEEJSt10multipliesIlElEEEvT_T0_DpT1_,comdat
.Lfunc_end14:
	.size	_ZN2at6native12_GLOBAL__N_125multi_tensor_apply_kernelINS1_18TensorListMetadataILi4EEENS1_32PointwiseOpScalar0dTensorFunctorIlLi4ELi2ELi3EEEJSt10multipliesIlElEEEvT_T0_DpT1_, .Lfunc_end14-_ZN2at6native12_GLOBAL__N_125multi_tensor_apply_kernelINS1_18TensorListMetadataILi4EEENS1_32PointwiseOpScalar0dTensorFunctorIlLi4ELi2ELi3EEEJSt10multipliesIlElEEEvT_T0_DpT1_
                                        ; -- End function
	.set _ZN2at6native12_GLOBAL__N_125multi_tensor_apply_kernelINS1_18TensorListMetadataILi4EEENS1_32PointwiseOpScalar0dTensorFunctorIlLi4ELi2ELi3EEEJSt10multipliesIlElEEEvT_T0_DpT1_.num_vgpr, 34
	.set _ZN2at6native12_GLOBAL__N_125multi_tensor_apply_kernelINS1_18TensorListMetadataILi4EEENS1_32PointwiseOpScalar0dTensorFunctorIlLi4ELi2ELi3EEEJSt10multipliesIlElEEEvT_T0_DpT1_.num_agpr, 0
	.set _ZN2at6native12_GLOBAL__N_125multi_tensor_apply_kernelINS1_18TensorListMetadataILi4EEENS1_32PointwiseOpScalar0dTensorFunctorIlLi4ELi2ELi3EEEJSt10multipliesIlElEEEvT_T0_DpT1_.numbered_sgpr, 28
	.set _ZN2at6native12_GLOBAL__N_125multi_tensor_apply_kernelINS1_18TensorListMetadataILi4EEENS1_32PointwiseOpScalar0dTensorFunctorIlLi4ELi2ELi3EEEJSt10multipliesIlElEEEvT_T0_DpT1_.num_named_barrier, 0
	.set _ZN2at6native12_GLOBAL__N_125multi_tensor_apply_kernelINS1_18TensorListMetadataILi4EEENS1_32PointwiseOpScalar0dTensorFunctorIlLi4ELi2ELi3EEEJSt10multipliesIlElEEEvT_T0_DpT1_.private_seg_size, 0
	.set _ZN2at6native12_GLOBAL__N_125multi_tensor_apply_kernelINS1_18TensorListMetadataILi4EEENS1_32PointwiseOpScalar0dTensorFunctorIlLi4ELi2ELi3EEEJSt10multipliesIlElEEEvT_T0_DpT1_.uses_vcc, 1
	.set _ZN2at6native12_GLOBAL__N_125multi_tensor_apply_kernelINS1_18TensorListMetadataILi4EEENS1_32PointwiseOpScalar0dTensorFunctorIlLi4ELi2ELi3EEEJSt10multipliesIlElEEEvT_T0_DpT1_.uses_flat_scratch, 0
	.set _ZN2at6native12_GLOBAL__N_125multi_tensor_apply_kernelINS1_18TensorListMetadataILi4EEENS1_32PointwiseOpScalar0dTensorFunctorIlLi4ELi2ELi3EEEJSt10multipliesIlElEEEvT_T0_DpT1_.has_dyn_sized_stack, 0
	.set _ZN2at6native12_GLOBAL__N_125multi_tensor_apply_kernelINS1_18TensorListMetadataILi4EEENS1_32PointwiseOpScalar0dTensorFunctorIlLi4ELi2ELi3EEEJSt10multipliesIlElEEEvT_T0_DpT1_.has_recursion, 0
	.set _ZN2at6native12_GLOBAL__N_125multi_tensor_apply_kernelINS1_18TensorListMetadataILi4EEENS1_32PointwiseOpScalar0dTensorFunctorIlLi4ELi2ELi3EEEJSt10multipliesIlElEEEvT_T0_DpT1_.has_indirect_call, 0
	.section	.AMDGPU.csdata,"",@progbits
; Kernel info:
; codeLenInByte = 1524
; TotalNumSgprs: 30
; NumVgprs: 34
; ScratchSize: 0
; MemoryBound: 0
; FloatMode: 240
; IeeeMode: 1
; LDSByteSize: 0 bytes/workgroup (compile time only)
; SGPRBlocks: 0
; VGPRBlocks: 2
; NumSGPRsForWavesPerEU: 30
; NumVGPRsForWavesPerEU: 34
; NamedBarCnt: 0
; Occupancy: 16
; WaveLimiterHint : 0
; COMPUTE_PGM_RSRC2:SCRATCH_EN: 0
; COMPUTE_PGM_RSRC2:USER_SGPR: 2
; COMPUTE_PGM_RSRC2:TRAP_HANDLER: 0
; COMPUTE_PGM_RSRC2:TGID_X_EN: 1
; COMPUTE_PGM_RSRC2:TGID_Y_EN: 0
; COMPUTE_PGM_RSRC2:TGID_Z_EN: 0
; COMPUTE_PGM_RSRC2:TIDIG_COMP_CNT: 0
	.section	.text._ZN2at6native12_GLOBAL__N_125multi_tensor_apply_kernelINS1_18TensorListMetadataILi4EEENS1_32PointwiseOpScalar0dTensorFunctorIsLi4ELi2ELi3EEEJSt10multipliesIsEsEEEvT_T0_DpT1_,"axG",@progbits,_ZN2at6native12_GLOBAL__N_125multi_tensor_apply_kernelINS1_18TensorListMetadataILi4EEENS1_32PointwiseOpScalar0dTensorFunctorIsLi4ELi2ELi3EEEJSt10multipliesIsEsEEEvT_T0_DpT1_,comdat
	.globl	_ZN2at6native12_GLOBAL__N_125multi_tensor_apply_kernelINS1_18TensorListMetadataILi4EEENS1_32PointwiseOpScalar0dTensorFunctorIsLi4ELi2ELi3EEEJSt10multipliesIsEsEEEvT_T0_DpT1_ ; -- Begin function _ZN2at6native12_GLOBAL__N_125multi_tensor_apply_kernelINS1_18TensorListMetadataILi4EEENS1_32PointwiseOpScalar0dTensorFunctorIsLi4ELi2ELi3EEEJSt10multipliesIsEsEEEvT_T0_DpT1_
	.p2align	8
	.type	_ZN2at6native12_GLOBAL__N_125multi_tensor_apply_kernelINS1_18TensorListMetadataILi4EEENS1_32PointwiseOpScalar0dTensorFunctorIsLi4ELi2ELi3EEEJSt10multipliesIsEsEEEvT_T0_DpT1_,@function
_ZN2at6native12_GLOBAL__N_125multi_tensor_apply_kernelINS1_18TensorListMetadataILi4EEENS1_32PointwiseOpScalar0dTensorFunctorIsLi4ELi2ELi3EEEJSt10multipliesIsEsEEEvT_T0_DpT1_: ; @_ZN2at6native12_GLOBAL__N_125multi_tensor_apply_kernelINS1_18TensorListMetadataILi4EEENS1_32PointwiseOpScalar0dTensorFunctorIsLi4ELi2ELi3EEEJSt10multipliesIsEsEEEvT_T0_DpT1_
; %bb.0:
	s_load_b32 s2, s[0:1], 0xbe8
	s_bfe_u32 s3, ttmp6, 0x4000c
	s_and_b32 s4, ttmp6, 15
	s_add_co_i32 s3, s3, 1
	s_getreg_b32 s5, hwreg(HW_REG_IB_STS2, 6, 4)
	s_mul_i32 s3, ttmp9, s3
	v_mov_b32_e32 v5, 0
	s_add_co_i32 s4, s4, s3
	s_mov_b32 s15, 0
	s_wait_kmcnt 0x0
	s_lshr_b32 s20, s2, 16
	s_cmp_eq_u32 s5, 0
	s_cselect_b32 s14, ttmp9, s4
	s_load_u8 s17, s[0:1], s14 offset:0x5a0
	s_add_nc_u64 s[4:5], s[0:1], s[14:15]
	s_mul_u64 s[6:7], s[14:15], 3
	s_delay_alu instid0(SALU_CYCLE_1)
	s_add_nc_u64 s[4:5], s[4:5], s[6:7]
	s_wait_kmcnt 0x0
	s_clause 0x2
	s_load_b64 s[2:3], s[0:1], s17 offset:0x120 scale_offset
	s_load_b64 s[8:9], s[0:1], s17 offset:0x240 scale_offset
	;; [unrolled: 1-line block ×3, first 2 shown]
	s_wait_kmcnt 0x0
	global_load_u16 v8, v5, s[2:3]
	s_clause 0x2
	s_load_b32 s16, s[4:5], 0x6e0
	s_load_b64 s[12:13], s[0:1], s17 offset:0x0 scale_offset
	s_load_b64 s[22:23], s[0:1], s17 offset:0x480 scale_offset
	s_wait_kmcnt 0x0
	s_ashr_i32 s17, s16, 31
	s_delay_alu instid0(SALU_CYCLE_1) | instskip(NEXT) | instid1(SALU_CYCLE_1)
	s_lshl_b64 s[18:19], s[16:17], 17
	s_add_nc_u64 s[4:5], s[2:3], s[18:19]
	s_add_nc_u64 s[2:3], s[12:13], s[18:19]
	s_and_b32 s14, s4, 7
	s_and_b64 s[24:25], s[2:3], 7
	s_cmp_lg_u64 s[14:15], 0
	s_add_nc_u64 s[4:5], s[8:9], s[18:19]
	s_add_nc_u64 s[6:7], s[10:11], s[18:19]
	s_cselect_b32 s21, -1, 0
	s_or_b32 s14, s6, s4
	s_delay_alu instid0(SALU_CYCLE_1) | instskip(NEXT) | instid1(SALU_CYCLE_1)
	s_and_b32 s14, s14, 7
	s_cmp_lg_u32 s14, 0
	s_cselect_b32 s26, -1, 0
	s_and_b32 s14, s22, 3
	s_or_b32 s21, s26, s21
	s_or_b64 s[14:15], s[24:25], s[14:15]
	s_lshl_b64 s[16:17], s[16:17], 16
	s_cmp_lg_u64 s[14:15], 0
	s_cselect_b32 s14, -1, 0
	s_delay_alu instid0(SALU_CYCLE_1)
	s_or_b32 s21, s21, s14
	s_sub_nc_u64 s[14:15], s[22:23], s[16:17]
	s_and_not1_b32 vcc_lo, exec_lo, s21
	s_mov_b32 s16, -1
	s_cbranch_vccz .LBB15_5
; %bb.1:
	v_min_i64 v[2:3], 0x10000, s[14:15]
	v_lshlrev_b32_e32 v4, 2, v0
	s_mov_b32 s21, exec_lo
	s_delay_alu instid0(VALU_DEP_1)
	v_cmpx_lt_i64_e64 v[4:5], v[2:3]
	s_cbranch_execz .LBB15_4
; %bb.2:
	s_load_b32 s16, s[0:1], 0xbfc
	v_dual_mov_b32 v7, 0 :: v_dual_lshlrev_b32 v6, 3, v0
	v_mov_b32_e32 v1, v5
	s_wait_loadcnt 0x0
	v_mul_lo_u32 v9, v8, s20
	s_mov_b32 s17, 0
	v_add_nc_u64_e32 v[4:5], s[18:19], v[6:7]
	v_mov_b64_e32 v[6:7], v[0:1]
	s_mov_b32 s19, s17
	s_mov_b32 s22, s17
	s_wait_kmcnt 0x0
	s_and_b32 s16, s16, 0xffff
	s_delay_alu instid0(SALU_CYCLE_1)
	s_lshl_b32 s18, s16, 3
.LBB15_3:                               ; =>This Inner Loop Header: Depth=1
	v_add_nc_u64_e32 v[10:11], s[12:13], v[4:5]
	v_add_nc_u64_e32 v[12:13], s[8:9], v[4:5]
	;; [unrolled: 1-line block ×3, first 2 shown]
	global_load_b64 v[14:15], v[10:11], off
	global_load_b64 v[16:17], v[12:13], off
	s_wait_loadcnt 0x0
	s_wait_xcnt 0x1
	v_dual_lshrrev_b32 v1, 16, v14 :: v_dual_lshrrev_b32 v10, 16, v16
	s_wait_xcnt 0x0
	v_mad_u16 v12, v9, v16, v14
	v_dual_lshrrev_b32 v13, 16, v15 :: v_dual_lshrrev_b32 v14, 16, v17
	v_mad_u16 v15, v9, v17, v15
	v_mad_u16 v1, v9, v10, v1
	v_lshlrev_b64_e32 v[10:11], 2, v[6:7]
	v_and_b32_e32 v12, 0xffff, v12
	v_mad_u16 v13, v9, v14, v13
	v_and_b32_e32 v14, 0xffff, v15
	v_lshlrev_b32_e32 v1, 16, v1
	s_delay_alu instid0(VALU_DEP_3) | instskip(SKIP_1) | instid1(VALU_DEP_3)
	v_lshlrev_b32_e32 v13, 16, v13
	v_cmp_ge_i64_e32 vcc_lo, v[10:11], v[2:3]
	v_or_b32_e32 v1, v1, v12
	v_add_nc_u64_e32 v[10:11], s[10:11], v[4:5]
	v_add_nc_u64_e32 v[4:5], s[18:19], v[4:5]
	v_or3_b32 v13, 0, v14, v13
	s_delay_alu instid0(VALU_DEP_4)
	v_or3_b32 v12, v1, 0, 0
	s_or_b32 s22, vcc_lo, s22
	global_store_b64 v[10:11], v[12:13], off
	s_wait_xcnt 0x0
	s_and_not1_b32 exec_lo, exec_lo, s22
	s_cbranch_execnz .LBB15_3
.LBB15_4:
	s_or_b32 exec_lo, exec_lo, s21
	s_mov_b32 s16, 0
.LBB15_5:
	s_delay_alu instid0(SALU_CYCLE_1)
	s_and_not1_b32 vcc_lo, exec_lo, s16
	s_cbranch_vccnz .LBB15_25
; %bb.6:
	v_cmp_lt_i64_e64 s8, s[14:15], 1
	s_and_b32 vcc_lo, exec_lo, s8
	s_cbranch_vccnz .LBB15_25
; %bb.7:
	v_min_i64 v[2:3], 0x10000, s[14:15]
	v_min_u64 v[4:5], 0x10000, s[14:15]
	s_load_b32 s0, s[0:1], 0xbfc
	s_wait_loadcnt 0x0
	v_mul_lo_u32 v18, v8, s20
	v_mov_b32_e32 v1, 0
	s_wait_xcnt 0x0
	s_mov_b32 s1, 0
	s_mov_b64 s[14:15], 0
	s_mov_b32 s9, s1
	s_mov_b32 s11, s1
	;; [unrolled: 1-line block ×3, first 2 shown]
	s_wait_kmcnt 0x0
	s_and_b32 s0, s0, 0xffff
	s_delay_alu instid0(SALU_CYCLE_1)
	s_lshl_b32 s8, s0, 1
	s_mul_i32 s10, s0, 3
	s_lshl_b32 s12, s0, 2
	s_branch .LBB15_9
.LBB15_8:                               ;   in Loop: Header=BB15_9 Depth=1
	s_wait_xcnt 0x0
	s_or_b32 exec_lo, exec_lo, s16
	s_add_nc_u64 s[14:15], s[14:15], s[12:13]
	s_delay_alu instid0(SALU_CYCLE_1)
	v_cmp_ge_i64_e32 vcc_lo, s[14:15], v[2:3]
	s_cbranch_vccnz .LBB15_25
.LBB15_9:                               ; =>This Inner Loop Header: Depth=1
	v_add_nc_u64_e32 v[10:11], s[14:15], v[0:1]
	v_mov_b64_e32 v[6:7], 0
	v_mov_b64_e32 v[8:9], 0
	s_mov_b32 s16, exec_lo
	s_delay_alu instid0(VALU_DEP_3)
	v_cmpx_lt_i64_e64 v[10:11], v[2:3]
	s_cbranch_execz .LBB15_11
; %bb.10:                               ;   in Loop: Header=BB15_9 Depth=1
	v_lshlrev_b64_e32 v[6:7], 1, v[10:11]
	s_delay_alu instid0(VALU_DEP_1)
	v_add_nc_u64_e32 v[8:9], s[2:3], v[6:7]
	v_add_nc_u64_e32 v[6:7], s[4:5], v[6:7]
	global_load_u16 v12, v[8:9], off
	global_load_u16 v13, v[6:7], off
	s_wait_xcnt 0x0
	v_dual_mov_b32 v9, s1 :: v_dual_mov_b32 v7, s1
	s_wait_loadcnt 0x1
	v_and_b32_e32 v8, 0xffff, v12
	s_wait_loadcnt 0x0
	v_and_b32_e32 v6, 0xffff, v13
.LBB15_11:                              ;   in Loop: Header=BB15_9 Depth=1
	s_or_b32 exec_lo, exec_lo, s16
	v_add_nc_u64_e32 v[12:13], s[0:1], v[10:11]
	s_mov_b32 s16, exec_lo
	s_delay_alu instid0(VALU_DEP_1)
	v_cmpx_lt_i64_e64 v[12:13], v[2:3]
	s_cbranch_execz .LBB15_13
; %bb.12:                               ;   in Loop: Header=BB15_9 Depth=1
	v_lshlrev_b64_e32 v[14:15], 1, v[12:13]
	s_delay_alu instid0(VALU_DEP_1)
	v_add_nc_u64_e32 v[16:17], s[2:3], v[14:15]
	v_add_nc_u64_e32 v[14:15], s[4:5], v[14:15]
	global_load_u16 v19, v[16:17], off
	global_load_u16 v20, v[14:15], off
	s_wait_loadcnt 0x1
	v_lshl_or_b32 v8, v19, 16, v8
	s_wait_loadcnt 0x0
	v_lshl_or_b32 v6, v20, 16, v6
.LBB15_13:                              ;   in Loop: Header=BB15_9 Depth=1
	s_wait_xcnt 0x0
	s_or_b32 exec_lo, exec_lo, s16
	v_add_nc_u64_e32 v[14:15], s[8:9], v[10:11]
	s_mov_b32 s16, exec_lo
	s_delay_alu instid0(VALU_DEP_1)
	v_cmpx_lt_i64_e64 v[14:15], v[2:3]
	s_cbranch_execz .LBB15_15
; %bb.14:                               ;   in Loop: Header=BB15_9 Depth=1
	v_lshlrev_b64_e32 v[16:17], 1, v[14:15]
	s_delay_alu instid0(VALU_DEP_1)
	v_add_nc_u64_e32 v[20:21], s[2:3], v[16:17]
	v_add_nc_u64_e32 v[16:17], s[4:5], v[16:17]
	global_load_u16 v19, v[20:21], off
	global_load_u16 v22, v[16:17], off
	s_wait_loadcnt 0x1
	v_or_b32_e32 v9, v19, v9
	s_wait_loadcnt 0x0
	v_or_b32_e32 v7, v22, v7
.LBB15_15:                              ;   in Loop: Header=BB15_9 Depth=1
	s_wait_xcnt 0x0
	s_or_b32 exec_lo, exec_lo, s16
	v_add_nc_u64_e32 v[16:17], s[10:11], v[10:11]
	s_mov_b32 s16, exec_lo
	s_delay_alu instid0(VALU_DEP_1)
	v_cmpx_lt_i64_e64 v[16:17], v[2:3]
	s_cbranch_execnz .LBB15_20
; %bb.16:                               ;   in Loop: Header=BB15_9 Depth=1
	s_or_b32 exec_lo, exec_lo, s16
	s_delay_alu instid0(SALU_CYCLE_1)
	s_mov_b32 s16, exec_lo
	v_cmpx_lt_u64_e64 v[10:11], v[4:5]
	s_cbranch_execnz .LBB15_21
.LBB15_17:                              ;   in Loop: Header=BB15_9 Depth=1
	s_or_b32 exec_lo, exec_lo, s16
	s_delay_alu instid0(SALU_CYCLE_1)
	s_mov_b32 s16, exec_lo
	v_cmpx_lt_u64_e64 v[12:13], v[4:5]
	s_cbranch_execnz .LBB15_22
.LBB15_18:                              ;   in Loop: Header=BB15_9 Depth=1
	s_or_b32 exec_lo, exec_lo, s16
	s_delay_alu instid0(SALU_CYCLE_1)
	s_mov_b32 s16, exec_lo
	v_cmpx_lt_u64_e64 v[14:15], v[4:5]
	s_cbranch_execnz .LBB15_23
.LBB15_19:                              ;   in Loop: Header=BB15_9 Depth=1
	s_or_b32 exec_lo, exec_lo, s16
	s_delay_alu instid0(SALU_CYCLE_1)
	s_mov_b32 s16, exec_lo
	v_cmpx_lt_u64_e64 v[16:17], v[4:5]
	s_cbranch_execz .LBB15_8
	s_branch .LBB15_24
.LBB15_20:                              ;   in Loop: Header=BB15_9 Depth=1
	v_lshlrev_b64_e32 v[20:21], 1, v[16:17]
	s_delay_alu instid0(VALU_DEP_1)
	v_add_nc_u64_e32 v[22:23], s[2:3], v[20:21]
	v_add_nc_u64_e32 v[20:21], s[4:5], v[20:21]
	global_load_u16 v19, v[22:23], off
	global_load_u16 v24, v[20:21], off
	s_wait_loadcnt 0x0
	v_dual_lshlrev_b32 v19, 16, v19 :: v_dual_lshlrev_b32 v20, 16, v24
	s_delay_alu instid0(VALU_DEP_1) | instskip(NEXT) | instid1(VALU_DEP_2)
	v_or_b32_e32 v9, v19, v9
	v_or_b32_e32 v7, v20, v7
	s_or_b32 exec_lo, exec_lo, s16
	s_delay_alu instid0(SALU_CYCLE_1)
	s_mov_b32 s16, exec_lo
	v_cmpx_lt_u64_e64 v[10:11], v[4:5]
	s_cbranch_execz .LBB15_17
.LBB15_21:                              ;   in Loop: Header=BB15_9 Depth=1
	v_mad_u16 v19, v18, v6, v8
	v_lshl_add_u64 v[10:11], v[10:11], 1, s[6:7]
	global_store_b16 v[10:11], v19, off
	s_wait_xcnt 0x0
	s_or_b32 exec_lo, exec_lo, s16
	s_delay_alu instid0(SALU_CYCLE_1)
	s_mov_b32 s16, exec_lo
	v_cmpx_lt_u64_e64 v[12:13], v[4:5]
	s_cbranch_execz .LBB15_18
.LBB15_22:                              ;   in Loop: Header=BB15_9 Depth=1
	v_dual_lshrrev_b32 v8, 16, v8 :: v_dual_lshrrev_b32 v6, 16, v6
	v_lshl_add_u64 v[10:11], v[12:13], 1, s[6:7]
	s_delay_alu instid0(VALU_DEP_2) | instskip(SKIP_3) | instid1(SALU_CYCLE_1)
	v_mad_u16 v6, v18, v6, v8
	global_store_b16 v[10:11], v6, off
	s_wait_xcnt 0x0
	s_or_b32 exec_lo, exec_lo, s16
	s_mov_b32 s16, exec_lo
	v_cmpx_lt_u64_e64 v[14:15], v[4:5]
	s_cbranch_execz .LBB15_19
.LBB15_23:                              ;   in Loop: Header=BB15_9 Depth=1
	v_mad_u16 v6, v18, v7, v9
	v_lshl_add_u64 v[10:11], v[14:15], 1, s[6:7]
	global_store_b16 v[10:11], v6, off
	s_wait_xcnt 0x0
	s_or_b32 exec_lo, exec_lo, s16
	s_delay_alu instid0(SALU_CYCLE_1)
	s_mov_b32 s16, exec_lo
	v_cmpx_lt_u64_e64 v[16:17], v[4:5]
	s_cbranch_execz .LBB15_8
.LBB15_24:                              ;   in Loop: Header=BB15_9 Depth=1
	v_dual_lshrrev_b32 v6, 16, v9 :: v_dual_lshrrev_b32 v7, 16, v7
	s_delay_alu instid0(VALU_DEP_1)
	v_mad_u16 v8, v18, v7, v6
	v_lshl_add_u64 v[6:7], v[16:17], 1, s[6:7]
	global_store_b16 v[6:7], v8, off
	s_branch .LBB15_8
.LBB15_25:
	s_endpgm
	.section	.rodata,"a",@progbits
	.p2align	6, 0x0
	.amdhsa_kernel _ZN2at6native12_GLOBAL__N_125multi_tensor_apply_kernelINS1_18TensorListMetadataILi4EEENS1_32PointwiseOpScalar0dTensorFunctorIsLi4ELi2ELi3EEEJSt10multipliesIsEsEEEvT_T0_DpT1_
		.amdhsa_group_segment_fixed_size 0
		.amdhsa_private_segment_fixed_size 0
		.amdhsa_kernarg_size 3312
		.amdhsa_user_sgpr_count 2
		.amdhsa_user_sgpr_dispatch_ptr 0
		.amdhsa_user_sgpr_queue_ptr 0
		.amdhsa_user_sgpr_kernarg_segment_ptr 1
		.amdhsa_user_sgpr_dispatch_id 0
		.amdhsa_user_sgpr_kernarg_preload_length 0
		.amdhsa_user_sgpr_kernarg_preload_offset 0
		.amdhsa_user_sgpr_private_segment_size 0
		.amdhsa_wavefront_size32 1
		.amdhsa_uses_dynamic_stack 0
		.amdhsa_enable_private_segment 0
		.amdhsa_system_sgpr_workgroup_id_x 1
		.amdhsa_system_sgpr_workgroup_id_y 0
		.amdhsa_system_sgpr_workgroup_id_z 0
		.amdhsa_system_sgpr_workgroup_info 0
		.amdhsa_system_vgpr_workitem_id 0
		.amdhsa_next_free_vgpr 25
		.amdhsa_next_free_sgpr 27
		.amdhsa_named_barrier_count 0
		.amdhsa_reserve_vcc 1
		.amdhsa_float_round_mode_32 0
		.amdhsa_float_round_mode_16_64 0
		.amdhsa_float_denorm_mode_32 3
		.amdhsa_float_denorm_mode_16_64 3
		.amdhsa_fp16_overflow 0
		.amdhsa_memory_ordered 1
		.amdhsa_forward_progress 1
		.amdhsa_inst_pref_size 12
		.amdhsa_round_robin_scheduling 0
		.amdhsa_exception_fp_ieee_invalid_op 0
		.amdhsa_exception_fp_denorm_src 0
		.amdhsa_exception_fp_ieee_div_zero 0
		.amdhsa_exception_fp_ieee_overflow 0
		.amdhsa_exception_fp_ieee_underflow 0
		.amdhsa_exception_fp_ieee_inexact 0
		.amdhsa_exception_int_div_zero 0
	.end_amdhsa_kernel
	.section	.text._ZN2at6native12_GLOBAL__N_125multi_tensor_apply_kernelINS1_18TensorListMetadataILi4EEENS1_32PointwiseOpScalar0dTensorFunctorIsLi4ELi2ELi3EEEJSt10multipliesIsEsEEEvT_T0_DpT1_,"axG",@progbits,_ZN2at6native12_GLOBAL__N_125multi_tensor_apply_kernelINS1_18TensorListMetadataILi4EEENS1_32PointwiseOpScalar0dTensorFunctorIsLi4ELi2ELi3EEEJSt10multipliesIsEsEEEvT_T0_DpT1_,comdat
.Lfunc_end15:
	.size	_ZN2at6native12_GLOBAL__N_125multi_tensor_apply_kernelINS1_18TensorListMetadataILi4EEENS1_32PointwiseOpScalar0dTensorFunctorIsLi4ELi2ELi3EEEJSt10multipliesIsEsEEEvT_T0_DpT1_, .Lfunc_end15-_ZN2at6native12_GLOBAL__N_125multi_tensor_apply_kernelINS1_18TensorListMetadataILi4EEENS1_32PointwiseOpScalar0dTensorFunctorIsLi4ELi2ELi3EEEJSt10multipliesIsEsEEEvT_T0_DpT1_
                                        ; -- End function
	.set _ZN2at6native12_GLOBAL__N_125multi_tensor_apply_kernelINS1_18TensorListMetadataILi4EEENS1_32PointwiseOpScalar0dTensorFunctorIsLi4ELi2ELi3EEEJSt10multipliesIsEsEEEvT_T0_DpT1_.num_vgpr, 25
	.set _ZN2at6native12_GLOBAL__N_125multi_tensor_apply_kernelINS1_18TensorListMetadataILi4EEENS1_32PointwiseOpScalar0dTensorFunctorIsLi4ELi2ELi3EEEJSt10multipliesIsEsEEEvT_T0_DpT1_.num_agpr, 0
	.set _ZN2at6native12_GLOBAL__N_125multi_tensor_apply_kernelINS1_18TensorListMetadataILi4EEENS1_32PointwiseOpScalar0dTensorFunctorIsLi4ELi2ELi3EEEJSt10multipliesIsEsEEEvT_T0_DpT1_.numbered_sgpr, 27
	.set _ZN2at6native12_GLOBAL__N_125multi_tensor_apply_kernelINS1_18TensorListMetadataILi4EEENS1_32PointwiseOpScalar0dTensorFunctorIsLi4ELi2ELi3EEEJSt10multipliesIsEsEEEvT_T0_DpT1_.num_named_barrier, 0
	.set _ZN2at6native12_GLOBAL__N_125multi_tensor_apply_kernelINS1_18TensorListMetadataILi4EEENS1_32PointwiseOpScalar0dTensorFunctorIsLi4ELi2ELi3EEEJSt10multipliesIsEsEEEvT_T0_DpT1_.private_seg_size, 0
	.set _ZN2at6native12_GLOBAL__N_125multi_tensor_apply_kernelINS1_18TensorListMetadataILi4EEENS1_32PointwiseOpScalar0dTensorFunctorIsLi4ELi2ELi3EEEJSt10multipliesIsEsEEEvT_T0_DpT1_.uses_vcc, 1
	.set _ZN2at6native12_GLOBAL__N_125multi_tensor_apply_kernelINS1_18TensorListMetadataILi4EEENS1_32PointwiseOpScalar0dTensorFunctorIsLi4ELi2ELi3EEEJSt10multipliesIsEsEEEvT_T0_DpT1_.uses_flat_scratch, 0
	.set _ZN2at6native12_GLOBAL__N_125multi_tensor_apply_kernelINS1_18TensorListMetadataILi4EEENS1_32PointwiseOpScalar0dTensorFunctorIsLi4ELi2ELi3EEEJSt10multipliesIsEsEEEvT_T0_DpT1_.has_dyn_sized_stack, 0
	.set _ZN2at6native12_GLOBAL__N_125multi_tensor_apply_kernelINS1_18TensorListMetadataILi4EEENS1_32PointwiseOpScalar0dTensorFunctorIsLi4ELi2ELi3EEEJSt10multipliesIsEsEEEvT_T0_DpT1_.has_recursion, 0
	.set _ZN2at6native12_GLOBAL__N_125multi_tensor_apply_kernelINS1_18TensorListMetadataILi4EEENS1_32PointwiseOpScalar0dTensorFunctorIsLi4ELi2ELi3EEEJSt10multipliesIsEsEEEvT_T0_DpT1_.has_indirect_call, 0
	.section	.AMDGPU.csdata,"",@progbits
; Kernel info:
; codeLenInByte = 1496
; TotalNumSgprs: 29
; NumVgprs: 25
; ScratchSize: 0
; MemoryBound: 0
; FloatMode: 240
; IeeeMode: 1
; LDSByteSize: 0 bytes/workgroup (compile time only)
; SGPRBlocks: 0
; VGPRBlocks: 1
; NumSGPRsForWavesPerEU: 29
; NumVGPRsForWavesPerEU: 25
; NamedBarCnt: 0
; Occupancy: 16
; WaveLimiterHint : 0
; COMPUTE_PGM_RSRC2:SCRATCH_EN: 0
; COMPUTE_PGM_RSRC2:USER_SGPR: 2
; COMPUTE_PGM_RSRC2:TRAP_HANDLER: 0
; COMPUTE_PGM_RSRC2:TGID_X_EN: 1
; COMPUTE_PGM_RSRC2:TGID_Y_EN: 0
; COMPUTE_PGM_RSRC2:TGID_Z_EN: 0
; COMPUTE_PGM_RSRC2:TIDIG_COMP_CNT: 0
	.section	.text._ZN2at6native12_GLOBAL__N_125multi_tensor_apply_kernelINS1_18TensorListMetadataILi4EEENS1_32PointwiseOpScalar0dTensorFunctorIdLi4ELi2ELi3EEEJSt10multipliesIdEdEEEvT_T0_DpT1_,"axG",@progbits,_ZN2at6native12_GLOBAL__N_125multi_tensor_apply_kernelINS1_18TensorListMetadataILi4EEENS1_32PointwiseOpScalar0dTensorFunctorIdLi4ELi2ELi3EEEJSt10multipliesIdEdEEEvT_T0_DpT1_,comdat
	.globl	_ZN2at6native12_GLOBAL__N_125multi_tensor_apply_kernelINS1_18TensorListMetadataILi4EEENS1_32PointwiseOpScalar0dTensorFunctorIdLi4ELi2ELi3EEEJSt10multipliesIdEdEEEvT_T0_DpT1_ ; -- Begin function _ZN2at6native12_GLOBAL__N_125multi_tensor_apply_kernelINS1_18TensorListMetadataILi4EEENS1_32PointwiseOpScalar0dTensorFunctorIdLi4ELi2ELi3EEEJSt10multipliesIdEdEEEvT_T0_DpT1_
	.p2align	8
	.type	_ZN2at6native12_GLOBAL__N_125multi_tensor_apply_kernelINS1_18TensorListMetadataILi4EEENS1_32PointwiseOpScalar0dTensorFunctorIdLi4ELi2ELi3EEEJSt10multipliesIdEdEEEvT_T0_DpT1_,@function
_ZN2at6native12_GLOBAL__N_125multi_tensor_apply_kernelINS1_18TensorListMetadataILi4EEENS1_32PointwiseOpScalar0dTensorFunctorIdLi4ELi2ELi3EEEJSt10multipliesIdEdEEEvT_T0_DpT1_: ; @_ZN2at6native12_GLOBAL__N_125multi_tensor_apply_kernelINS1_18TensorListMetadataILi4EEENS1_32PointwiseOpScalar0dTensorFunctorIdLi4ELi2ELi3EEEJSt10multipliesIdEdEEEvT_T0_DpT1_
; %bb.0:
	s_bfe_u32 s2, ttmp6, 0x4000c
	s_and_b32 s3, ttmp6, 15
	s_add_co_i32 s2, s2, 1
	s_getreg_b32 s4, hwreg(HW_REG_IB_STS2, 6, 4)
	s_mul_i32 s2, ttmp9, s2
	s_mov_b32 s13, 0
	s_add_co_i32 s3, s3, s2
	s_cmp_eq_u32 s4, 0
	s_cselect_b32 s12, ttmp9, s3
	s_load_u8 s15, s[0:1], s12 offset:0x5a0
	s_add_nc_u64 s[2:3], s[0:1], s[12:13]
	s_mul_u64 s[4:5], s[12:13], 3
	s_delay_alu instid0(SALU_CYCLE_1)
	s_add_nc_u64 s[2:3], s[2:3], s[4:5]
	s_load_b32 s14, s[2:3], 0x6e0
	s_wait_kmcnt 0x0
	s_clause 0x4
	s_load_b64 s[4:5], s[0:1], s15 offset:0x0 scale_offset
	s_load_b64 s[10:11], s[0:1], s15 offset:0x120 scale_offset
	;; [unrolled: 1-line block ×5, first 2 shown]
	s_wait_xcnt 0x0
	s_ashr_i32 s15, s14, 31
	s_delay_alu instid0(SALU_CYCLE_1)
	s_lshl_b64 s[18:19], s[14:15], 19
	s_wait_kmcnt 0x0
	s_add_nc_u64 s[20:21], s[10:11], s[18:19]
	s_add_nc_u64 s[2:3], s[4:5], s[18:19]
	s_and_b32 s12, s20, 31
	s_and_b64 s[20:21], s[2:3], 31
	s_add_nc_u64 s[4:5], s[6:7], s[18:19]
	s_cmp_lg_u64 s[12:13], 0
	s_add_nc_u64 s[6:7], s[8:9], s[18:19]
	s_cselect_b32 s18, -1, 0
	s_or_b32 s8, s6, s4
	s_load_b64 s[10:11], s[10:11], 0x0
	s_and_b32 s12, s8, 31
	s_load_b64 s[8:9], s[0:1], 0xbf0
	s_cmp_lg_u32 s12, 0
	s_cselect_b32 s19, -1, 0
	s_and_b32 s12, s16, 3
	s_lshl_b64 s[14:15], s[14:15], 16
	s_or_b64 s[12:13], s[20:21], s[12:13]
	s_or_b32 s18, s19, s18
	s_cmp_lg_u64 s[12:13], 0
	s_cselect_b32 s12, -1, 0
	s_delay_alu instid0(SALU_CYCLE_1)
	s_or_b32 s18, s18, s12
	s_sub_nc_u64 s[12:13], s[16:17], s[14:15]
	s_and_not1_b32 vcc_lo, exec_lo, s18
	s_mov_b32 s14, -1
	s_cbranch_vccz .LBB16_21
; %bb.1:
	v_min_i64 v[22:23], 0x10000, s[12:13]
	v_dual_mov_b32 v25, 0 :: v_dual_lshlrev_b32 v24, 2, v0
	s_mov_b32 s24, exec_lo
	s_delay_alu instid0(VALU_DEP_1)
	v_cmpx_lt_i64_e64 v[24:25], v[22:23]
	s_cbranch_execz .LBB16_20
; %bb.2:
	s_wait_kmcnt 0x0
	v_cmp_neq_f64_e64 s25, s[8:9], 1.0
	s_load_b32 s14, s[0:1], 0xc04
	v_dual_mov_b32 v1, v25 :: v_dual_lshlrev_b32 v24, 5, v0
	s_mov_b32 s15, 0
	s_mov_b64 s[16:17], s[4:5]
	s_mov_b64 s[18:19], s[2:3]
	s_delay_alu instid0(VALU_DEP_1)
	v_mov_b64_e32 v[26:27], v[0:1]
	s_mov_b32 s21, s15
	s_mov_b32 s26, s15
	s_mov_b64 s[22:23], s[6:7]
	s_wait_kmcnt 0x0
	s_and_b32 s14, s14, 0xffff
	s_delay_alu instid0(SALU_CYCLE_1)
	s_lshl_b32 s20, s14, 5
	s_branch .LBB16_4
.LBB16_3:                               ;   in Loop: Header=BB16_4 Depth=1
	v_add_nc_u64_e32 v[26:27], s[14:15], v[26:27]
	s_add_nc_u64 s[18:19], s[18:19], s[20:21]
	s_add_nc_u64 s[16:17], s[16:17], s[20:21]
	s_wait_loadcnt 0x3
	s_delay_alu instid0(VALU_DEP_1) | instskip(NEXT) | instid1(VALU_DEP_1)
	v_lshlrev_b64_e32 v[6:7], 2, v[26:27]
	v_cmp_ge_i64_e32 vcc_lo, v[6:7], v[22:23]
	v_add_nc_u64_e32 v[6:7], s[22:23], v[24:25]
	s_add_nc_u64 s[22:23], s[22:23], s[20:21]
	global_store_b128 v[6:7], v[2:5], off
	s_wait_loadcnt 0x2
	global_store_b128 v[6:7], v[14:17], off offset:16
	s_or_b32 s26, vcc_lo, s26
	s_wait_xcnt 0x0
	s_and_not1_b32 exec_lo, exec_lo, s26
	s_cbranch_execz .LBB16_20
.LBB16_4:                               ; =>This Inner Loop Header: Depth=1
	v_add_nc_u64_e32 v[2:3], s[18:19], v[24:25]
	v_add_nc_u64_e32 v[4:5], s[16:17], v[24:25]
	s_and_b32 vcc_lo, exec_lo, s25
	s_clause 0x1
	global_load_b128 v[6:9], v[2:3], off offset:16
	global_load_b128 v[14:17], v[2:3], off
	s_wait_loadcnt 0x3
	global_load_b128 v[10:13], v[4:5], off offset:16
	s_wait_loadcnt 0x3
	global_load_b128 v[18:21], v[4:5], off
	s_cbranch_vccz .LBB16_15
; %bb.5:                                ;   in Loop: Header=BB16_4 Depth=1
	s_wait_loadcnt 0x0
	s_wait_xcnt 0x2
	v_mul_f64_e32 v[2:3], s[10:11], v[18:19]
	s_delay_alu instid0(VALU_DEP_1)
	v_fma_f64 v[2:3], s[8:9], v[2:3], v[14:15]
	s_cbranch_execnz .LBB16_7
.LBB16_6:                               ;   in Loop: Header=BB16_4 Depth=1
	s_wait_loadcnt 0x0
	v_fmac_f64_e32 v[14:15], s[10:11], v[18:19]
	s_wait_xcnt 0x2
	s_delay_alu instid0(VALU_DEP_1)
	v_mov_b64_e32 v[2:3], v[14:15]
.LBB16_7:                               ;   in Loop: Header=BB16_4 Depth=1
	s_and_not1_b32 vcc_lo, exec_lo, s25
	s_cbranch_vccnz .LBB16_16
; %bb.8:                                ;   in Loop: Header=BB16_4 Depth=1
	s_wait_loadcnt 0x0
	s_wait_xcnt 0x0
	v_mul_f64_e32 v[4:5], s[10:11], v[20:21]
	s_delay_alu instid0(VALU_DEP_1)
	v_fma_f64 v[4:5], s[8:9], v[4:5], v[16:17]
	s_cbranch_execnz .LBB16_10
.LBB16_9:                               ;   in Loop: Header=BB16_4 Depth=1
	s_wait_loadcnt 0x0
	v_fmac_f64_e32 v[16:17], s[10:11], v[20:21]
	s_wait_xcnt 0x0
	s_delay_alu instid0(VALU_DEP_1)
	v_mov_b64_e32 v[4:5], v[16:17]
.LBB16_10:                              ;   in Loop: Header=BB16_4 Depth=1
	s_and_not1_b32 vcc_lo, exec_lo, s25
	s_cbranch_vccnz .LBB16_17
; %bb.11:                               ;   in Loop: Header=BB16_4 Depth=1
	s_wait_loadcnt 0x1
	v_mul_f64_e32 v[14:15], s[10:11], v[10:11]
	s_delay_alu instid0(VALU_DEP_1)
	v_fma_f64 v[14:15], s[8:9], v[14:15], v[6:7]
	s_cbranch_execnz .LBB16_13
.LBB16_12:                              ;   in Loop: Header=BB16_4 Depth=1
	s_wait_loadcnt 0x1
	v_fmac_f64_e32 v[6:7], s[10:11], v[10:11]
	s_delay_alu instid0(VALU_DEP_1)
	v_mov_b64_e32 v[14:15], v[6:7]
.LBB16_13:                              ;   in Loop: Header=BB16_4 Depth=1
	s_and_not1_b32 vcc_lo, exec_lo, s25
	s_cbranch_vccnz .LBB16_18
; %bb.14:                               ;   in Loop: Header=BB16_4 Depth=1
	s_wait_loadcnt 0x1
	v_mul_f64_e32 v[6:7], s[10:11], v[12:13]
	s_delay_alu instid0(VALU_DEP_1)
	v_fma_f64 v[16:17], s[8:9], v[6:7], v[8:9]
	s_cbranch_execnz .LBB16_3
	s_branch .LBB16_19
.LBB16_15:                              ;   in Loop: Header=BB16_4 Depth=1
                                        ; implicit-def: $vgpr2_vgpr3
	s_branch .LBB16_6
.LBB16_16:                              ;   in Loop: Header=BB16_4 Depth=1
	s_branch .LBB16_9
.LBB16_17:                              ;   in Loop: Header=BB16_4 Depth=1
                                        ; implicit-def: $vgpr14_vgpr15
	s_branch .LBB16_12
.LBB16_18:                              ;   in Loop: Header=BB16_4 Depth=1
.LBB16_19:                              ;   in Loop: Header=BB16_4 Depth=1
	s_wait_loadcnt 0x1
	v_fmac_f64_e32 v[8:9], s[10:11], v[12:13]
	s_delay_alu instid0(VALU_DEP_1)
	v_mov_b64_e32 v[16:17], v[8:9]
	s_branch .LBB16_3
.LBB16_20:
	s_or_b32 exec_lo, exec_lo, s24
	s_mov_b32 s14, 0
.LBB16_21:
	s_delay_alu instid0(SALU_CYCLE_1)
	s_and_not1_b32 vcc_lo, exec_lo, s14
	s_cbranch_vccnz .LBB16_57
; %bb.22:
	v_cmp_lt_i64_e64 s14, s[12:13], 1
	s_and_b32 vcc_lo, exec_lo, s14
	s_cbranch_vccnz .LBB16_57
; %bb.23:
	v_min_i64 v[2:3], 0x10000, s[12:13]
	s_wait_kmcnt 0x0
	v_cmp_neq_f64_e64 s20, s[8:9], 1.0
	v_min_u64 v[4:5], 0x10000, s[12:13]
	s_load_b32 s0, s[0:1], 0xc04
	v_mov_b32_e32 v1, 0
	s_wait_xcnt 0x0
	s_mov_b32 s1, 0
	s_mov_b64 s[18:19], 0
	s_mov_b32 s13, s1
	s_mov_b32 s15, s1
	;; [unrolled: 1-line block ×3, first 2 shown]
	s_wait_kmcnt 0x0
	s_and_b32 s0, s0, 0xffff
	s_delay_alu instid0(SALU_CYCLE_1)
	s_lshl_b32 s12, s0, 1
	s_mul_i32 s14, s0, 3
	s_lshl_b32 s16, s0, 2
	s_branch .LBB16_25
.LBB16_24:                              ;   in Loop: Header=BB16_25 Depth=1
	s_wait_xcnt 0x0
	s_or_b32 exec_lo, exec_lo, s21
	s_add_nc_u64 s[18:19], s[18:19], s[16:17]
	s_delay_alu instid0(SALU_CYCLE_1)
	v_cmp_ge_i64_e32 vcc_lo, s[18:19], v[2:3]
	s_cbranch_vccnz .LBB16_57
.LBB16_25:                              ; =>This Inner Loop Header: Depth=1
	v_add_nc_u64_e32 v[6:7], s[18:19], v[0:1]
	v_mov_b64_e32 v[16:17], 0
	v_mov_b64_e32 v[28:29], 0
	;; [unrolled: 1-line block ×3, first 2 shown]
	s_mov_b32 s21, exec_lo
	s_delay_alu instid0(VALU_DEP_4)
	v_cmpx_lt_i64_e64 v[6:7], v[2:3]
	s_cbranch_execz .LBB16_27
; %bb.26:                               ;   in Loop: Header=BB16_25 Depth=1
	v_lshlrev_b64_e32 v[8:9], 3, v[6:7]
	s_wait_loadcnt 0x1
	s_delay_alu instid0(VALU_DEP_1)
	v_add_nc_u64_e32 v[10:11], s[2:3], v[8:9]
	v_add_nc_u64_e32 v[8:9], s[4:5], v[8:9]
	global_load_b64 v[30:31], v[10:11], off
	global_load_b64 v[28:29], v[8:9], off
.LBB16_27:                              ;   in Loop: Header=BB16_25 Depth=1
	s_wait_xcnt 0x0
	s_or_b32 exec_lo, exec_lo, s21
	v_add_nc_u64_e32 v[8:9], s[0:1], v[6:7]
	v_mov_b64_e32 v[24:25], 0
	s_mov_b32 s21, exec_lo
	s_delay_alu instid0(VALU_DEP_2)
	v_cmpx_lt_i64_e64 v[8:9], v[2:3]
	s_cbranch_execz .LBB16_29
; %bb.28:                               ;   in Loop: Header=BB16_25 Depth=1
	s_wait_loadcnt 0x1
	v_lshlrev_b64_e32 v[10:11], 3, v[8:9]
	s_delay_alu instid0(VALU_DEP_1)
	v_add_nc_u64_e32 v[12:13], s[2:3], v[10:11]
	v_add_nc_u64_e32 v[10:11], s[4:5], v[10:11]
	global_load_b64 v[24:25], v[12:13], off
	global_load_b64 v[16:17], v[10:11], off
.LBB16_29:                              ;   in Loop: Header=BB16_25 Depth=1
	s_wait_xcnt 0x0
	s_or_b32 exec_lo, exec_lo, s21
	s_wait_loadcnt 0x1
	v_add_nc_u64_e32 v[10:11], s[12:13], v[6:7]
	s_wait_loadcnt 0x0
	v_mov_b64_e32 v[14:15], 0
	s_wait_loadcnt 0x0
	v_mov_b64_e32 v[20:21], 0
	v_mov_b64_e32 v[22:23], 0
	s_mov_b32 s21, exec_lo
	v_cmpx_lt_i64_e64 v[10:11], v[2:3]
	s_cbranch_execz .LBB16_31
; %bb.30:                               ;   in Loop: Header=BB16_25 Depth=1
	v_lshlrev_b64_e32 v[12:13], 3, v[10:11]
	s_delay_alu instid0(VALU_DEP_1)
	v_add_nc_u64_e32 v[18:19], s[2:3], v[12:13]
	v_add_nc_u64_e32 v[12:13], s[4:5], v[12:13]
	global_load_b64 v[22:23], v[18:19], off
	global_load_b64 v[20:21], v[12:13], off
.LBB16_31:                              ;   in Loop: Header=BB16_25 Depth=1
	s_wait_xcnt 0x0
	s_or_b32 exec_lo, exec_lo, s21
	v_add_nc_u64_e32 v[12:13], s[14:15], v[6:7]
	v_mov_b64_e32 v[18:19], 0
	s_mov_b32 s21, exec_lo
	s_delay_alu instid0(VALU_DEP_2)
	v_cmpx_lt_i64_e64 v[12:13], v[2:3]
	s_cbranch_execz .LBB16_33
; %bb.32:                               ;   in Loop: Header=BB16_25 Depth=1
	v_lshlrev_b64_e32 v[14:15], 3, v[12:13]
	s_delay_alu instid0(VALU_DEP_1)
	v_add_nc_u64_e32 v[26:27], s[2:3], v[14:15]
	v_add_nc_u64_e32 v[32:33], s[4:5], v[14:15]
	global_load_b64 v[18:19], v[26:27], off
	global_load_b64 v[14:15], v[32:33], off
.LBB16_33:                              ;   in Loop: Header=BB16_25 Depth=1
	s_wait_xcnt 0x0
	s_or_b32 exec_lo, exec_lo, s21
	s_delay_alu instid0(SALU_CYCLE_1)
	s_and_b32 vcc_lo, exec_lo, s20
	s_cbranch_vccz .LBB16_53
; %bb.34:                               ;   in Loop: Header=BB16_25 Depth=1
	v_mul_f64_e32 v[26:27], s[10:11], v[28:29]
	s_delay_alu instid0(VALU_DEP_1)
	v_fma_f64 v[26:27], s[8:9], v[26:27], v[30:31]
	s_cbranch_execnz .LBB16_36
.LBB16_35:                              ;   in Loop: Header=BB16_25 Depth=1
	v_fmac_f64_e32 v[30:31], s[10:11], v[28:29]
	s_delay_alu instid0(VALU_DEP_1)
	v_mov_b64_e32 v[26:27], v[30:31]
.LBB16_36:                              ;   in Loop: Header=BB16_25 Depth=1
	s_and_not1_b32 vcc_lo, exec_lo, s20
	s_cbranch_vccnz .LBB16_54
; %bb.37:                               ;   in Loop: Header=BB16_25 Depth=1
	v_mul_f64_e32 v[28:29], s[10:11], v[16:17]
	s_delay_alu instid0(VALU_DEP_1)
	v_fma_f64 v[28:29], s[8:9], v[28:29], v[24:25]
	s_cbranch_execnz .LBB16_39
.LBB16_38:                              ;   in Loop: Header=BB16_25 Depth=1
	v_fmac_f64_e32 v[24:25], s[10:11], v[16:17]
	s_delay_alu instid0(VALU_DEP_1)
	v_mov_b64_e32 v[28:29], v[24:25]
.LBB16_39:                              ;   in Loop: Header=BB16_25 Depth=1
	s_and_not1_b32 vcc_lo, exec_lo, s20
	s_cbranch_vccnz .LBB16_55
; %bb.40:                               ;   in Loop: Header=BB16_25 Depth=1
	s_wait_loadcnt 0x0
	v_mul_f64_e32 v[16:17], s[10:11], v[20:21]
	s_delay_alu instid0(VALU_DEP_1)
	v_fma_f64 v[16:17], s[8:9], v[16:17], v[22:23]
	s_cbranch_execnz .LBB16_42
.LBB16_41:                              ;   in Loop: Header=BB16_25 Depth=1
	s_wait_loadcnt 0x0
	v_fmac_f64_e32 v[22:23], s[10:11], v[20:21]
	s_delay_alu instid0(VALU_DEP_1)
	v_mov_b64_e32 v[16:17], v[22:23]
.LBB16_42:                              ;   in Loop: Header=BB16_25 Depth=1
	s_and_not1_b32 vcc_lo, exec_lo, s20
	s_cbranch_vccnz .LBB16_56
; %bb.43:                               ;   in Loop: Header=BB16_25 Depth=1
	s_wait_loadcnt 0x0
	v_mul_f64_e32 v[20:21], s[10:11], v[14:15]
	s_delay_alu instid0(VALU_DEP_1)
	v_fma_f64 v[20:21], s[8:9], v[20:21], v[18:19]
	s_cbranch_execnz .LBB16_45
.LBB16_44:                              ;   in Loop: Header=BB16_25 Depth=1
	s_wait_loadcnt 0x0
	v_fmac_f64_e32 v[18:19], s[10:11], v[14:15]
	s_delay_alu instid0(VALU_DEP_1)
	v_mov_b64_e32 v[20:21], v[18:19]
.LBB16_45:                              ;   in Loop: Header=BB16_25 Depth=1
	s_mov_b32 s21, exec_lo
	v_cmpx_lt_u64_e64 v[6:7], v[4:5]
	s_xor_b32 s21, exec_lo, s21
	s_cbranch_execz .LBB16_47
; %bb.46:                               ;   in Loop: Header=BB16_25 Depth=1
	v_lshl_add_u64 v[6:7], v[6:7], 3, s[6:7]
	global_store_b64 v[6:7], v[26:27], off
.LBB16_47:                              ;   in Loop: Header=BB16_25 Depth=1
	s_wait_xcnt 0x0
	s_or_b32 exec_lo, exec_lo, s21
	s_delay_alu instid0(SALU_CYCLE_1)
	s_mov_b32 s21, exec_lo
	v_cmpx_lt_u64_e64 v[8:9], v[4:5]
	s_cbranch_execnz .LBB16_50
; %bb.48:                               ;   in Loop: Header=BB16_25 Depth=1
	s_or_b32 exec_lo, exec_lo, s21
	s_delay_alu instid0(SALU_CYCLE_1)
	s_mov_b32 s21, exec_lo
	v_cmpx_lt_u64_e64 v[10:11], v[4:5]
	s_cbranch_execnz .LBB16_51
.LBB16_49:                              ;   in Loop: Header=BB16_25 Depth=1
	s_or_b32 exec_lo, exec_lo, s21
	s_delay_alu instid0(SALU_CYCLE_1)
	s_mov_b32 s21, exec_lo
	v_cmpx_lt_u64_e64 v[12:13], v[4:5]
	s_cbranch_execz .LBB16_24
	s_branch .LBB16_52
.LBB16_50:                              ;   in Loop: Header=BB16_25 Depth=1
	v_lshl_add_u64 v[6:7], v[8:9], 3, s[6:7]
	global_store_b64 v[6:7], v[28:29], off
	s_wait_xcnt 0x0
	s_or_b32 exec_lo, exec_lo, s21
	s_delay_alu instid0(SALU_CYCLE_1)
	s_mov_b32 s21, exec_lo
	v_cmpx_lt_u64_e64 v[10:11], v[4:5]
	s_cbranch_execz .LBB16_49
.LBB16_51:                              ;   in Loop: Header=BB16_25 Depth=1
	v_lshl_add_u64 v[6:7], v[10:11], 3, s[6:7]
	global_store_b64 v[6:7], v[16:17], off
	s_wait_xcnt 0x0
	s_or_b32 exec_lo, exec_lo, s21
	s_delay_alu instid0(SALU_CYCLE_1)
	s_mov_b32 s21, exec_lo
	v_cmpx_lt_u64_e64 v[12:13], v[4:5]
	s_cbranch_execz .LBB16_24
.LBB16_52:                              ;   in Loop: Header=BB16_25 Depth=1
	v_lshl_add_u64 v[6:7], v[12:13], 3, s[6:7]
	s_wait_loadcnt 0x0
	global_store_b64 v[6:7], v[20:21], off
	s_branch .LBB16_24
.LBB16_53:                              ;   in Loop: Header=BB16_25 Depth=1
                                        ; implicit-def: $vgpr26_vgpr27
	s_branch .LBB16_35
.LBB16_54:                              ;   in Loop: Header=BB16_25 Depth=1
                                        ; implicit-def: $vgpr28_vgpr29
	s_branch .LBB16_38
.LBB16_55:                              ;   in Loop: Header=BB16_25 Depth=1
                                        ; implicit-def: $vgpr16_vgpr17
	s_branch .LBB16_41
.LBB16_56:                              ;   in Loop: Header=BB16_25 Depth=1
                                        ; implicit-def: $vgpr20_vgpr21
	s_branch .LBB16_44
.LBB16_57:
	s_endpgm
	.section	.rodata,"a",@progbits
	.p2align	6, 0x0
	.amdhsa_kernel _ZN2at6native12_GLOBAL__N_125multi_tensor_apply_kernelINS1_18TensorListMetadataILi4EEENS1_32PointwiseOpScalar0dTensorFunctorIdLi4ELi2ELi3EEEJSt10multipliesIdEdEEEvT_T0_DpT1_
		.amdhsa_group_segment_fixed_size 0
		.amdhsa_private_segment_fixed_size 0
		.amdhsa_kernarg_size 3320
		.amdhsa_user_sgpr_count 2
		.amdhsa_user_sgpr_dispatch_ptr 0
		.amdhsa_user_sgpr_queue_ptr 0
		.amdhsa_user_sgpr_kernarg_segment_ptr 1
		.amdhsa_user_sgpr_dispatch_id 0
		.amdhsa_user_sgpr_kernarg_preload_length 0
		.amdhsa_user_sgpr_kernarg_preload_offset 0
		.amdhsa_user_sgpr_private_segment_size 0
		.amdhsa_wavefront_size32 1
		.amdhsa_uses_dynamic_stack 0
		.amdhsa_enable_private_segment 0
		.amdhsa_system_sgpr_workgroup_id_x 1
		.amdhsa_system_sgpr_workgroup_id_y 0
		.amdhsa_system_sgpr_workgroup_id_z 0
		.amdhsa_system_sgpr_workgroup_info 0
		.amdhsa_system_vgpr_workitem_id 0
		.amdhsa_next_free_vgpr 34
		.amdhsa_next_free_sgpr 27
		.amdhsa_named_barrier_count 0
		.amdhsa_reserve_vcc 1
		.amdhsa_float_round_mode_32 0
		.amdhsa_float_round_mode_16_64 0
		.amdhsa_float_denorm_mode_32 3
		.amdhsa_float_denorm_mode_16_64 3
		.amdhsa_fp16_overflow 0
		.amdhsa_memory_ordered 1
		.amdhsa_forward_progress 1
		.amdhsa_inst_pref_size 14
		.amdhsa_round_robin_scheduling 0
		.amdhsa_exception_fp_ieee_invalid_op 0
		.amdhsa_exception_fp_denorm_src 0
		.amdhsa_exception_fp_ieee_div_zero 0
		.amdhsa_exception_fp_ieee_overflow 0
		.amdhsa_exception_fp_ieee_underflow 0
		.amdhsa_exception_fp_ieee_inexact 0
		.amdhsa_exception_int_div_zero 0
	.end_amdhsa_kernel
	.section	.text._ZN2at6native12_GLOBAL__N_125multi_tensor_apply_kernelINS1_18TensorListMetadataILi4EEENS1_32PointwiseOpScalar0dTensorFunctorIdLi4ELi2ELi3EEEJSt10multipliesIdEdEEEvT_T0_DpT1_,"axG",@progbits,_ZN2at6native12_GLOBAL__N_125multi_tensor_apply_kernelINS1_18TensorListMetadataILi4EEENS1_32PointwiseOpScalar0dTensorFunctorIdLi4ELi2ELi3EEEJSt10multipliesIdEdEEEvT_T0_DpT1_,comdat
.Lfunc_end16:
	.size	_ZN2at6native12_GLOBAL__N_125multi_tensor_apply_kernelINS1_18TensorListMetadataILi4EEENS1_32PointwiseOpScalar0dTensorFunctorIdLi4ELi2ELi3EEEJSt10multipliesIdEdEEEvT_T0_DpT1_, .Lfunc_end16-_ZN2at6native12_GLOBAL__N_125multi_tensor_apply_kernelINS1_18TensorListMetadataILi4EEENS1_32PointwiseOpScalar0dTensorFunctorIdLi4ELi2ELi3EEEJSt10multipliesIdEdEEEvT_T0_DpT1_
                                        ; -- End function
	.set _ZN2at6native12_GLOBAL__N_125multi_tensor_apply_kernelINS1_18TensorListMetadataILi4EEENS1_32PointwiseOpScalar0dTensorFunctorIdLi4ELi2ELi3EEEJSt10multipliesIdEdEEEvT_T0_DpT1_.num_vgpr, 34
	.set _ZN2at6native12_GLOBAL__N_125multi_tensor_apply_kernelINS1_18TensorListMetadataILi4EEENS1_32PointwiseOpScalar0dTensorFunctorIdLi4ELi2ELi3EEEJSt10multipliesIdEdEEEvT_T0_DpT1_.num_agpr, 0
	.set _ZN2at6native12_GLOBAL__N_125multi_tensor_apply_kernelINS1_18TensorListMetadataILi4EEENS1_32PointwiseOpScalar0dTensorFunctorIdLi4ELi2ELi3EEEJSt10multipliesIdEdEEEvT_T0_DpT1_.numbered_sgpr, 27
	.set _ZN2at6native12_GLOBAL__N_125multi_tensor_apply_kernelINS1_18TensorListMetadataILi4EEENS1_32PointwiseOpScalar0dTensorFunctorIdLi4ELi2ELi3EEEJSt10multipliesIdEdEEEvT_T0_DpT1_.num_named_barrier, 0
	.set _ZN2at6native12_GLOBAL__N_125multi_tensor_apply_kernelINS1_18TensorListMetadataILi4EEENS1_32PointwiseOpScalar0dTensorFunctorIdLi4ELi2ELi3EEEJSt10multipliesIdEdEEEvT_T0_DpT1_.private_seg_size, 0
	.set _ZN2at6native12_GLOBAL__N_125multi_tensor_apply_kernelINS1_18TensorListMetadataILi4EEENS1_32PointwiseOpScalar0dTensorFunctorIdLi4ELi2ELi3EEEJSt10multipliesIdEdEEEvT_T0_DpT1_.uses_vcc, 1
	.set _ZN2at6native12_GLOBAL__N_125multi_tensor_apply_kernelINS1_18TensorListMetadataILi4EEENS1_32PointwiseOpScalar0dTensorFunctorIdLi4ELi2ELi3EEEJSt10multipliesIdEdEEEvT_T0_DpT1_.uses_flat_scratch, 0
	.set _ZN2at6native12_GLOBAL__N_125multi_tensor_apply_kernelINS1_18TensorListMetadataILi4EEENS1_32PointwiseOpScalar0dTensorFunctorIdLi4ELi2ELi3EEEJSt10multipliesIdEdEEEvT_T0_DpT1_.has_dyn_sized_stack, 0
	.set _ZN2at6native12_GLOBAL__N_125multi_tensor_apply_kernelINS1_18TensorListMetadataILi4EEENS1_32PointwiseOpScalar0dTensorFunctorIdLi4ELi2ELi3EEEJSt10multipliesIdEdEEEvT_T0_DpT1_.has_recursion, 0
	.set _ZN2at6native12_GLOBAL__N_125multi_tensor_apply_kernelINS1_18TensorListMetadataILi4EEENS1_32PointwiseOpScalar0dTensorFunctorIdLi4ELi2ELi3EEEJSt10multipliesIdEdEEEvT_T0_DpT1_.has_indirect_call, 0
	.section	.AMDGPU.csdata,"",@progbits
; Kernel info:
; codeLenInByte = 1696
; TotalNumSgprs: 29
; NumVgprs: 34
; ScratchSize: 0
; MemoryBound: 1
; FloatMode: 240
; IeeeMode: 1
; LDSByteSize: 0 bytes/workgroup (compile time only)
; SGPRBlocks: 0
; VGPRBlocks: 2
; NumSGPRsForWavesPerEU: 29
; NumVGPRsForWavesPerEU: 34
; NamedBarCnt: 0
; Occupancy: 16
; WaveLimiterHint : 0
; COMPUTE_PGM_RSRC2:SCRATCH_EN: 0
; COMPUTE_PGM_RSRC2:USER_SGPR: 2
; COMPUTE_PGM_RSRC2:TRAP_HANDLER: 0
; COMPUTE_PGM_RSRC2:TGID_X_EN: 1
; COMPUTE_PGM_RSRC2:TGID_Y_EN: 0
; COMPUTE_PGM_RSRC2:TGID_Z_EN: 0
; COMPUTE_PGM_RSRC2:TIDIG_COMP_CNT: 0
	.section	.text._ZN2at6native12_GLOBAL__N_125multi_tensor_apply_kernelINS1_18TensorListMetadataILi4EEENS1_32PointwiseOpScalar0dTensorFunctorIfLi4ELi2ELi3EEEJSt10multipliesIfEfEEEvT_T0_DpT1_,"axG",@progbits,_ZN2at6native12_GLOBAL__N_125multi_tensor_apply_kernelINS1_18TensorListMetadataILi4EEENS1_32PointwiseOpScalar0dTensorFunctorIfLi4ELi2ELi3EEEJSt10multipliesIfEfEEEvT_T0_DpT1_,comdat
	.globl	_ZN2at6native12_GLOBAL__N_125multi_tensor_apply_kernelINS1_18TensorListMetadataILi4EEENS1_32PointwiseOpScalar0dTensorFunctorIfLi4ELi2ELi3EEEJSt10multipliesIfEfEEEvT_T0_DpT1_ ; -- Begin function _ZN2at6native12_GLOBAL__N_125multi_tensor_apply_kernelINS1_18TensorListMetadataILi4EEENS1_32PointwiseOpScalar0dTensorFunctorIfLi4ELi2ELi3EEEJSt10multipliesIfEfEEEvT_T0_DpT1_
	.p2align	8
	.type	_ZN2at6native12_GLOBAL__N_125multi_tensor_apply_kernelINS1_18TensorListMetadataILi4EEENS1_32PointwiseOpScalar0dTensorFunctorIfLi4ELi2ELi3EEEJSt10multipliesIfEfEEEvT_T0_DpT1_,@function
_ZN2at6native12_GLOBAL__N_125multi_tensor_apply_kernelINS1_18TensorListMetadataILi4EEENS1_32PointwiseOpScalar0dTensorFunctorIfLi4ELi2ELi3EEEJSt10multipliesIfEfEEEvT_T0_DpT1_: ; @_ZN2at6native12_GLOBAL__N_125multi_tensor_apply_kernelINS1_18TensorListMetadataILi4EEENS1_32PointwiseOpScalar0dTensorFunctorIfLi4ELi2ELi3EEEJSt10multipliesIfEfEEEvT_T0_DpT1_
; %bb.0:
	s_bfe_u32 s2, ttmp6, 0x4000c
	s_and_b32 s3, ttmp6, 15
	s_add_co_i32 s2, s2, 1
	s_getreg_b32 s4, hwreg(HW_REG_IB_STS2, 6, 4)
	s_mul_i32 s2, ttmp9, s2
	s_mov_b32 s17, 0
	s_add_co_i32 s3, s3, s2
	s_cmp_eq_u32 s4, 0
	s_cselect_b32 s16, ttmp9, s3
	s_load_u8 s6, s[0:1], s16 offset:0x5a0
	s_add_nc_u64 s[2:3], s[0:1], s[16:17]
	s_mul_u64 s[4:5], s[16:17], 3
	s_delay_alu instid0(SALU_CYCLE_1)
	s_add_nc_u64 s[4:5], s[2:3], s[4:5]
	s_load_b32 s18, s[4:5], 0x6e0
	s_wait_kmcnt 0x0
	s_clause 0x4
	s_load_b64 s[2:3], s[0:1], s6 offset:0x0 scale_offset
	s_load_b64 s[12:13], s[0:1], s6 offset:0x120 scale_offset
	;; [unrolled: 1-line block ×5, first 2 shown]
	s_ashr_i32 s19, s18, 31
	s_delay_alu instid0(SALU_CYCLE_1)
	s_lshl_b64 s[22:23], s[18:19], 18
	s_wait_kmcnt 0x0
	s_add_nc_u64 s[8:9], s[12:13], s[22:23]
	s_add_nc_u64 s[4:5], s[2:3], s[22:23]
	s_and_b32 s16, s8, 15
	s_and_b64 s[26:27], s[4:5], 15
	s_add_nc_u64 s[6:7], s[20:21], s[22:23]
	s_cmp_lg_u64 s[16:17], 0
	s_add_nc_u64 s[8:9], s[14:15], s[22:23]
	s_cselect_b32 s11, -1, 0
	s_or_b32 s10, s8, s6
	s_load_b32 s12, s[12:13], 0x0
	s_and_b32 s16, s10, 15
	s_load_b32 s10, s[0:1], 0xbec
	s_cmp_lg_u32 s16, 0
	s_wait_xcnt 0x0
	s_cselect_b32 s13, -1, 0
	s_and_b32 s16, s24, 3
	s_lshl_b64 s[18:19], s[18:19], 16
	s_or_b64 s[16:17], s[26:27], s[16:17]
	s_or_b32 s11, s13, s11
	s_cmp_lg_u64 s[16:17], 0
	s_sub_nc_u64 s[16:17], s[24:25], s[18:19]
	s_cselect_b32 s13, -1, 0
	s_delay_alu instid0(SALU_CYCLE_1) | instskip(NEXT) | instid1(SALU_CYCLE_1)
	s_or_b32 s11, s11, s13
	s_and_not1_b32 vcc_lo, exec_lo, s11
	s_mov_b32 s11, -1
	s_cbranch_vccz .LBB17_5
; %bb.1:
	v_min_i64 v[2:3], 0x10000, s[16:17]
	v_dual_mov_b32 v9, 0 :: v_dual_lshlrev_b32 v8, 2, v0
	s_mov_b32 s26, exec_lo
	s_delay_alu instid0(VALU_DEP_1)
	v_cmpx_lt_i64_e64 v[8:9], v[2:3]
	s_cbranch_execz .LBB17_4
; %bb.2:
	s_load_b32 s18, s[0:1], 0xbfc
	v_dual_mov_b32 v1, v9 :: v_dual_lshlrev_b32 v8, 4, v0
	s_wait_kmcnt 0x0
	s_mov_b32 s13, s12
	s_mov_b32 s11, s10
	s_cmp_eq_f32 s10, 1.0
	v_mov_b64_e32 v[4:5], s[12:13]
	v_mov_b64_e32 v[6:7], s[10:11]
	v_add_nc_u64_e32 v[8:9], s[22:23], v[8:9]
	v_mov_b64_e32 v[10:11], v[0:1]
	s_mov_b32 s19, 0
	s_cselect_b32 vcc_lo, -1, 0
	s_add_nc_u64 s[24:25], s[2:3], 8
	s_add_nc_u64 s[20:21], s[20:21], 8
	s_mov_b32 s23, s19
	s_mov_b32 s3, s19
	s_and_b32 s18, s18, 0xffff
	s_delay_alu instid0(SALU_CYCLE_1)
	s_lshl_b32 s22, s18, 4
.LBB17_3:                               ; =>This Inner Loop Header: Depth=1
	v_add_nc_u64_e32 v[20:21], s[20:21], v[8:9]
	v_add_nc_u64_e32 v[22:23], s[24:25], v[8:9]
	;; [unrolled: 1-line block ×3, first 2 shown]
	global_load_b128 v[12:15], v[20:21], off offset:-8
	global_load_b128 v[16:19], v[22:23], off offset:-8
	s_wait_xcnt 0x1
	v_add_nc_u64_e32 v[20:21], s[14:15], v[8:9]
	s_wait_xcnt 0x0
	v_lshlrev_b64_e32 v[22:23], 2, v[10:11]
	v_add_nc_u64_e32 v[8:9], s[22:23], v[8:9]
	s_delay_alu instid0(VALU_DEP_2)
	v_cmp_ge_i64_e64 s2, v[22:23], v[2:3]
	s_or_b32 s3, s2, s3
	s_wait_loadcnt 0x1
	v_pk_mul_f32 v[24:25], v[4:5], v[12:13]
	v_pk_mul_f32 v[26:27], v[4:5], v[14:15]
	s_wait_loadcnt 0x0
	v_pk_fma_f32 v[12:13], v[4:5], v[12:13], v[16:17]
	v_pk_fma_f32 v[14:15], v[4:5], v[14:15], v[18:19]
	;; [unrolled: 1-line block ×4, first 2 shown]
	s_delay_alu instid0(VALU_DEP_2) | instskip(NEXT) | instid1(VALU_DEP_2)
	v_dual_cndmask_b32 v13, v17, v13 :: v_dual_cndmask_b32 v12, v16, v12
	v_dual_cndmask_b32 v15, v19, v15 :: v_dual_cndmask_b32 v14, v18, v14
	global_store_b128 v[20:21], v[12:15], off
	s_wait_xcnt 0x0
	s_and_not1_b32 exec_lo, exec_lo, s3
	s_cbranch_execnz .LBB17_3
.LBB17_4:
	s_or_b32 exec_lo, exec_lo, s26
	s_mov_b32 s11, 0
.LBB17_5:
	s_delay_alu instid0(SALU_CYCLE_1)
	s_and_not1_b32 vcc_lo, exec_lo, s11
	s_cbranch_vccnz .LBB17_25
; %bb.6:
	v_cmp_lt_i64_e64 s2, s[16:17], 1
	s_and_b32 vcc_lo, exec_lo, s2
	s_cbranch_vccnz .LBB17_25
; %bb.7:
	v_min_i64 v[2:3], 0x10000, s[16:17]
	v_min_u64 v[4:5], 0x10000, s[16:17]
	s_load_b32 s0, s[0:1], 0xbfc
	v_mov_b32_e32 v1, 0
	s_mov_b32 s3, 0
	s_mov_b64 s[20:21], 0
	s_mov_b32 s15, s3
	s_mov_b32 s17, s3
	;; [unrolled: 1-line block ×3, first 2 shown]
	s_wait_kmcnt 0x0
	s_and_b32 s2, s0, 0xffff
	s_cmp_eq_f32 s10, 1.0
	s_mul_i32 s16, s2, 3
	s_cselect_b32 s0, -1, 0
	s_lshl_b32 s14, s2, 1
	s_lshl_b32 s18, s2, 2
	s_branch .LBB17_9
.LBB17_8:                               ;   in Loop: Header=BB17_9 Depth=1
	s_wait_xcnt 0x0
	s_or_b32 exec_lo, exec_lo, s1
	s_add_nc_u64 s[20:21], s[20:21], s[18:19]
	s_delay_alu instid0(SALU_CYCLE_1)
	v_cmp_ge_i64_e32 vcc_lo, s[20:21], v[2:3]
	s_cbranch_vccnz .LBB17_25
.LBB17_9:                               ; =>This Inner Loop Header: Depth=1
	v_add_nc_u64_e32 v[6:7], s[20:21], v[0:1]
	s_wait_loadcnt 0x0
	v_dual_mov_b32 v16, 0 :: v_dual_mov_b32 v15, 0
	s_mov_b32 s1, exec_lo
	s_delay_alu instid0(VALU_DEP_2)
	v_cmpx_lt_i64_e64 v[6:7], v[2:3]
	s_cbranch_execz .LBB17_11
; %bb.10:                               ;   in Loop: Header=BB17_9 Depth=1
	v_lshlrev_b64_e32 v[8:9], 2, v[6:7]
	s_delay_alu instid0(VALU_DEP_1)
	v_add_nc_u64_e32 v[10:11], s[4:5], v[8:9]
	v_add_nc_u64_e32 v[8:9], s[6:7], v[8:9]
	global_load_b32 v15, v[10:11], off
	global_load_b32 v16, v[8:9], off
.LBB17_11:                              ;   in Loop: Header=BB17_9 Depth=1
	s_wait_xcnt 0x0
	s_or_b32 exec_lo, exec_lo, s1
	v_add_nc_u64_e32 v[8:9], s[2:3], v[6:7]
	v_dual_mov_b32 v14, 0 :: v_dual_mov_b32 v18, 0
	v_mov_b32_e32 v17, 0
	s_mov_b32 s1, exec_lo
	s_delay_alu instid0(VALU_DEP_3)
	v_cmpx_lt_i64_e64 v[8:9], v[2:3]
	s_cbranch_execz .LBB17_13
; %bb.12:                               ;   in Loop: Header=BB17_9 Depth=1
	v_lshlrev_b64_e32 v[10:11], 2, v[8:9]
	s_delay_alu instid0(VALU_DEP_1)
	v_add_nc_u64_e32 v[12:13], s[4:5], v[10:11]
	v_add_nc_u64_e32 v[10:11], s[6:7], v[10:11]
	global_load_b32 v17, v[12:13], off
	global_load_b32 v18, v[10:11], off
.LBB17_13:                              ;   in Loop: Header=BB17_9 Depth=1
	s_wait_xcnt 0x0
	s_or_b32 exec_lo, exec_lo, s1
	v_add_nc_u64_e32 v[10:11], s[14:15], v[6:7]
	v_mov_b32_e32 v19, 0
	s_mov_b32 s1, exec_lo
	s_delay_alu instid0(VALU_DEP_2)
	v_cmpx_lt_i64_e64 v[10:11], v[2:3]
	s_cbranch_execz .LBB17_15
; %bb.14:                               ;   in Loop: Header=BB17_9 Depth=1
	v_lshlrev_b64_e32 v[12:13], 2, v[10:11]
	s_delay_alu instid0(VALU_DEP_1)
	v_add_nc_u64_e32 v[20:21], s[4:5], v[12:13]
	v_add_nc_u64_e32 v[12:13], s[6:7], v[12:13]
	global_load_b32 v19, v[20:21], off
	global_load_b32 v14, v[12:13], off
.LBB17_15:                              ;   in Loop: Header=BB17_9 Depth=1
	s_wait_xcnt 0x0
	s_or_b32 exec_lo, exec_lo, s1
	v_add_nc_u64_e32 v[12:13], s[16:17], v[6:7]
	v_dual_mov_b32 v21, 0 :: v_dual_mov_b32 v20, 0
	s_mov_b32 s1, exec_lo
	s_delay_alu instid0(VALU_DEP_2)
	v_cmpx_lt_i64_e64 v[12:13], v[2:3]
	s_cbranch_execnz .LBB17_20
; %bb.16:                               ;   in Loop: Header=BB17_9 Depth=1
	s_or_b32 exec_lo, exec_lo, s1
	s_delay_alu instid0(SALU_CYCLE_1)
	s_mov_b32 s1, exec_lo
	v_cmpx_lt_u64_e64 v[6:7], v[4:5]
	s_cbranch_execnz .LBB17_21
.LBB17_17:                              ;   in Loop: Header=BB17_9 Depth=1
	s_or_b32 exec_lo, exec_lo, s1
	s_delay_alu instid0(SALU_CYCLE_1)
	s_mov_b32 s1, exec_lo
	v_cmpx_lt_u64_e64 v[8:9], v[4:5]
	s_cbranch_execnz .LBB17_22
.LBB17_18:                              ;   in Loop: Header=BB17_9 Depth=1
	s_or_b32 exec_lo, exec_lo, s1
	s_delay_alu instid0(SALU_CYCLE_1)
	s_mov_b32 s1, exec_lo
	v_cmpx_lt_u64_e64 v[10:11], v[4:5]
	s_cbranch_execnz .LBB17_23
.LBB17_19:                              ;   in Loop: Header=BB17_9 Depth=1
	s_or_b32 exec_lo, exec_lo, s1
	s_delay_alu instid0(SALU_CYCLE_1)
	s_mov_b32 s1, exec_lo
	v_cmpx_lt_u64_e64 v[12:13], v[4:5]
	s_cbranch_execz .LBB17_8
	s_branch .LBB17_24
.LBB17_20:                              ;   in Loop: Header=BB17_9 Depth=1
	v_lshlrev_b64_e32 v[20:21], 2, v[12:13]
	s_delay_alu instid0(VALU_DEP_1)
	v_add_nc_u64_e32 v[22:23], s[4:5], v[20:21]
	v_add_nc_u64_e32 v[24:25], s[6:7], v[20:21]
	global_load_b32 v20, v[22:23], off
	global_load_b32 v21, v[24:25], off
	s_wait_xcnt 0x0
	s_or_b32 exec_lo, exec_lo, s1
	s_delay_alu instid0(SALU_CYCLE_1)
	s_mov_b32 s1, exec_lo
	v_cmpx_lt_u64_e64 v[6:7], v[4:5]
	s_cbranch_execz .LBB17_17
.LBB17_21:                              ;   in Loop: Header=BB17_9 Depth=1
	s_wait_loadcnt 0x0
	v_dual_mul_f32 v22, s12, v16 :: v_dual_fma_f32 v16, s12, v16, v15
	v_lshl_add_u64 v[6:7], v[6:7], 2, s[8:9]
	s_delay_alu instid0(VALU_DEP_2) | instskip(NEXT) | instid1(VALU_DEP_1)
	v_fmac_f32_e32 v15, s10, v22
	v_cndmask_b32_e64 v15, v15, v16, s0
	global_store_b32 v[6:7], v15, off
	s_wait_xcnt 0x0
	s_or_b32 exec_lo, exec_lo, s1
	s_delay_alu instid0(SALU_CYCLE_1)
	s_mov_b32 s1, exec_lo
	v_cmpx_lt_u64_e64 v[8:9], v[4:5]
	s_cbranch_execz .LBB17_18
.LBB17_22:                              ;   in Loop: Header=BB17_9 Depth=1
	s_wait_loadcnt 0x0
	v_dual_mul_f32 v6, s12, v18 :: v_dual_fma_f32 v7, s12, v18, v17
	s_delay_alu instid0(VALU_DEP_1) | instskip(NEXT) | instid1(VALU_DEP_1)
	v_fmac_f32_e32 v17, s10, v6
	v_cndmask_b32_e64 v15, v17, v7, s0
	v_lshl_add_u64 v[6:7], v[8:9], 2, s[8:9]
	global_store_b32 v[6:7], v15, off
	s_wait_xcnt 0x0
	s_or_b32 exec_lo, exec_lo, s1
	s_delay_alu instid0(SALU_CYCLE_1)
	s_mov_b32 s1, exec_lo
	v_cmpx_lt_u64_e64 v[10:11], v[4:5]
	s_cbranch_execz .LBB17_19
.LBB17_23:                              ;   in Loop: Header=BB17_9 Depth=1
	s_wait_loadcnt 0x0
	v_dual_mul_f32 v6, s12, v14 :: v_dual_fma_f32 v7, s12, v14, v19
	s_delay_alu instid0(VALU_DEP_1) | instskip(NEXT) | instid1(VALU_DEP_1)
	v_fmac_f32_e32 v19, s10, v6
	v_cndmask_b32_e64 v8, v19, v7, s0
	v_lshl_add_u64 v[6:7], v[10:11], 2, s[8:9]
	global_store_b32 v[6:7], v8, off
	s_wait_xcnt 0x0
	s_or_b32 exec_lo, exec_lo, s1
	s_delay_alu instid0(SALU_CYCLE_1)
	s_mov_b32 s1, exec_lo
	v_cmpx_lt_u64_e64 v[12:13], v[4:5]
	s_cbranch_execz .LBB17_8
.LBB17_24:                              ;   in Loop: Header=BB17_9 Depth=1
	s_wait_loadcnt 0x0
	v_dual_mul_f32 v6, s12, v21 :: v_dual_fma_f32 v7, s12, v21, v20
	s_delay_alu instid0(VALU_DEP_1) | instskip(NEXT) | instid1(VALU_DEP_1)
	v_fmac_f32_e32 v20, s10, v6
	v_cndmask_b32_e64 v8, v20, v7, s0
	v_lshl_add_u64 v[6:7], v[12:13], 2, s[8:9]
	global_store_b32 v[6:7], v8, off
	s_branch .LBB17_8
.LBB17_25:
	s_endpgm
	.section	.rodata,"a",@progbits
	.p2align	6, 0x0
	.amdhsa_kernel _ZN2at6native12_GLOBAL__N_125multi_tensor_apply_kernelINS1_18TensorListMetadataILi4EEENS1_32PointwiseOpScalar0dTensorFunctorIfLi4ELi2ELi3EEEJSt10multipliesIfEfEEEvT_T0_DpT1_
		.amdhsa_group_segment_fixed_size 0
		.amdhsa_private_segment_fixed_size 0
		.amdhsa_kernarg_size 3312
		.amdhsa_user_sgpr_count 2
		.amdhsa_user_sgpr_dispatch_ptr 0
		.amdhsa_user_sgpr_queue_ptr 0
		.amdhsa_user_sgpr_kernarg_segment_ptr 1
		.amdhsa_user_sgpr_dispatch_id 0
		.amdhsa_user_sgpr_kernarg_preload_length 0
		.amdhsa_user_sgpr_kernarg_preload_offset 0
		.amdhsa_user_sgpr_private_segment_size 0
		.amdhsa_wavefront_size32 1
		.amdhsa_uses_dynamic_stack 0
		.amdhsa_enable_private_segment 0
		.amdhsa_system_sgpr_workgroup_id_x 1
		.amdhsa_system_sgpr_workgroup_id_y 0
		.amdhsa_system_sgpr_workgroup_id_z 0
		.amdhsa_system_sgpr_workgroup_info 0
		.amdhsa_system_vgpr_workitem_id 0
		.amdhsa_next_free_vgpr 28
		.amdhsa_next_free_sgpr 28
		.amdhsa_named_barrier_count 0
		.amdhsa_reserve_vcc 1
		.amdhsa_float_round_mode_32 0
		.amdhsa_float_round_mode_16_64 0
		.amdhsa_float_denorm_mode_32 3
		.amdhsa_float_denorm_mode_16_64 3
		.amdhsa_fp16_overflow 0
		.amdhsa_memory_ordered 1
		.amdhsa_forward_progress 1
		.amdhsa_inst_pref_size 12
		.amdhsa_round_robin_scheduling 0
		.amdhsa_exception_fp_ieee_invalid_op 0
		.amdhsa_exception_fp_denorm_src 0
		.amdhsa_exception_fp_ieee_div_zero 0
		.amdhsa_exception_fp_ieee_overflow 0
		.amdhsa_exception_fp_ieee_underflow 0
		.amdhsa_exception_fp_ieee_inexact 0
		.amdhsa_exception_int_div_zero 0
	.end_amdhsa_kernel
	.section	.text._ZN2at6native12_GLOBAL__N_125multi_tensor_apply_kernelINS1_18TensorListMetadataILi4EEENS1_32PointwiseOpScalar0dTensorFunctorIfLi4ELi2ELi3EEEJSt10multipliesIfEfEEEvT_T0_DpT1_,"axG",@progbits,_ZN2at6native12_GLOBAL__N_125multi_tensor_apply_kernelINS1_18TensorListMetadataILi4EEENS1_32PointwiseOpScalar0dTensorFunctorIfLi4ELi2ELi3EEEJSt10multipliesIfEfEEEvT_T0_DpT1_,comdat
.Lfunc_end17:
	.size	_ZN2at6native12_GLOBAL__N_125multi_tensor_apply_kernelINS1_18TensorListMetadataILi4EEENS1_32PointwiseOpScalar0dTensorFunctorIfLi4ELi2ELi3EEEJSt10multipliesIfEfEEEvT_T0_DpT1_, .Lfunc_end17-_ZN2at6native12_GLOBAL__N_125multi_tensor_apply_kernelINS1_18TensorListMetadataILi4EEENS1_32PointwiseOpScalar0dTensorFunctorIfLi4ELi2ELi3EEEJSt10multipliesIfEfEEEvT_T0_DpT1_
                                        ; -- End function
	.set _ZN2at6native12_GLOBAL__N_125multi_tensor_apply_kernelINS1_18TensorListMetadataILi4EEENS1_32PointwiseOpScalar0dTensorFunctorIfLi4ELi2ELi3EEEJSt10multipliesIfEfEEEvT_T0_DpT1_.num_vgpr, 28
	.set _ZN2at6native12_GLOBAL__N_125multi_tensor_apply_kernelINS1_18TensorListMetadataILi4EEENS1_32PointwiseOpScalar0dTensorFunctorIfLi4ELi2ELi3EEEJSt10multipliesIfEfEEEvT_T0_DpT1_.num_agpr, 0
	.set _ZN2at6native12_GLOBAL__N_125multi_tensor_apply_kernelINS1_18TensorListMetadataILi4EEENS1_32PointwiseOpScalar0dTensorFunctorIfLi4ELi2ELi3EEEJSt10multipliesIfEfEEEvT_T0_DpT1_.numbered_sgpr, 28
	.set _ZN2at6native12_GLOBAL__N_125multi_tensor_apply_kernelINS1_18TensorListMetadataILi4EEENS1_32PointwiseOpScalar0dTensorFunctorIfLi4ELi2ELi3EEEJSt10multipliesIfEfEEEvT_T0_DpT1_.num_named_barrier, 0
	.set _ZN2at6native12_GLOBAL__N_125multi_tensor_apply_kernelINS1_18TensorListMetadataILi4EEENS1_32PointwiseOpScalar0dTensorFunctorIfLi4ELi2ELi3EEEJSt10multipliesIfEfEEEvT_T0_DpT1_.private_seg_size, 0
	.set _ZN2at6native12_GLOBAL__N_125multi_tensor_apply_kernelINS1_18TensorListMetadataILi4EEENS1_32PointwiseOpScalar0dTensorFunctorIfLi4ELi2ELi3EEEJSt10multipliesIfEfEEEvT_T0_DpT1_.uses_vcc, 1
	.set _ZN2at6native12_GLOBAL__N_125multi_tensor_apply_kernelINS1_18TensorListMetadataILi4EEENS1_32PointwiseOpScalar0dTensorFunctorIfLi4ELi2ELi3EEEJSt10multipliesIfEfEEEvT_T0_DpT1_.uses_flat_scratch, 0
	.set _ZN2at6native12_GLOBAL__N_125multi_tensor_apply_kernelINS1_18TensorListMetadataILi4EEENS1_32PointwiseOpScalar0dTensorFunctorIfLi4ELi2ELi3EEEJSt10multipliesIfEfEEEvT_T0_DpT1_.has_dyn_sized_stack, 0
	.set _ZN2at6native12_GLOBAL__N_125multi_tensor_apply_kernelINS1_18TensorListMetadataILi4EEENS1_32PointwiseOpScalar0dTensorFunctorIfLi4ELi2ELi3EEEJSt10multipliesIfEfEEEvT_T0_DpT1_.has_recursion, 0
	.set _ZN2at6native12_GLOBAL__N_125multi_tensor_apply_kernelINS1_18TensorListMetadataILi4EEENS1_32PointwiseOpScalar0dTensorFunctorIfLi4ELi2ELi3EEEJSt10multipliesIfEfEEEvT_T0_DpT1_.has_indirect_call, 0
	.section	.AMDGPU.csdata,"",@progbits
; Kernel info:
; codeLenInByte = 1452
; TotalNumSgprs: 30
; NumVgprs: 28
; ScratchSize: 0
; MemoryBound: 0
; FloatMode: 240
; IeeeMode: 1
; LDSByteSize: 0 bytes/workgroup (compile time only)
; SGPRBlocks: 0
; VGPRBlocks: 1
; NumSGPRsForWavesPerEU: 30
; NumVGPRsForWavesPerEU: 28
; NamedBarCnt: 0
; Occupancy: 16
; WaveLimiterHint : 0
; COMPUTE_PGM_RSRC2:SCRATCH_EN: 0
; COMPUTE_PGM_RSRC2:USER_SGPR: 2
; COMPUTE_PGM_RSRC2:TRAP_HANDLER: 0
; COMPUTE_PGM_RSRC2:TGID_X_EN: 1
; COMPUTE_PGM_RSRC2:TGID_Y_EN: 0
; COMPUTE_PGM_RSRC2:TGID_Z_EN: 0
; COMPUTE_PGM_RSRC2:TIDIG_COMP_CNT: 0
	.section	.text._ZN2at6native12_GLOBAL__N_125multi_tensor_apply_kernelINS1_18TensorListMetadataILi4EEENS1_32PointwiseOpScalar0dTensorFunctorIN3c107complexIdEELi4ELi2ELi3EEEJSt10multipliesIS8_ES8_EEEvT_T0_DpT1_,"axG",@progbits,_ZN2at6native12_GLOBAL__N_125multi_tensor_apply_kernelINS1_18TensorListMetadataILi4EEENS1_32PointwiseOpScalar0dTensorFunctorIN3c107complexIdEELi4ELi2ELi3EEEJSt10multipliesIS8_ES8_EEEvT_T0_DpT1_,comdat
	.globl	_ZN2at6native12_GLOBAL__N_125multi_tensor_apply_kernelINS1_18TensorListMetadataILi4EEENS1_32PointwiseOpScalar0dTensorFunctorIN3c107complexIdEELi4ELi2ELi3EEEJSt10multipliesIS8_ES8_EEEvT_T0_DpT1_ ; -- Begin function _ZN2at6native12_GLOBAL__N_125multi_tensor_apply_kernelINS1_18TensorListMetadataILi4EEENS1_32PointwiseOpScalar0dTensorFunctorIN3c107complexIdEELi4ELi2ELi3EEEJSt10multipliesIS8_ES8_EEEvT_T0_DpT1_
	.p2align	8
	.type	_ZN2at6native12_GLOBAL__N_125multi_tensor_apply_kernelINS1_18TensorListMetadataILi4EEENS1_32PointwiseOpScalar0dTensorFunctorIN3c107complexIdEELi4ELi2ELi3EEEJSt10multipliesIS8_ES8_EEEvT_T0_DpT1_,@function
_ZN2at6native12_GLOBAL__N_125multi_tensor_apply_kernelINS1_18TensorListMetadataILi4EEENS1_32PointwiseOpScalar0dTensorFunctorIN3c107complexIdEELi4ELi2ELi3EEEJSt10multipliesIS8_ES8_EEEvT_T0_DpT1_: ; @_ZN2at6native12_GLOBAL__N_125multi_tensor_apply_kernelINS1_18TensorListMetadataILi4EEENS1_32PointwiseOpScalar0dTensorFunctorIN3c107complexIdEELi4ELi2ELi3EEEJSt10multipliesIS8_ES8_EEEvT_T0_DpT1_
; %bb.0:
	s_bfe_u32 s2, ttmp6, 0x4000c
	s_and_b32 s3, ttmp6, 15
	s_add_co_i32 s2, s2, 1
	s_getreg_b32 s4, hwreg(HW_REG_IB_STS2, 6, 4)
	s_mul_i32 s2, ttmp9, s2
	s_mov_b32 s17, 0
	s_add_co_i32 s3, s3, s2
	s_cmp_eq_u32 s4, 0
	s_cselect_b32 s16, ttmp9, s3
	s_load_u8 s12, s[0:1], s16 offset:0x5a0
	s_add_nc_u64 s[2:3], s[0:1], s[16:17]
	s_mul_u64 s[4:5], s[16:17], 3
	s_delay_alu instid0(SALU_CYCLE_1)
	s_add_nc_u64 s[2:3], s[2:3], s[4:5]
	s_load_b32 s4, s[2:3], 0x6e0
	s_wait_kmcnt 0x0
	s_clause 0x4
	s_load_b64 s[6:7], s[0:1], s12 offset:0x240 scale_offset
	s_load_b64 s[8:9], s[0:1], s12 offset:0x360 scale_offset
	;; [unrolled: 1-line block ×5, first 2 shown]
	s_ashr_i32 s5, s4, 31
	s_delay_alu instid0(SALU_CYCLE_1)
	s_lshl_b64 s[20:21], s[4:5], 20
	s_wait_kmcnt 0x0
	s_add_nc_u64 s[2:3], s[6:7], s[20:21]
	s_add_nc_u64 s[12:13], s[8:9], s[20:21]
	;; [unrolled: 1-line block ×3, first 2 shown]
	s_or_b32 s8, s12, s2
	s_and_b32 s16, s6, 63
	s_and_b32 s7, s8, 63
	s_add_nc_u64 s[14:15], s[14:15], s[20:21]
	s_cmp_lg_u32 s7, 0
	s_load_b128 s[8:11], s[10:11], 0x0
	s_cselect_b32 s24, -1, 0
	s_lshl_b64 s[20:21], s[4:5], 16
	s_load_b128 s[4:7], s[0:1], 0xbf0
	s_and_b64 s[22:23], s[14:15], 63
	s_cmp_lg_u64 s[16:17], 0
	s_cselect_b32 s25, -1, 0
	s_and_b32 s16, s18, 3
	s_delay_alu instid0(SALU_CYCLE_1) | instskip(SKIP_3) | instid1(SALU_CYCLE_1)
	s_or_b64 s[16:17], s[22:23], s[16:17]
	s_or_b32 s22, s24, s25
	s_cmp_lg_u64 s[16:17], 0
	s_cselect_b32 s16, -1, 0
	s_or_b32 s22, s22, s16
	s_sub_nc_u64 s[16:17], s[18:19], s[20:21]
	s_and_not1_b32 vcc_lo, exec_lo, s22
	s_mov_b32 s18, -1
	s_cbranch_vccz .LBB18_13
; %bb.1:
	v_min_i64 v[30:31], 0x10000, s[16:17]
	v_dual_mov_b32 v33, 0 :: v_dual_lshlrev_b32 v32, 2, v0
	s_mov_b32 s28, exec_lo
	s_delay_alu instid0(VALU_DEP_1)
	v_cmpx_lt_i64_e64 v[32:33], v[30:31]
	s_cbranch_execz .LBB18_12
; %bb.2:
	s_wait_kmcnt 0x0
	v_cmp_neq_f64_e64 s22, s[4:5], 1.0
	v_cmp_neq_f64_e64 s23, s[6:7], 0
	s_load_b32 s18, s[0:1], 0xc0c
	v_dual_mov_b32 v1, v33 :: v_dual_lshlrev_b32 v32, 6, v0
	s_mov_b32 s19, 0
	s_mov_b64 s[24:25], s[14:15]
	s_mov_b32 s21, s19
	s_delay_alu instid0(VALU_DEP_1) | instskip(SKIP_4) | instid1(SALU_CYCLE_1)
	v_mov_b64_e32 v[34:35], v[0:1]
	s_mov_b32 s29, s19
	s_mov_b64 s[26:27], s[12:13]
	s_wait_kmcnt 0x0
	s_and_b32 s18, s18, 0xffff
	s_lshl_b32 s20, s18, 6
	s_or_b32 s30, s22, s23
	s_mov_b64 s[22:23], s[2:3]
	s_branch .LBB18_4
.LBB18_3:                               ;   in Loop: Header=BB18_4 Depth=1
	v_add_f64_e32 v[12:13], v[12:13], v[36:37]
	v_add_f64_e32 v[10:11], v[10:11], v[38:39]
	;; [unrolled: 1-line block ×8, first 2 shown]
	v_add_nc_u64_e32 v[34:35], s[18:19], v[34:35]
	s_add_nc_u64 s[24:25], s[24:25], s[20:21]
	s_add_nc_u64 s[22:23], s[22:23], s[20:21]
	s_delay_alu instid0(VALU_DEP_1) | instskip(NEXT) | instid1(VALU_DEP_1)
	v_lshlrev_b64_e32 v[18:19], 2, v[34:35]
	v_cmp_ge_i64_e32 vcc_lo, v[18:19], v[30:31]
	v_add_nc_u64_e32 v[18:19], s[26:27], v[32:33]
	s_add_nc_u64 s[26:27], s[26:27], s[20:21]
	s_clause 0x3
	global_store_b128 v[18:19], v[10:13], off
	global_store_b128 v[18:19], v[6:9], off offset:16
	global_store_b128 v[18:19], v[14:17], off offset:32
	;; [unrolled: 1-line block ×3, first 2 shown]
	s_or_b32 s29, vcc_lo, s29
	s_wait_xcnt 0x0
	s_and_not1_b32 exec_lo, exec_lo, s29
	s_cbranch_execz .LBB18_12
.LBB18_4:                               ; =>This Inner Loop Header: Depth=1
	v_add_nc_u64_e32 v[36:37], s[22:23], v[32:33]
	v_add_nc_u64_e32 v[38:39], s[24:25], v[32:33]
	s_and_not1_b32 vcc_lo, exec_lo, s30
	s_clause 0x1
	global_load_b128 v[40:43], v[36:37], off
	global_load_b128 v[26:29], v[36:37], off offset:16
	s_clause 0x3
	global_load_b128 v[2:5], v[38:39], off offset:48
	global_load_b128 v[14:17], v[38:39], off offset:32
	global_load_b128 v[6:9], v[38:39], off offset:16
	global_load_b128 v[10:13], v[38:39], off
	s_clause 0x1
	global_load_b128 v[18:21], v[36:37], off offset:48
	global_load_b128 v[22:25], v[36:37], off offset:32
	s_wait_loadcnt 0x7
	s_wait_xcnt 0x2
	v_mul_f64_e32 v[38:39], s[10:11], v[42:43]
	s_wait_xcnt 0x0
	v_mul_f64_e32 v[36:37], s[8:9], v[42:43]
	s_delay_alu instid0(VALU_DEP_2) | instskip(NEXT) | instid1(VALU_DEP_2)
	v_fma_f64 v[38:39], s[8:9], v[40:41], -v[38:39]
	v_fmac_f64_e32 v[36:37], s[10:11], v[40:41]
	s_cbranch_vccnz .LBB18_6
; %bb.5:                                ;   in Loop: Header=BB18_4 Depth=1
	s_delay_alu instid0(VALU_DEP_2) | instskip(NEXT) | instid1(VALU_DEP_2)
	v_mul_f64_e32 v[42:43], s[6:7], v[38:39]
	v_mul_f64_e32 v[40:41], s[6:7], v[36:37]
	s_delay_alu instid0(VALU_DEP_2) | instskip(NEXT) | instid1(VALU_DEP_2)
	v_fmac_f64_e32 v[42:43], s[4:5], v[36:37]
	v_fma_f64 v[38:39], s[4:5], v[38:39], -v[40:41]
	s_delay_alu instid0(VALU_DEP_2)
	v_mov_b64_e32 v[36:37], v[42:43]
.LBB18_6:                               ;   in Loop: Header=BB18_4 Depth=1
	s_wait_loadcnt 0x6
	v_mul_f64_e32 v[42:43], s[10:11], v[28:29]
	v_mul_f64_e32 v[40:41], s[8:9], v[28:29]
	s_and_not1_b32 vcc_lo, exec_lo, s30
	s_delay_alu instid0(VALU_DEP_2) | instskip(NEXT) | instid1(VALU_DEP_2)
	v_fma_f64 v[28:29], s[8:9], v[26:27], -v[42:43]
	v_fmac_f64_e32 v[40:41], s[10:11], v[26:27]
	s_cbranch_vccnz .LBB18_8
; %bb.7:                                ;   in Loop: Header=BB18_4 Depth=1
	s_delay_alu instid0(VALU_DEP_2) | instskip(NEXT) | instid1(VALU_DEP_2)
	v_mul_f64_e32 v[42:43], s[6:7], v[28:29]
	v_mul_f64_e32 v[26:27], s[6:7], v[40:41]
	s_delay_alu instid0(VALU_DEP_2) | instskip(NEXT) | instid1(VALU_DEP_2)
	v_fmac_f64_e32 v[42:43], s[4:5], v[40:41]
	v_fma_f64 v[28:29], s[4:5], v[28:29], -v[26:27]
	s_delay_alu instid0(VALU_DEP_2)
	v_mov_b64_e32 v[40:41], v[42:43]
.LBB18_8:                               ;   in Loop: Header=BB18_4 Depth=1
	s_wait_loadcnt 0x0
	v_mul_f64_e32 v[26:27], s[10:11], v[24:25]
	v_mul_f64_e32 v[24:25], s[8:9], v[24:25]
	s_and_not1_b32 vcc_lo, exec_lo, s30
	s_delay_alu instid0(VALU_DEP_2) | instskip(NEXT) | instid1(VALU_DEP_2)
	v_fma_f64 v[26:27], s[8:9], v[22:23], -v[26:27]
	v_fmac_f64_e32 v[24:25], s[10:11], v[22:23]
	s_cbranch_vccnz .LBB18_10
; %bb.9:                                ;   in Loop: Header=BB18_4 Depth=1
	s_delay_alu instid0(VALU_DEP_2) | instskip(NEXT) | instid1(VALU_DEP_2)
	v_mul_f64_e32 v[42:43], s[6:7], v[26:27]
	v_mul_f64_e32 v[22:23], s[6:7], v[24:25]
	s_delay_alu instid0(VALU_DEP_2) | instskip(NEXT) | instid1(VALU_DEP_2)
	v_fmac_f64_e32 v[42:43], s[4:5], v[24:25]
	v_fma_f64 v[26:27], s[4:5], v[26:27], -v[22:23]
	s_delay_alu instid0(VALU_DEP_2)
	v_mov_b64_e32 v[24:25], v[42:43]
.LBB18_10:                              ;   in Loop: Header=BB18_4 Depth=1
	v_mul_f64_e32 v[22:23], s[10:11], v[20:21]
	v_mul_f64_e32 v[20:21], s[8:9], v[20:21]
	s_and_not1_b32 vcc_lo, exec_lo, s30
	s_delay_alu instid0(VALU_DEP_2) | instskip(NEXT) | instid1(VALU_DEP_2)
	v_fma_f64 v[22:23], s[8:9], v[18:19], -v[22:23]
	v_fmac_f64_e32 v[20:21], s[10:11], v[18:19]
	s_cbranch_vccnz .LBB18_3
; %bb.11:                               ;   in Loop: Header=BB18_4 Depth=1
	s_delay_alu instid0(VALU_DEP_2) | instskip(NEXT) | instid1(VALU_DEP_2)
	v_mul_f64_e32 v[42:43], s[6:7], v[22:23]
	v_mul_f64_e32 v[18:19], s[6:7], v[20:21]
	s_delay_alu instid0(VALU_DEP_2) | instskip(NEXT) | instid1(VALU_DEP_2)
	v_fmac_f64_e32 v[42:43], s[4:5], v[20:21]
	v_fma_f64 v[22:23], s[4:5], v[22:23], -v[18:19]
	s_delay_alu instid0(VALU_DEP_2)
	v_mov_b64_e32 v[20:21], v[42:43]
	s_branch .LBB18_3
.LBB18_12:
	s_or_b32 exec_lo, exec_lo, s28
	s_mov_b32 s18, 0
.LBB18_13:
	s_delay_alu instid0(SALU_CYCLE_1)
	s_and_not1_b32 vcc_lo, exec_lo, s18
	s_cbranch_vccnz .LBB18_41
; %bb.14:
	v_cmp_lt_i64_e64 s18, s[16:17], 1
	s_and_b32 vcc_lo, exec_lo, s18
	s_cbranch_vccnz .LBB18_41
; %bb.15:
	s_wait_kmcnt 0x0
	v_cmp_neq_f64_e64 s23, s[4:5], 1.0
	v_cmp_neq_f64_e64 s24, s[6:7], 0
	v_min_i64 v[34:35], 0x10000, s[16:17]
	v_min_u64 v[36:37], 0x10000, s[16:17]
	s_load_b32 s0, s[0:1], 0xc0c
	v_mov_b32_e32 v1, 0
	s_wait_xcnt 0x0
	s_mov_b32 s1, 0
	s_mov_b64 s[16:17], 0
	s_mov_b32 s19, s1
	s_mov_b32 s21, s1
	s_wait_kmcnt 0x0
	s_and_b32 s0, s0, 0xffff
	s_delay_alu instid0(SALU_CYCLE_1)
	s_lshl_b32 s18, s0, 1
	s_mul_i32 s20, s0, 3
	s_lshl_b32 s22, s0, 2
	s_or_b32 s24, s23, s24
	s_mov_b32 s23, s1
	s_branch .LBB18_17
.LBB18_16:                              ;   in Loop: Header=BB18_17 Depth=1
	s_wait_xcnt 0x0
	s_or_b32 exec_lo, exec_lo, s25
	s_add_nc_u64 s[16:17], s[16:17], s[22:23]
	s_delay_alu instid0(SALU_CYCLE_1)
	v_cmp_ge_i64_e32 vcc_lo, s[16:17], v[34:35]
	s_cbranch_vccnz .LBB18_41
.LBB18_17:                              ; =>This Inner Loop Header: Depth=1
	v_add_nc_u64_e32 v[38:39], s[16:17], v[0:1]
	v_mov_b64_e32 v[20:21], 0
	v_mov_b64_e32 v[24:25], 0
	;; [unrolled: 1-line block ×5, first 2 shown]
	s_mov_b32 s25, exec_lo
	v_cmpx_lt_i64_e64 v[38:39], v[34:35]
	s_cbranch_execz .LBB18_19
; %bb.18:                               ;   in Loop: Header=BB18_17 Depth=1
	v_lshlrev_b64_e32 v[2:3], 4, v[38:39]
	s_delay_alu instid0(VALU_DEP_1)
	v_add_nc_u64_e32 v[6:7], s[14:15], v[2:3]
	v_add_nc_u64_e32 v[8:9], s[2:3], v[2:3]
	global_load_b128 v[2:5], v[6:7], off
	global_load_b128 v[22:25], v[8:9], off
.LBB18_19:                              ;   in Loop: Header=BB18_17 Depth=1
	s_wait_xcnt 0x0
	s_or_b32 exec_lo, exec_lo, s25
	v_add_nc_u64_e32 v[40:41], s[0:1], v[38:39]
	v_mov_b64_e32 v[18:19], 0
	v_mov_b64_e32 v[8:9], 0
	;; [unrolled: 1-line block ×3, first 2 shown]
	s_mov_b32 s25, exec_lo
	s_delay_alu instid0(VALU_DEP_4)
	v_cmpx_lt_i64_e64 v[40:41], v[34:35]
	s_cbranch_execz .LBB18_21
; %bb.20:                               ;   in Loop: Header=BB18_17 Depth=1
	v_lshlrev_b64_e32 v[6:7], 4, v[40:41]
	s_delay_alu instid0(VALU_DEP_1)
	v_add_nc_u64_e32 v[10:11], s[14:15], v[6:7]
	v_add_nc_u64_e32 v[12:13], s[2:3], v[6:7]
	global_load_b128 v[6:9], v[10:11], off
	global_load_b128 v[18:21], v[12:13], off
.LBB18_21:                              ;   in Loop: Header=BB18_17 Depth=1
	s_wait_xcnt 0x0
	s_or_b32 exec_lo, exec_lo, s25
	v_add_nc_u64_e32 v[42:43], s[18:19], v[38:39]
	v_mov_b64_e32 v[28:29], 0
	v_mov_b64_e32 v[32:33], 0
	;; [unrolled: 1-line block ×5, first 2 shown]
	s_mov_b32 s25, exec_lo
	v_cmpx_lt_i64_e64 v[42:43], v[34:35]
	s_cbranch_execz .LBB18_23
; %bb.22:                               ;   in Loop: Header=BB18_17 Depth=1
	v_lshlrev_b64_e32 v[10:11], 4, v[42:43]
	s_delay_alu instid0(VALU_DEP_1)
	v_add_nc_u64_e32 v[14:15], s[14:15], v[10:11]
	v_add_nc_u64_e32 v[16:17], s[2:3], v[10:11]
	global_load_b128 v[10:13], v[14:15], off
	global_load_b128 v[30:33], v[16:17], off
.LBB18_23:                              ;   in Loop: Header=BB18_17 Depth=1
	s_wait_xcnt 0x0
	s_or_b32 exec_lo, exec_lo, s25
	v_add_nc_u64_e32 v[44:45], s[20:21], v[38:39]
	v_mov_b64_e32 v[26:27], 0
	v_mov_b64_e32 v[16:17], 0
	;; [unrolled: 1-line block ×3, first 2 shown]
	s_mov_b32 s25, exec_lo
	s_delay_alu instid0(VALU_DEP_4)
	v_cmpx_lt_i64_e64 v[44:45], v[34:35]
	s_cbranch_execz .LBB18_25
; %bb.24:                               ;   in Loop: Header=BB18_17 Depth=1
	v_lshlrev_b64_e32 v[14:15], 4, v[44:45]
	s_delay_alu instid0(VALU_DEP_1)
	v_add_nc_u64_e32 v[46:47], s[14:15], v[14:15]
	v_add_nc_u64_e32 v[48:49], s[2:3], v[14:15]
	global_load_b128 v[14:17], v[46:47], off
	global_load_b128 v[26:29], v[48:49], off
.LBB18_25:                              ;   in Loop: Header=BB18_17 Depth=1
	s_wait_xcnt 0x0
	s_or_b32 exec_lo, exec_lo, s25
	s_wait_loadcnt 0x0
	v_mul_f64_e32 v[48:49], s[10:11], v[24:25]
	v_mul_f64_e32 v[46:47], s[10:11], v[22:23]
	s_and_b32 vcc_lo, exec_lo, s24
	s_delay_alu instid0(VALU_DEP_2) | instskip(NEXT) | instid1(VALU_DEP_2)
	v_fma_f64 v[22:23], s[8:9], v[22:23], -v[48:49]
	v_fmac_f64_e32 v[46:47], s[8:9], v[24:25]
	s_cbranch_vccz .LBB18_27
; %bb.26:                               ;   in Loop: Header=BB18_17 Depth=1
	s_delay_alu instid0(VALU_DEP_2) | instskip(NEXT) | instid1(VALU_DEP_2)
	v_mul_f64_e32 v[48:49], s[6:7], v[22:23]
	v_mul_f64_e32 v[24:25], s[6:7], v[46:47]
	s_delay_alu instid0(VALU_DEP_2) | instskip(NEXT) | instid1(VALU_DEP_2)
	v_fmac_f64_e32 v[48:49], s[4:5], v[46:47]
	v_fma_f64 v[22:23], s[4:5], v[22:23], -v[24:25]
	s_delay_alu instid0(VALU_DEP_2)
	v_mov_b64_e32 v[46:47], v[48:49]
.LBB18_27:                              ;   in Loop: Header=BB18_17 Depth=1
	v_mul_f64_e32 v[48:49], s[10:11], v[20:21]
	v_mul_f64_e32 v[24:25], s[10:11], v[18:19]
	s_and_not1_b32 vcc_lo, exec_lo, s24
	s_delay_alu instid0(VALU_DEP_2) | instskip(NEXT) | instid1(VALU_DEP_2)
	v_fma_f64 v[18:19], s[8:9], v[18:19], -v[48:49]
	v_fmac_f64_e32 v[24:25], s[8:9], v[20:21]
	s_cbranch_vccnz .LBB18_29
; %bb.28:                               ;   in Loop: Header=BB18_17 Depth=1
	s_delay_alu instid0(VALU_DEP_2) | instskip(NEXT) | instid1(VALU_DEP_2)
	v_mul_f64_e32 v[48:49], s[6:7], v[18:19]
	v_mul_f64_e32 v[20:21], s[6:7], v[24:25]
	s_delay_alu instid0(VALU_DEP_2) | instskip(NEXT) | instid1(VALU_DEP_2)
	v_fmac_f64_e32 v[48:49], s[4:5], v[24:25]
	v_fma_f64 v[18:19], s[4:5], v[18:19], -v[20:21]
	s_delay_alu instid0(VALU_DEP_2)
	v_mov_b64_e32 v[24:25], v[48:49]
.LBB18_29:                              ;   in Loop: Header=BB18_17 Depth=1
	v_mul_f64_e32 v[48:49], s[10:11], v[32:33]
	v_mul_f64_e32 v[20:21], s[10:11], v[30:31]
	s_and_not1_b32 vcc_lo, exec_lo, s24
	s_delay_alu instid0(VALU_DEP_2) | instskip(NEXT) | instid1(VALU_DEP_2)
	v_fma_f64 v[30:31], s[8:9], v[30:31], -v[48:49]
	v_fmac_f64_e32 v[20:21], s[8:9], v[32:33]
	s_cbranch_vccnz .LBB18_31
; %bb.30:                               ;   in Loop: Header=BB18_17 Depth=1
	s_delay_alu instid0(VALU_DEP_2) | instskip(NEXT) | instid1(VALU_DEP_2)
	v_mul_f64_e32 v[48:49], s[6:7], v[30:31]
	v_mul_f64_e32 v[32:33], s[6:7], v[20:21]
	s_delay_alu instid0(VALU_DEP_2) | instskip(NEXT) | instid1(VALU_DEP_2)
	v_fmac_f64_e32 v[48:49], s[4:5], v[20:21]
	v_fma_f64 v[30:31], s[4:5], v[30:31], -v[32:33]
	s_delay_alu instid0(VALU_DEP_2)
	v_mov_b64_e32 v[20:21], v[48:49]
.LBB18_31:                              ;   in Loop: Header=BB18_17 Depth=1
	v_mul_f64_e32 v[48:49], s[10:11], v[28:29]
	v_mul_f64_e32 v[32:33], s[10:11], v[26:27]
	s_and_not1_b32 vcc_lo, exec_lo, s24
	s_delay_alu instid0(VALU_DEP_2) | instskip(NEXT) | instid1(VALU_DEP_2)
	v_fma_f64 v[26:27], s[8:9], v[26:27], -v[48:49]
	v_fmac_f64_e32 v[32:33], s[8:9], v[28:29]
	s_cbranch_vccz .LBB18_36
; %bb.32:                               ;   in Loop: Header=BB18_17 Depth=1
	s_mov_b32 s25, exec_lo
	v_cmpx_lt_u64_e64 v[38:39], v[36:37]
	s_xor_b32 s25, exec_lo, s25
	s_cbranch_execnz .LBB18_37
.LBB18_33:                              ;   in Loop: Header=BB18_17 Depth=1
	s_or_b32 exec_lo, exec_lo, s25
	s_delay_alu instid0(SALU_CYCLE_1)
	s_mov_b32 s25, exec_lo
	v_cmpx_lt_u64_e64 v[40:41], v[36:37]
	s_cbranch_execnz .LBB18_38
.LBB18_34:                              ;   in Loop: Header=BB18_17 Depth=1
	s_or_b32 exec_lo, exec_lo, s25
	s_delay_alu instid0(SALU_CYCLE_1)
	s_mov_b32 s25, exec_lo
	v_cmpx_lt_u64_e64 v[42:43], v[36:37]
	s_cbranch_execnz .LBB18_39
.LBB18_35:                              ;   in Loop: Header=BB18_17 Depth=1
	s_or_b32 exec_lo, exec_lo, s25
	s_delay_alu instid0(SALU_CYCLE_1)
	s_mov_b32 s25, exec_lo
	v_cmpx_lt_u64_e64 v[44:45], v[36:37]
	s_cbranch_execz .LBB18_16
	s_branch .LBB18_40
.LBB18_36:                              ;   in Loop: Header=BB18_17 Depth=1
	s_delay_alu instid0(VALU_DEP_2) | instskip(NEXT) | instid1(VALU_DEP_2)
	v_mul_f64_e32 v[48:49], s[6:7], v[26:27]
	v_mul_f64_e32 v[28:29], s[6:7], v[32:33]
	s_delay_alu instid0(VALU_DEP_2) | instskip(NEXT) | instid1(VALU_DEP_2)
	v_fmac_f64_e32 v[48:49], s[4:5], v[32:33]
	v_fma_f64 v[26:27], s[4:5], v[26:27], -v[28:29]
	s_delay_alu instid0(VALU_DEP_2)
	v_mov_b64_e32 v[32:33], v[48:49]
	s_mov_b32 s25, exec_lo
	v_cmpx_lt_u64_e64 v[38:39], v[36:37]
	s_xor_b32 s25, exec_lo, s25
	s_cbranch_execz .LBB18_33
.LBB18_37:                              ;   in Loop: Header=BB18_17 Depth=1
	v_add_f64_e32 v[4:5], v[4:5], v[46:47]
	v_add_f64_e32 v[2:3], v[2:3], v[22:23]
	v_lshl_add_u64 v[22:23], v[38:39], 4, s[12:13]
	global_store_b128 v[22:23], v[2:5], off
	s_wait_xcnt 0x0
	s_or_b32 exec_lo, exec_lo, s25
	s_delay_alu instid0(SALU_CYCLE_1)
	s_mov_b32 s25, exec_lo
	v_cmpx_lt_u64_e64 v[40:41], v[36:37]
	s_cbranch_execz .LBB18_34
.LBB18_38:                              ;   in Loop: Header=BB18_17 Depth=1
	v_add_f64_e32 v[4:5], v[8:9], v[24:25]
	v_add_f64_e32 v[2:3], v[6:7], v[18:19]
	v_lshl_add_u64 v[6:7], v[40:41], 4, s[12:13]
	global_store_b128 v[6:7], v[2:5], off
	s_wait_xcnt 0x0
	s_or_b32 exec_lo, exec_lo, s25
	s_delay_alu instid0(SALU_CYCLE_1)
	s_mov_b32 s25, exec_lo
	v_cmpx_lt_u64_e64 v[42:43], v[36:37]
	s_cbranch_execz .LBB18_35
.LBB18_39:                              ;   in Loop: Header=BB18_17 Depth=1
	v_add_f64_e32 v[4:5], v[12:13], v[20:21]
	v_add_f64_e32 v[2:3], v[10:11], v[30:31]
	v_lshl_add_u64 v[6:7], v[42:43], 4, s[12:13]
	global_store_b128 v[6:7], v[2:5], off
	s_wait_xcnt 0x0
	s_or_b32 exec_lo, exec_lo, s25
	s_delay_alu instid0(SALU_CYCLE_1)
	s_mov_b32 s25, exec_lo
	v_cmpx_lt_u64_e64 v[44:45], v[36:37]
	s_cbranch_execz .LBB18_16
.LBB18_40:                              ;   in Loop: Header=BB18_17 Depth=1
	v_add_f64_e32 v[4:5], v[16:17], v[32:33]
	v_add_f64_e32 v[2:3], v[14:15], v[26:27]
	v_lshl_add_u64 v[6:7], v[44:45], 4, s[12:13]
	global_store_b128 v[6:7], v[2:5], off
	s_branch .LBB18_16
.LBB18_41:
	s_endpgm
	.section	.rodata,"a",@progbits
	.p2align	6, 0x0
	.amdhsa_kernel _ZN2at6native12_GLOBAL__N_125multi_tensor_apply_kernelINS1_18TensorListMetadataILi4EEENS1_32PointwiseOpScalar0dTensorFunctorIN3c107complexIdEELi4ELi2ELi3EEEJSt10multipliesIS8_ES8_EEEvT_T0_DpT1_
		.amdhsa_group_segment_fixed_size 0
		.amdhsa_private_segment_fixed_size 0
		.amdhsa_kernarg_size 3328
		.amdhsa_user_sgpr_count 2
		.amdhsa_user_sgpr_dispatch_ptr 0
		.amdhsa_user_sgpr_queue_ptr 0
		.amdhsa_user_sgpr_kernarg_segment_ptr 1
		.amdhsa_user_sgpr_dispatch_id 0
		.amdhsa_user_sgpr_kernarg_preload_length 0
		.amdhsa_user_sgpr_kernarg_preload_offset 0
		.amdhsa_user_sgpr_private_segment_size 0
		.amdhsa_wavefront_size32 1
		.amdhsa_uses_dynamic_stack 0
		.amdhsa_enable_private_segment 0
		.amdhsa_system_sgpr_workgroup_id_x 1
		.amdhsa_system_sgpr_workgroup_id_y 0
		.amdhsa_system_sgpr_workgroup_id_z 0
		.amdhsa_system_sgpr_workgroup_info 0
		.amdhsa_system_vgpr_workitem_id 0
		.amdhsa_next_free_vgpr 50
		.amdhsa_next_free_sgpr 31
		.amdhsa_named_barrier_count 0
		.amdhsa_reserve_vcc 1
		.amdhsa_float_round_mode_32 0
		.amdhsa_float_round_mode_16_64 0
		.amdhsa_float_denorm_mode_32 3
		.amdhsa_float_denorm_mode_16_64 3
		.amdhsa_fp16_overflow 0
		.amdhsa_memory_ordered 1
		.amdhsa_forward_progress 1
		.amdhsa_inst_pref_size 16
		.amdhsa_round_robin_scheduling 0
		.amdhsa_exception_fp_ieee_invalid_op 0
		.amdhsa_exception_fp_denorm_src 0
		.amdhsa_exception_fp_ieee_div_zero 0
		.amdhsa_exception_fp_ieee_overflow 0
		.amdhsa_exception_fp_ieee_underflow 0
		.amdhsa_exception_fp_ieee_inexact 0
		.amdhsa_exception_int_div_zero 0
	.end_amdhsa_kernel
	.section	.text._ZN2at6native12_GLOBAL__N_125multi_tensor_apply_kernelINS1_18TensorListMetadataILi4EEENS1_32PointwiseOpScalar0dTensorFunctorIN3c107complexIdEELi4ELi2ELi3EEEJSt10multipliesIS8_ES8_EEEvT_T0_DpT1_,"axG",@progbits,_ZN2at6native12_GLOBAL__N_125multi_tensor_apply_kernelINS1_18TensorListMetadataILi4EEENS1_32PointwiseOpScalar0dTensorFunctorIN3c107complexIdEELi4ELi2ELi3EEEJSt10multipliesIS8_ES8_EEEvT_T0_DpT1_,comdat
.Lfunc_end18:
	.size	_ZN2at6native12_GLOBAL__N_125multi_tensor_apply_kernelINS1_18TensorListMetadataILi4EEENS1_32PointwiseOpScalar0dTensorFunctorIN3c107complexIdEELi4ELi2ELi3EEEJSt10multipliesIS8_ES8_EEEvT_T0_DpT1_, .Lfunc_end18-_ZN2at6native12_GLOBAL__N_125multi_tensor_apply_kernelINS1_18TensorListMetadataILi4EEENS1_32PointwiseOpScalar0dTensorFunctorIN3c107complexIdEELi4ELi2ELi3EEEJSt10multipliesIS8_ES8_EEEvT_T0_DpT1_
                                        ; -- End function
	.set _ZN2at6native12_GLOBAL__N_125multi_tensor_apply_kernelINS1_18TensorListMetadataILi4EEENS1_32PointwiseOpScalar0dTensorFunctorIN3c107complexIdEELi4ELi2ELi3EEEJSt10multipliesIS8_ES8_EEEvT_T0_DpT1_.num_vgpr, 50
	.set _ZN2at6native12_GLOBAL__N_125multi_tensor_apply_kernelINS1_18TensorListMetadataILi4EEENS1_32PointwiseOpScalar0dTensorFunctorIN3c107complexIdEELi4ELi2ELi3EEEJSt10multipliesIS8_ES8_EEEvT_T0_DpT1_.num_agpr, 0
	.set _ZN2at6native12_GLOBAL__N_125multi_tensor_apply_kernelINS1_18TensorListMetadataILi4EEENS1_32PointwiseOpScalar0dTensorFunctorIN3c107complexIdEELi4ELi2ELi3EEEJSt10multipliesIS8_ES8_EEEvT_T0_DpT1_.numbered_sgpr, 31
	.set _ZN2at6native12_GLOBAL__N_125multi_tensor_apply_kernelINS1_18TensorListMetadataILi4EEENS1_32PointwiseOpScalar0dTensorFunctorIN3c107complexIdEELi4ELi2ELi3EEEJSt10multipliesIS8_ES8_EEEvT_T0_DpT1_.num_named_barrier, 0
	.set _ZN2at6native12_GLOBAL__N_125multi_tensor_apply_kernelINS1_18TensorListMetadataILi4EEENS1_32PointwiseOpScalar0dTensorFunctorIN3c107complexIdEELi4ELi2ELi3EEEJSt10multipliesIS8_ES8_EEEvT_T0_DpT1_.private_seg_size, 0
	.set _ZN2at6native12_GLOBAL__N_125multi_tensor_apply_kernelINS1_18TensorListMetadataILi4EEENS1_32PointwiseOpScalar0dTensorFunctorIN3c107complexIdEELi4ELi2ELi3EEEJSt10multipliesIS8_ES8_EEEvT_T0_DpT1_.uses_vcc, 1
	.set _ZN2at6native12_GLOBAL__N_125multi_tensor_apply_kernelINS1_18TensorListMetadataILi4EEENS1_32PointwiseOpScalar0dTensorFunctorIN3c107complexIdEELi4ELi2ELi3EEEJSt10multipliesIS8_ES8_EEEvT_T0_DpT1_.uses_flat_scratch, 0
	.set _ZN2at6native12_GLOBAL__N_125multi_tensor_apply_kernelINS1_18TensorListMetadataILi4EEENS1_32PointwiseOpScalar0dTensorFunctorIN3c107complexIdEELi4ELi2ELi3EEEJSt10multipliesIS8_ES8_EEEvT_T0_DpT1_.has_dyn_sized_stack, 0
	.set _ZN2at6native12_GLOBAL__N_125multi_tensor_apply_kernelINS1_18TensorListMetadataILi4EEENS1_32PointwiseOpScalar0dTensorFunctorIN3c107complexIdEELi4ELi2ELi3EEEJSt10multipliesIS8_ES8_EEEvT_T0_DpT1_.has_recursion, 0
	.set _ZN2at6native12_GLOBAL__N_125multi_tensor_apply_kernelINS1_18TensorListMetadataILi4EEENS1_32PointwiseOpScalar0dTensorFunctorIN3c107complexIdEELi4ELi2ELi3EEEJSt10multipliesIS8_ES8_EEEvT_T0_DpT1_.has_indirect_call, 0
	.section	.AMDGPU.csdata,"",@progbits
; Kernel info:
; codeLenInByte = 2040
; TotalNumSgprs: 33
; NumVgprs: 50
; ScratchSize: 0
; MemoryBound: 1
; FloatMode: 240
; IeeeMode: 1
; LDSByteSize: 0 bytes/workgroup (compile time only)
; SGPRBlocks: 0
; VGPRBlocks: 3
; NumSGPRsForWavesPerEU: 33
; NumVGPRsForWavesPerEU: 50
; NamedBarCnt: 0
; Occupancy: 16
; WaveLimiterHint : 0
; COMPUTE_PGM_RSRC2:SCRATCH_EN: 0
; COMPUTE_PGM_RSRC2:USER_SGPR: 2
; COMPUTE_PGM_RSRC2:TRAP_HANDLER: 0
; COMPUTE_PGM_RSRC2:TGID_X_EN: 1
; COMPUTE_PGM_RSRC2:TGID_Y_EN: 0
; COMPUTE_PGM_RSRC2:TGID_Z_EN: 0
; COMPUTE_PGM_RSRC2:TIDIG_COMP_CNT: 0
	.section	.text._ZN2at6native12_GLOBAL__N_125multi_tensor_apply_kernelINS1_18TensorListMetadataILi4EEENS1_32PointwiseOpScalar0dTensorFunctorIN3c107complexIfEELi4ELi2ELi3EEEJSt10multipliesIS8_ES8_EEEvT_T0_DpT1_,"axG",@progbits,_ZN2at6native12_GLOBAL__N_125multi_tensor_apply_kernelINS1_18TensorListMetadataILi4EEENS1_32PointwiseOpScalar0dTensorFunctorIN3c107complexIfEELi4ELi2ELi3EEEJSt10multipliesIS8_ES8_EEEvT_T0_DpT1_,comdat
	.globl	_ZN2at6native12_GLOBAL__N_125multi_tensor_apply_kernelINS1_18TensorListMetadataILi4EEENS1_32PointwiseOpScalar0dTensorFunctorIN3c107complexIfEELi4ELi2ELi3EEEJSt10multipliesIS8_ES8_EEEvT_T0_DpT1_ ; -- Begin function _ZN2at6native12_GLOBAL__N_125multi_tensor_apply_kernelINS1_18TensorListMetadataILi4EEENS1_32PointwiseOpScalar0dTensorFunctorIN3c107complexIfEELi4ELi2ELi3EEEJSt10multipliesIS8_ES8_EEEvT_T0_DpT1_
	.p2align	8
	.type	_ZN2at6native12_GLOBAL__N_125multi_tensor_apply_kernelINS1_18TensorListMetadataILi4EEENS1_32PointwiseOpScalar0dTensorFunctorIN3c107complexIfEELi4ELi2ELi3EEEJSt10multipliesIS8_ES8_EEEvT_T0_DpT1_,@function
_ZN2at6native12_GLOBAL__N_125multi_tensor_apply_kernelINS1_18TensorListMetadataILi4EEENS1_32PointwiseOpScalar0dTensorFunctorIN3c107complexIfEELi4ELi2ELi3EEEJSt10multipliesIS8_ES8_EEEvT_T0_DpT1_: ; @_ZN2at6native12_GLOBAL__N_125multi_tensor_apply_kernelINS1_18TensorListMetadataILi4EEENS1_32PointwiseOpScalar0dTensorFunctorIN3c107complexIfEELi4ELi2ELi3EEEJSt10multipliesIS8_ES8_EEEvT_T0_DpT1_
; %bb.0:
	s_bfe_u32 s2, ttmp6, 0x4000c
	s_and_b32 s3, ttmp6, 15
	s_add_co_i32 s2, s2, 1
	s_getreg_b32 s4, hwreg(HW_REG_IB_STS2, 6, 4)
	s_mul_i32 s2, ttmp9, s2
	s_delay_alu instid0(SALU_CYCLE_1)
	s_add_co_i32 s3, s3, s2
	s_cmp_eq_u32 s4, 0
	s_cselect_b32 s2, ttmp9, s3
	s_mov_b32 s3, 0
	s_load_u8 s11, s[0:1], s2 offset:0x5a0
	s_add_nc_u64 s[4:5], s[0:1], s[2:3]
	s_mul_u64 s[6:7], s[2:3], 3
	s_delay_alu instid0(SALU_CYCLE_1)
	s_add_nc_u64 s[4:5], s[4:5], s[6:7]
	s_load_b32 s10, s[4:5], 0x6e0
	s_wait_kmcnt 0x0
	s_clause 0x4
	s_load_b64 s[6:7], s[0:1], s11 offset:0x240 scale_offset
	s_load_b64 s[8:9], s[0:1], s11 offset:0x360 scale_offset
	;; [unrolled: 1-line block ×5, first 2 shown]
	s_wait_xcnt 0x0
	s_ashr_i32 s11, s10, 31
	s_delay_alu instid0(SALU_CYCLE_1)
	s_lshl_b64 s[18:19], s[10:11], 19
	s_wait_kmcnt 0x0
	s_add_nc_u64 s[4:5], s[6:7], s[18:19]
	s_add_nc_u64 s[6:7], s[8:9], s[18:19]
	;; [unrolled: 1-line block ×3, first 2 shown]
	s_or_b32 s2, s6, s4
	s_load_b64 s[12:13], s[12:13], 0x0
	s_and_b32 s9, s2, 31
	s_and_b32 s2, s8, 31
	s_cmp_lg_u32 s9, 0
	s_add_nc_u64 s[8:9], s[14:15], s[18:19]
	s_cselect_b32 s20, -1, 0
	s_lshl_b64 s[14:15], s[10:11], 16
	s_load_b64 s[10:11], s[0:1], 0xbf0
	s_and_b64 s[18:19], s[8:9], 31
	s_cmp_lg_u64 s[2:3], 0
	s_sub_nc_u64 s[14:15], s[16:17], s[14:15]
	s_cselect_b32 s21, -1, 0
	s_and_b32 s2, s16, 3
	s_delay_alu instid0(SALU_CYCLE_1) | instskip(SKIP_3) | instid1(SALU_CYCLE_1)
	s_or_b64 s[2:3], s[18:19], s[2:3]
	s_or_b32 s18, s20, s21
	s_cmp_lg_u64 s[2:3], 0
	s_cselect_b32 s2, -1, 0
	s_or_b32 s2, s18, s2
	s_delay_alu instid0(SALU_CYCLE_1)
	s_and_not1_b32 vcc_lo, exec_lo, s2
	s_mov_b32 s2, -1
	s_cbranch_vccz .LBB19_5
; %bb.1:
	v_min_i64 v[2:3], 0x10000, s[14:15]
	v_dual_mov_b32 v5, 0 :: v_dual_lshlrev_b32 v4, 2, v0
	s_mov_b32 s3, exec_lo
	s_delay_alu instid0(VALU_DEP_1)
	v_cmpx_lt_i64_e64 v[4:5], v[2:3]
	s_cbranch_execz .LBB19_4
; %bb.2:
	s_load_b32 s2, s[0:1], 0xc04
	v_dual_mov_b32 v1, v5 :: v_dual_lshlrev_b32 v4, 5, v0
	s_wait_kmcnt 0x0
	s_and_b32 s16, s11, 0x7fffffff
	s_mov_b32 s20, s12
	s_cmp_eq_u32 s16, 0
	s_mov_b32 s21, s12
	s_mov_b32 s22, s13
	;; [unrolled: 1-line block ×5, first 2 shown]
	s_cselect_b32 s18, -1, 0
	s_cmp_eq_f32 s10, 1.0
	v_mov_b64_e32 v[6:7], s[10:11]
	v_mov_b64_e32 v[8:9], s[22:23]
	;; [unrolled: 1-line block ×5, first 2 shown]
	s_mov_b32 s17, 0
	s_cselect_b32 s20, -1, 0
	s_and_b32 s16, s2, 0xffff
	s_mov_b32 s19, s17
	s_and_b32 vcc_lo, s20, s18
	s_lshl_b32 s18, s16, 5
	s_mov_b32 s26, s17
	s_mov_b64 s[20:21], s[4:5]
	s_mov_b64 s[22:23], s[8:9]
	;; [unrolled: 1-line block ×3, first 2 shown]
.LBB19_3:                               ; =>This Inner Loop Header: Depth=1
	v_add_nc_u64_e32 v[24:25], s[20:21], v[4:5]
	v_add_nc_u64_e32 v[32:33], s[22:23], v[4:5]
	;; [unrolled: 1-line block ×3, first 2 shown]
	s_add_nc_u64 s[22:23], s[22:23], s[18:19]
	s_add_nc_u64 s[20:21], s[20:21], s[18:19]
	s_clause 0x1
	global_load_b128 v[16:19], v[24:25], off
	global_load_b128 v[20:23], v[24:25], off offset:16
	s_clause 0x1
	global_load_b128 v[24:27], v[32:33], off
	global_load_b128 v[28:31], v[32:33], off offset:16
	v_lshlrev_b64_e32 v[34:35], 2, v[14:15]
	s_wait_xcnt 0x0
	v_add_nc_u64_e32 v[32:33], s[24:25], v[4:5]
	s_add_nc_u64 s[24:25], s[24:25], s[18:19]
	s_delay_alu instid0(VALU_DEP_2)
	v_cmp_ge_i64_e64 s2, v[34:35], v[2:3]
	s_or_b32 s26, s2, s26
	s_wait_loadcnt 0x3
	v_pk_mul_f32 v[36:37], v[16:17], v[8:9]
	v_pk_mul_f32 v[38:39], v[18:19], v[8:9]
	s_wait_loadcnt 0x2
	v_pk_mul_f32 v[40:41], v[20:21], v[8:9]
	v_pk_mul_f32 v[42:43], v[22:23], v[8:9]
	v_pk_fma_f32 v[44:45], v[16:17], v[10:11], v[36:37] op_sel:[0,0,1] op_sel_hi:[1,1,0] neg_lo:[0,0,1] neg_hi:[0,0,1]
	v_pk_fma_f32 v[16:17], v[16:17], v[10:11], v[36:37] op_sel:[0,0,1] op_sel_hi:[1,1,0]
	v_pk_fma_f32 v[36:37], v[18:19], v[10:11], v[38:39] op_sel:[0,0,1] op_sel_hi:[1,1,0] neg_lo:[0,0,1] neg_hi:[0,0,1]
	v_pk_fma_f32 v[18:19], v[18:19], v[10:11], v[38:39] op_sel:[0,0,1] op_sel_hi:[1,1,0]
	;; [unrolled: 2-line block ×4, first 2 shown]
	v_pk_mul_f32 v[42:43], v[16:17], v[12:13] op_sel:[1,0]
	v_pk_mul_f32 v[46:47], v[18:19], v[12:13] op_sel:[1,0]
	;; [unrolled: 1-line block ×3, first 2 shown]
	s_delay_alu instid0(VALU_DEP_4) | instskip(NEXT) | instid1(VALU_DEP_4)
	v_pk_mul_f32 v[50:51], v[22:23], v[12:13] op_sel:[1,0]
	v_pk_fma_f32 v[52:53], v[44:45], v[6:7], v[42:43] neg_lo:[0,0,1] neg_hi:[0,0,1]
	v_pk_fma_f32 v[42:43], v[44:45], v[6:7], v[42:43] op_sel_hi:[0,1,1]
	v_pk_fma_f32 v[54:55], v[36:37], v[6:7], v[46:47] neg_lo:[0,0,1] neg_hi:[0,0,1]
	v_pk_fma_f32 v[46:47], v[36:37], v[6:7], v[46:47] op_sel_hi:[0,1,1]
	;; [unrolled: 2-line block ×4, first 2 shown]
	v_dual_cndmask_b32 v17, v43, v17 :: v_dual_cndmask_b32 v16, v52, v44
	v_dual_cndmask_b32 v19, v47, v19 :: v_dual_cndmask_b32 v18, v54, v36
	;; [unrolled: 1-line block ×3, first 2 shown]
	s_delay_alu instid0(VALU_DEP_4)
	v_dual_cndmask_b32 v23, v51, v23 :: v_dual_cndmask_b32 v22, v58, v40
	s_wait_loadcnt 0x1
	v_pk_add_f32 v[16:17], v[24:25], v[16:17]
	v_pk_add_f32 v[18:19], v[26:27], v[18:19]
	s_wait_loadcnt 0x0
	v_pk_add_f32 v[20:21], v[28:29], v[20:21]
	v_pk_add_f32 v[22:23], v[30:31], v[22:23]
	s_clause 0x1
	global_store_b128 v[32:33], v[16:19], off
	global_store_b128 v[32:33], v[20:23], off offset:16
	s_wait_xcnt 0x0
	s_and_not1_b32 exec_lo, exec_lo, s26
	s_cbranch_execnz .LBB19_3
.LBB19_4:
	s_or_b32 exec_lo, exec_lo, s3
	s_mov_b32 s2, 0
.LBB19_5:
	s_delay_alu instid0(SALU_CYCLE_1)
	s_and_not1_b32 vcc_lo, exec_lo, s2
	s_cbranch_vccnz .LBB19_25
; %bb.6:
	v_cmp_lt_i64_e64 s2, s[14:15], 1
	s_and_b32 vcc_lo, exec_lo, s2
	s_cbranch_vccnz .LBB19_25
; %bb.7:
	s_wait_xcnt 0x0
	s_load_b32 s0, s[0:1], 0xc04
	v_min_i64 v[2:3], 0x10000, s[14:15]
	v_min_u64 v[4:5], 0x10000, s[14:15]
	v_mov_b32_e32 v1, 0
	s_mov_b32 s3, 0
	s_wait_kmcnt 0x0
	s_mov_b32 s14, s12
	s_mov_b32 s15, s12
	;; [unrolled: 1-line block ×8, first 2 shown]
	s_mov_b64 s[24:25], 0
	s_and_b32 s2, s0, 0xffff
	s_cmp_eq_f32 s10, 1.0
	s_mul_i32 s20, s2, 3
	s_cselect_b32 s0, -1, 0
	s_and_b32 s1, s11, 0x7fffffff
	s_delay_alu instid0(SALU_CYCLE_1)
	s_cmp_eq_u32 s1, 0
	s_cselect_b32 s1, -1, 0
	s_lshl_b32 s18, s2, 1
	s_lshl_b32 s22, s2, 2
	s_and_b32 s0, s0, s1
	s_branch .LBB19_9
.LBB19_8:                               ;   in Loop: Header=BB19_9 Depth=1
	s_wait_xcnt 0x0
	s_or_b32 exec_lo, exec_lo, s1
	s_add_nc_u64 s[24:25], s[24:25], s[22:23]
	s_delay_alu instid0(SALU_CYCLE_1)
	v_cmp_ge_i64_e32 vcc_lo, s[24:25], v[2:3]
	s_cbranch_vccnz .LBB19_25
.LBB19_9:                               ; =>This Inner Loop Header: Depth=1
	v_add_nc_u64_e32 v[14:15], s[24:25], v[0:1]
	s_wait_loadcnt 0x1
	v_dual_mov_b32 v16, 0 :: v_dual_mov_b32 v17, 0
	s_wait_loadcnt 0x0
	v_dual_mov_b32 v24, 0 :: v_dual_mov_b32 v25, 0
	s_mov_b32 s1, exec_lo
	s_delay_alu instid0(VALU_DEP_3)
	v_cmpx_lt_i64_e64 v[14:15], v[2:3]
	s_cbranch_execz .LBB19_11
; %bb.10:                               ;   in Loop: Header=BB19_9 Depth=1
	v_lshlrev_b64_e32 v[6:7], 3, v[14:15]
	s_delay_alu instid0(VALU_DEP_1)
	v_add_nc_u64_e32 v[8:9], s[8:9], v[6:7]
	v_add_nc_u64_e32 v[6:7], s[4:5], v[6:7]
	global_load_b64 v[16:17], v[8:9], off
	global_load_b64 v[24:25], v[6:7], off
.LBB19_11:                              ;   in Loop: Header=BB19_9 Depth=1
	s_wait_xcnt 0x0
	s_or_b32 exec_lo, exec_lo, s1
	v_add_nc_u64_e32 v[8:9], s[2:3], v[14:15]
	v_dual_mov_b32 v6, 0 :: v_dual_mov_b32 v20, 0
	v_dual_mov_b32 v21, 0 :: v_dual_mov_b32 v28, 0
	v_mov_b32_e32 v29, 0
	s_mov_b32 s1, exec_lo
	s_delay_alu instid0(VALU_DEP_4)
	v_cmpx_lt_i64_e64 v[8:9], v[2:3]
	s_cbranch_execz .LBB19_13
; %bb.12:                               ;   in Loop: Header=BB19_9 Depth=1
	v_lshlrev_b64_e32 v[10:11], 3, v[8:9]
	s_delay_alu instid0(VALU_DEP_1)
	v_add_nc_u64_e32 v[12:13], s[8:9], v[10:11]
	v_add_nc_u64_e32 v[10:11], s[4:5], v[10:11]
	global_load_b64 v[20:21], v[12:13], off
	global_load_b64 v[28:29], v[10:11], off
.LBB19_13:                              ;   in Loop: Header=BB19_9 Depth=1
	s_wait_xcnt 0x0
	s_or_b32 exec_lo, exec_lo, s1
	v_add_nc_u64_e32 v[12:13], s[18:19], v[14:15]
	v_dual_mov_b32 v7, 0 :: v_dual_mov_b32 v22, 0
	v_mov_b32_e32 v23, 0
	s_mov_b32 s1, exec_lo
	s_delay_alu instid0(VALU_DEP_3)
	v_cmpx_lt_i64_e64 v[12:13], v[2:3]
	s_cbranch_execz .LBB19_15
; %bb.14:                               ;   in Loop: Header=BB19_9 Depth=1
	v_lshlrev_b64_e32 v[6:7], 3, v[12:13]
	s_delay_alu instid0(VALU_DEP_1)
	v_add_nc_u64_e32 v[10:11], s[8:9], v[6:7]
	v_add_nc_u64_e32 v[18:19], s[4:5], v[6:7]
	global_load_b64 v[6:7], v[10:11], off
	global_load_b64 v[22:23], v[18:19], off
.LBB19_15:                              ;   in Loop: Header=BB19_9 Depth=1
	s_wait_xcnt 0x0
	s_or_b32 exec_lo, exec_lo, s1
	v_add_nc_u64_e32 v[10:11], s[20:21], v[14:15]
	v_dual_mov_b32 v18, 0 :: v_dual_mov_b32 v19, 0
	v_dual_mov_b32 v26, 0 :: v_dual_mov_b32 v27, 0
	s_mov_b32 s1, exec_lo
	s_delay_alu instid0(VALU_DEP_3)
	v_cmpx_lt_i64_e64 v[10:11], v[2:3]
	s_cbranch_execnz .LBB19_20
; %bb.16:                               ;   in Loop: Header=BB19_9 Depth=1
	s_or_b32 exec_lo, exec_lo, s1
	s_delay_alu instid0(SALU_CYCLE_1)
	s_mov_b32 s1, exec_lo
	v_cmpx_lt_u64_e64 v[14:15], v[4:5]
	s_cbranch_execnz .LBB19_21
.LBB19_17:                              ;   in Loop: Header=BB19_9 Depth=1
	s_or_b32 exec_lo, exec_lo, s1
	s_delay_alu instid0(SALU_CYCLE_1)
	s_mov_b32 s1, exec_lo
	v_cmpx_lt_u64_e64 v[8:9], v[4:5]
	s_cbranch_execnz .LBB19_22
.LBB19_18:                              ;   in Loop: Header=BB19_9 Depth=1
	s_or_b32 exec_lo, exec_lo, s1
	s_delay_alu instid0(SALU_CYCLE_1)
	s_mov_b32 s1, exec_lo
	v_cmpx_lt_u64_e64 v[12:13], v[4:5]
	s_cbranch_execnz .LBB19_23
.LBB19_19:                              ;   in Loop: Header=BB19_9 Depth=1
	s_or_b32 exec_lo, exec_lo, s1
	s_delay_alu instid0(SALU_CYCLE_1)
	s_mov_b32 s1, exec_lo
	v_cmpx_lt_u64_e64 v[10:11], v[4:5]
	s_cbranch_execz .LBB19_8
	s_branch .LBB19_24
.LBB19_20:                              ;   in Loop: Header=BB19_9 Depth=1
	v_lshlrev_b64_e32 v[18:19], 3, v[10:11]
	s_delay_alu instid0(VALU_DEP_1)
	v_add_nc_u64_e32 v[30:31], s[8:9], v[18:19]
	v_add_nc_u64_e32 v[32:33], s[4:5], v[18:19]
	global_load_b64 v[18:19], v[30:31], off
	global_load_b64 v[26:27], v[32:33], off
	s_wait_xcnt 0x0
	s_or_b32 exec_lo, exec_lo, s1
	s_delay_alu instid0(SALU_CYCLE_1)
	s_mov_b32 s1, exec_lo
	v_cmpx_lt_u64_e64 v[14:15], v[4:5]
	s_cbranch_execz .LBB19_17
.LBB19_21:                              ;   in Loop: Header=BB19_9 Depth=1
	v_mov_b64_e32 v[30:31], s[12:13]
	v_mov_b64_e32 v[32:33], s[14:15]
	v_mov_b64_e32 v[34:35], s[16:17]
	v_mov_b64_e32 v[38:39], s[10:11]
	v_lshl_add_u64 v[14:15], v[14:15], 3, s[6:7]
	s_wait_loadcnt 0x0
	v_pk_mul_f32 v[30:31], v[24:25], v[30:31]
	s_delay_alu instid0(VALU_DEP_1) | instskip(SKIP_1) | instid1(VALU_DEP_2)
	v_pk_fma_f32 v[36:37], v[24:25], v[32:33], v[30:31] op_sel:[0,0,1] op_sel_hi:[1,1,0]
	v_pk_fma_f32 v[24:25], v[24:25], v[32:33], v[30:31] op_sel:[0,0,1] op_sel_hi:[1,1,0] neg_lo:[0,0,1] neg_hi:[0,0,1]
	v_pk_mul_f32 v[30:31], v[36:37], v[34:35] op_sel:[1,0]
	s_delay_alu instid0(VALU_DEP_1) | instskip(SKIP_1) | instid1(VALU_DEP_1)
	v_pk_fma_f32 v[32:33], v[24:25], v[38:39], v[30:31] op_sel_hi:[0,1,1]
	v_pk_fma_f32 v[30:31], v[24:25], v[38:39], v[30:31] neg_lo:[0,0,1] neg_hi:[0,0,1]
	v_dual_cndmask_b32 v25, v33, v37, s0 :: v_dual_cndmask_b32 v24, v30, v24, s0
	s_delay_alu instid0(VALU_DEP_1) | instskip(SKIP_3) | instid1(SALU_CYCLE_1)
	v_pk_add_f32 v[16:17], v[16:17], v[24:25]
	global_store_b64 v[14:15], v[16:17], off
	s_wait_xcnt 0x0
	s_or_b32 exec_lo, exec_lo, s1
	s_mov_b32 s1, exec_lo
	v_cmpx_lt_u64_e64 v[8:9], v[4:5]
	s_cbranch_execz .LBB19_18
.LBB19_22:                              ;   in Loop: Header=BB19_9 Depth=1
	v_mov_b64_e32 v[14:15], s[12:13]
	s_wait_loadcnt 0x1
	v_mov_b64_e32 v[16:17], s[14:15]
	s_wait_loadcnt 0x0
	v_mov_b64_e32 v[24:25], s[16:17]
	v_mov_b64_e32 v[32:33], s[10:11]
	v_lshl_add_u64 v[8:9], v[8:9], 3, s[6:7]
	v_pk_mul_f32 v[14:15], v[28:29], v[14:15]
	s_delay_alu instid0(VALU_DEP_1) | instskip(SKIP_1) | instid1(VALU_DEP_2)
	v_pk_fma_f32 v[30:31], v[28:29], v[16:17], v[14:15] op_sel:[0,0,1] op_sel_hi:[1,1,0]
	v_pk_fma_f32 v[14:15], v[28:29], v[16:17], v[14:15] op_sel:[0,0,1] op_sel_hi:[1,1,0] neg_lo:[0,0,1] neg_hi:[0,0,1]
	v_pk_mul_f32 v[16:17], v[30:31], v[24:25] op_sel:[1,0]
	s_delay_alu instid0(VALU_DEP_1) | instskip(SKIP_1) | instid1(VALU_DEP_1)
	v_pk_fma_f32 v[24:25], v[14:15], v[32:33], v[16:17] op_sel_hi:[0,1,1]
	v_pk_fma_f32 v[16:17], v[14:15], v[32:33], v[16:17] neg_lo:[0,0,1] neg_hi:[0,0,1]
	v_dual_cndmask_b32 v15, v25, v31, s0 :: v_dual_cndmask_b32 v14, v16, v14, s0
	s_delay_alu instid0(VALU_DEP_1) | instskip(SKIP_3) | instid1(SALU_CYCLE_1)
	v_pk_add_f32 v[14:15], v[20:21], v[14:15]
	global_store_b64 v[8:9], v[14:15], off
	s_wait_xcnt 0x0
	s_or_b32 exec_lo, exec_lo, s1
	s_mov_b32 s1, exec_lo
	v_cmpx_lt_u64_e64 v[12:13], v[4:5]
	s_cbranch_execz .LBB19_19
.LBB19_23:                              ;   in Loop: Header=BB19_9 Depth=1
	v_mov_b64_e32 v[8:9], s[12:13]
	v_mov_b64_e32 v[14:15], s[14:15]
	s_wait_loadcnt 0x1
	v_mov_b64_e32 v[16:17], s[16:17]
	s_wait_loadcnt 0x0
	v_mov_b64_e32 v[24:25], s[10:11]
	s_delay_alu instid0(VALU_DEP_4) | instskip(NEXT) | instid1(VALU_DEP_1)
	v_pk_mul_f32 v[8:9], v[22:23], v[8:9]
	v_pk_fma_f32 v[20:21], v[22:23], v[14:15], v[8:9] op_sel:[0,0,1] op_sel_hi:[1,1,0]
	v_pk_fma_f32 v[8:9], v[22:23], v[14:15], v[8:9] op_sel:[0,0,1] op_sel_hi:[1,1,0] neg_lo:[0,0,1] neg_hi:[0,0,1]
	s_delay_alu instid0(VALU_DEP_2) | instskip(NEXT) | instid1(VALU_DEP_1)
	v_pk_mul_f32 v[14:15], v[20:21], v[16:17] op_sel:[1,0]
	v_pk_fma_f32 v[16:17], v[8:9], v[24:25], v[14:15] op_sel_hi:[0,1,1]
	v_pk_fma_f32 v[14:15], v[8:9], v[24:25], v[14:15] neg_lo:[0,0,1] neg_hi:[0,0,1]
	s_delay_alu instid0(VALU_DEP_1) | instskip(NEXT) | instid1(VALU_DEP_1)
	v_dual_cndmask_b32 v9, v17, v21, s0 :: v_dual_cndmask_b32 v8, v14, v8, s0
	v_pk_add_f32 v[6:7], v[6:7], v[8:9]
	v_lshl_add_u64 v[8:9], v[12:13], 3, s[6:7]
	global_store_b64 v[8:9], v[6:7], off
	s_wait_xcnt 0x0
	s_or_b32 exec_lo, exec_lo, s1
	s_delay_alu instid0(SALU_CYCLE_1)
	s_mov_b32 s1, exec_lo
	v_cmpx_lt_u64_e64 v[10:11], v[4:5]
	s_cbranch_execz .LBB19_8
.LBB19_24:                              ;   in Loop: Header=BB19_9 Depth=1
	s_wait_loadcnt 0x1
	v_mov_b64_e32 v[6:7], s[12:13]
	v_mov_b64_e32 v[8:9], s[14:15]
	;; [unrolled: 1-line block ×4, first 2 shown]
	s_wait_loadcnt 0x0
	s_delay_alu instid0(VALU_DEP_4) | instskip(NEXT) | instid1(VALU_DEP_1)
	v_pk_mul_f32 v[6:7], v[26:27], v[6:7]
	v_pk_fma_f32 v[14:15], v[26:27], v[8:9], v[6:7] op_sel:[0,0,1] op_sel_hi:[1,1,0]
	v_pk_fma_f32 v[6:7], v[26:27], v[8:9], v[6:7] op_sel:[0,0,1] op_sel_hi:[1,1,0] neg_lo:[0,0,1] neg_hi:[0,0,1]
	s_delay_alu instid0(VALU_DEP_2) | instskip(NEXT) | instid1(VALU_DEP_1)
	v_pk_mul_f32 v[8:9], v[14:15], v[12:13] op_sel:[1,0]
	v_pk_fma_f32 v[12:13], v[6:7], v[16:17], v[8:9] op_sel_hi:[0,1,1]
	v_pk_fma_f32 v[8:9], v[6:7], v[16:17], v[8:9] neg_lo:[0,0,1] neg_hi:[0,0,1]
	s_delay_alu instid0(VALU_DEP_1) | instskip(SKIP_1) | instid1(VALU_DEP_2)
	v_dual_cndmask_b32 v7, v13, v15, s0 :: v_dual_cndmask_b32 v6, v8, v6, s0
	v_lshl_add_u64 v[8:9], v[10:11], 3, s[6:7]
	v_pk_add_f32 v[6:7], v[18:19], v[6:7]
	global_store_b64 v[8:9], v[6:7], off
	s_branch .LBB19_8
.LBB19_25:
	s_endpgm
	.section	.rodata,"a",@progbits
	.p2align	6, 0x0
	.amdhsa_kernel _ZN2at6native12_GLOBAL__N_125multi_tensor_apply_kernelINS1_18TensorListMetadataILi4EEENS1_32PointwiseOpScalar0dTensorFunctorIN3c107complexIfEELi4ELi2ELi3EEEJSt10multipliesIS8_ES8_EEEvT_T0_DpT1_
		.amdhsa_group_segment_fixed_size 0
		.amdhsa_private_segment_fixed_size 0
		.amdhsa_kernarg_size 3320
		.amdhsa_user_sgpr_count 2
		.amdhsa_user_sgpr_dispatch_ptr 0
		.amdhsa_user_sgpr_queue_ptr 0
		.amdhsa_user_sgpr_kernarg_segment_ptr 1
		.amdhsa_user_sgpr_dispatch_id 0
		.amdhsa_user_sgpr_kernarg_preload_length 0
		.amdhsa_user_sgpr_kernarg_preload_offset 0
		.amdhsa_user_sgpr_private_segment_size 0
		.amdhsa_wavefront_size32 1
		.amdhsa_uses_dynamic_stack 0
		.amdhsa_enable_private_segment 0
		.amdhsa_system_sgpr_workgroup_id_x 1
		.amdhsa_system_sgpr_workgroup_id_y 0
		.amdhsa_system_sgpr_workgroup_id_z 0
		.amdhsa_system_sgpr_workgroup_info 0
		.amdhsa_system_vgpr_workitem_id 0
		.amdhsa_next_free_vgpr 60
		.amdhsa_next_free_sgpr 27
		.amdhsa_named_barrier_count 0
		.amdhsa_reserve_vcc 1
		.amdhsa_float_round_mode_32 0
		.amdhsa_float_round_mode_16_64 0
		.amdhsa_float_denorm_mode_32 3
		.amdhsa_float_denorm_mode_16_64 3
		.amdhsa_fp16_overflow 0
		.amdhsa_memory_ordered 1
		.amdhsa_forward_progress 1
		.amdhsa_inst_pref_size 17
		.amdhsa_round_robin_scheduling 0
		.amdhsa_exception_fp_ieee_invalid_op 0
		.amdhsa_exception_fp_denorm_src 0
		.amdhsa_exception_fp_ieee_div_zero 0
		.amdhsa_exception_fp_ieee_overflow 0
		.amdhsa_exception_fp_ieee_underflow 0
		.amdhsa_exception_fp_ieee_inexact 0
		.amdhsa_exception_int_div_zero 0
	.end_amdhsa_kernel
	.section	.text._ZN2at6native12_GLOBAL__N_125multi_tensor_apply_kernelINS1_18TensorListMetadataILi4EEENS1_32PointwiseOpScalar0dTensorFunctorIN3c107complexIfEELi4ELi2ELi3EEEJSt10multipliesIS8_ES8_EEEvT_T0_DpT1_,"axG",@progbits,_ZN2at6native12_GLOBAL__N_125multi_tensor_apply_kernelINS1_18TensorListMetadataILi4EEENS1_32PointwiseOpScalar0dTensorFunctorIN3c107complexIfEELi4ELi2ELi3EEEJSt10multipliesIS8_ES8_EEEvT_T0_DpT1_,comdat
.Lfunc_end19:
	.size	_ZN2at6native12_GLOBAL__N_125multi_tensor_apply_kernelINS1_18TensorListMetadataILi4EEENS1_32PointwiseOpScalar0dTensorFunctorIN3c107complexIfEELi4ELi2ELi3EEEJSt10multipliesIS8_ES8_EEEvT_T0_DpT1_, .Lfunc_end19-_ZN2at6native12_GLOBAL__N_125multi_tensor_apply_kernelINS1_18TensorListMetadataILi4EEENS1_32PointwiseOpScalar0dTensorFunctorIN3c107complexIfEELi4ELi2ELi3EEEJSt10multipliesIS8_ES8_EEEvT_T0_DpT1_
                                        ; -- End function
	.set _ZN2at6native12_GLOBAL__N_125multi_tensor_apply_kernelINS1_18TensorListMetadataILi4EEENS1_32PointwiseOpScalar0dTensorFunctorIN3c107complexIfEELi4ELi2ELi3EEEJSt10multipliesIS8_ES8_EEEvT_T0_DpT1_.num_vgpr, 60
	.set _ZN2at6native12_GLOBAL__N_125multi_tensor_apply_kernelINS1_18TensorListMetadataILi4EEENS1_32PointwiseOpScalar0dTensorFunctorIN3c107complexIfEELi4ELi2ELi3EEEJSt10multipliesIS8_ES8_EEEvT_T0_DpT1_.num_agpr, 0
	.set _ZN2at6native12_GLOBAL__N_125multi_tensor_apply_kernelINS1_18TensorListMetadataILi4EEENS1_32PointwiseOpScalar0dTensorFunctorIN3c107complexIfEELi4ELi2ELi3EEEJSt10multipliesIS8_ES8_EEEvT_T0_DpT1_.numbered_sgpr, 27
	.set _ZN2at6native12_GLOBAL__N_125multi_tensor_apply_kernelINS1_18TensorListMetadataILi4EEENS1_32PointwiseOpScalar0dTensorFunctorIN3c107complexIfEELi4ELi2ELi3EEEJSt10multipliesIS8_ES8_EEEvT_T0_DpT1_.num_named_barrier, 0
	.set _ZN2at6native12_GLOBAL__N_125multi_tensor_apply_kernelINS1_18TensorListMetadataILi4EEENS1_32PointwiseOpScalar0dTensorFunctorIN3c107complexIfEELi4ELi2ELi3EEEJSt10multipliesIS8_ES8_EEEvT_T0_DpT1_.private_seg_size, 0
	.set _ZN2at6native12_GLOBAL__N_125multi_tensor_apply_kernelINS1_18TensorListMetadataILi4EEENS1_32PointwiseOpScalar0dTensorFunctorIN3c107complexIfEELi4ELi2ELi3EEEJSt10multipliesIS8_ES8_EEEvT_T0_DpT1_.uses_vcc, 1
	.set _ZN2at6native12_GLOBAL__N_125multi_tensor_apply_kernelINS1_18TensorListMetadataILi4EEENS1_32PointwiseOpScalar0dTensorFunctorIN3c107complexIfEELi4ELi2ELi3EEEJSt10multipliesIS8_ES8_EEEvT_T0_DpT1_.uses_flat_scratch, 0
	.set _ZN2at6native12_GLOBAL__N_125multi_tensor_apply_kernelINS1_18TensorListMetadataILi4EEENS1_32PointwiseOpScalar0dTensorFunctorIN3c107complexIfEELi4ELi2ELi3EEEJSt10multipliesIS8_ES8_EEEvT_T0_DpT1_.has_dyn_sized_stack, 0
	.set _ZN2at6native12_GLOBAL__N_125multi_tensor_apply_kernelINS1_18TensorListMetadataILi4EEENS1_32PointwiseOpScalar0dTensorFunctorIN3c107complexIfEELi4ELi2ELi3EEEJSt10multipliesIS8_ES8_EEEvT_T0_DpT1_.has_recursion, 0
	.set _ZN2at6native12_GLOBAL__N_125multi_tensor_apply_kernelINS1_18TensorListMetadataILi4EEENS1_32PointwiseOpScalar0dTensorFunctorIN3c107complexIfEELi4ELi2ELi3EEEJSt10multipliesIS8_ES8_EEEvT_T0_DpT1_.has_indirect_call, 0
	.section	.AMDGPU.csdata,"",@progbits
; Kernel info:
; codeLenInByte = 2116
; TotalNumSgprs: 29
; NumVgprs: 60
; ScratchSize: 0
; MemoryBound: 0
; FloatMode: 240
; IeeeMode: 1
; LDSByteSize: 0 bytes/workgroup (compile time only)
; SGPRBlocks: 0
; VGPRBlocks: 3
; NumSGPRsForWavesPerEU: 29
; NumVGPRsForWavesPerEU: 60
; NamedBarCnt: 0
; Occupancy: 16
; WaveLimiterHint : 0
; COMPUTE_PGM_RSRC2:SCRATCH_EN: 0
; COMPUTE_PGM_RSRC2:USER_SGPR: 2
; COMPUTE_PGM_RSRC2:TRAP_HANDLER: 0
; COMPUTE_PGM_RSRC2:TGID_X_EN: 1
; COMPUTE_PGM_RSRC2:TGID_Y_EN: 0
; COMPUTE_PGM_RSRC2:TGID_Z_EN: 0
; COMPUTE_PGM_RSRC2:TIDIG_COMP_CNT: 0
	.section	.text._ZN2at6native12_GLOBAL__N_125multi_tensor_apply_kernelINS1_18TensorListMetadataILi4EEENS1_32PointwiseOpScalar0dTensorFunctorIN3c104HalfELi4ELi2ELi3EEEJSt10multipliesIfEfEEEvT_T0_DpT1_,"axG",@progbits,_ZN2at6native12_GLOBAL__N_125multi_tensor_apply_kernelINS1_18TensorListMetadataILi4EEENS1_32PointwiseOpScalar0dTensorFunctorIN3c104HalfELi4ELi2ELi3EEEJSt10multipliesIfEfEEEvT_T0_DpT1_,comdat
	.globl	_ZN2at6native12_GLOBAL__N_125multi_tensor_apply_kernelINS1_18TensorListMetadataILi4EEENS1_32PointwiseOpScalar0dTensorFunctorIN3c104HalfELi4ELi2ELi3EEEJSt10multipliesIfEfEEEvT_T0_DpT1_ ; -- Begin function _ZN2at6native12_GLOBAL__N_125multi_tensor_apply_kernelINS1_18TensorListMetadataILi4EEENS1_32PointwiseOpScalar0dTensorFunctorIN3c104HalfELi4ELi2ELi3EEEJSt10multipliesIfEfEEEvT_T0_DpT1_
	.p2align	8
	.type	_ZN2at6native12_GLOBAL__N_125multi_tensor_apply_kernelINS1_18TensorListMetadataILi4EEENS1_32PointwiseOpScalar0dTensorFunctorIN3c104HalfELi4ELi2ELi3EEEJSt10multipliesIfEfEEEvT_T0_DpT1_,@function
_ZN2at6native12_GLOBAL__N_125multi_tensor_apply_kernelINS1_18TensorListMetadataILi4EEENS1_32PointwiseOpScalar0dTensorFunctorIN3c104HalfELi4ELi2ELi3EEEJSt10multipliesIfEfEEEvT_T0_DpT1_: ; @_ZN2at6native12_GLOBAL__N_125multi_tensor_apply_kernelINS1_18TensorListMetadataILi4EEENS1_32PointwiseOpScalar0dTensorFunctorIN3c104HalfELi4ELi2ELi3EEEJSt10multipliesIfEfEEEvT_T0_DpT1_
; %bb.0:
	s_bfe_u32 s2, ttmp6, 0x4000c
	s_and_b32 s3, ttmp6, 15
	s_add_co_i32 s2, s2, 1
	s_getreg_b32 s4, hwreg(HW_REG_IB_STS2, 6, 4)
	s_mul_i32 s2, ttmp9, s2
	s_mov_b32 s19, 0
	s_add_co_i32 s3, s3, s2
	s_cmp_eq_u32 s4, 0
	v_mov_b32_e32 v7, 0
	s_cselect_b32 s18, ttmp9, s3
	s_load_u8 s6, s[0:1], s18 offset:0x5a0
	s_add_nc_u64 s[2:3], s[0:1], s[18:19]
	s_mul_u64 s[4:5], s[18:19], 3
	s_delay_alu instid0(SALU_CYCLE_1)
	s_add_nc_u64 s[2:3], s[2:3], s[4:5]
	s_load_b32 s20, s[2:3], 0x6e0
	s_wait_kmcnt 0x0
	s_clause 0x2
	s_load_b64 s[4:5], s[0:1], s6 offset:0x120 scale_offset
	s_load_b64 s[12:13], s[0:1], s6 offset:0x240 scale_offset
	;; [unrolled: 1-line block ×3, first 2 shown]
	s_ashr_i32 s21, s20, 31
	s_wait_kmcnt 0x0
	global_load_u16 v1, v7, s[4:5]
	s_clause 0x1
	s_load_b64 s[16:17], s[0:1], s6 offset:0x0 scale_offset
	s_load_b64 s[22:23], s[0:1], s6 offset:0x480 scale_offset
	s_lshl_b64 s[2:3], s[20:21], 17
	s_wait_xcnt 0x0
	s_add_nc_u64 s[6:7], s[4:5], s[2:3]
	s_add_nc_u64 s[8:9], s[14:15], s[2:3]
	s_and_b32 s18, s6, 7
	s_add_nc_u64 s[6:7], s[12:13], s[2:3]
	s_wait_kmcnt 0x0
	s_add_nc_u64 s[4:5], s[16:17], s[2:3]
	s_delay_alu instid0(SALU_CYCLE_1) | instskip(SKIP_3) | instid1(SALU_CYCLE_1)
	s_and_b64 s[24:25], s[4:5], 7
	s_cmp_lg_u64 s[18:19], 0
	s_cselect_b32 s11, -1, 0
	s_or_b32 s10, s8, s6
	s_and_b32 s10, s10, 7
	s_delay_alu instid0(SALU_CYCLE_1)
	s_cmp_lg_u32 s10, 0
	s_load_b32 s10, s[0:1], 0xbec
	s_cselect_b32 s26, -1, 0
	s_and_b32 s18, s22, 3
	s_or_b32 s11, s26, s11
	s_or_b64 s[18:19], s[24:25], s[18:19]
	s_lshl_b64 s[20:21], s[20:21], 16
	s_cmp_lg_u64 s[18:19], 0
	s_cselect_b32 s18, -1, 0
	s_delay_alu instid0(SALU_CYCLE_1)
	s_or_b32 s11, s11, s18
	s_sub_nc_u64 s[18:19], s[22:23], s[20:21]
	s_and_not1_b32 vcc_lo, exec_lo, s11
	s_mov_b32 s11, -1
	s_wait_loadcnt 0x0
	v_cvt_f32_f16_e32 v2, v1
	s_cbranch_vccz .LBB20_5
; %bb.1:
	v_min_i64 v[4:5], 0x10000, s[18:19]
	v_lshlrev_b32_e32 v6, 2, v0
	s_mov_b32 s24, exec_lo
	s_delay_alu instid0(VALU_DEP_1)
	v_cmpx_lt_i64_e64 v[6:7], v[4:5]
	s_cbranch_execz .LBB20_4
; %bb.2:
	s_load_b32 s20, s[0:1], 0xbfc
	v_dual_mov_b32 v1, v7 :: v_dual_mov_b32 v3, v2
	v_dual_mov_b32 v13, 0 :: v_dual_lshlrev_b32 v12, 3, v0
	s_wait_kmcnt 0x0
	s_mov_b32 s11, s10
	s_cmp_eq_f32 s10, 1.0
	v_mov_b64_e32 v[10:11], s[10:11]
	v_mov_b64_e32 v[14:15], v[0:1]
	v_add_nc_u64_e32 v[12:13], s[2:3], v[12:13]
	v_dual_mov_b32 v6, v2 :: v_dual_mov_b32 v7, v2
	v_dual_mov_b32 v8, s10 :: v_dual_mov_b32 v9, s10
	s_mov_b32 s21, 0
	s_cselect_b32 vcc_lo, -1, 0
	s_mov_b32 s23, s21
	s_mov_b32 s3, s21
	s_and_b32 s20, s20, 0xffff
	s_delay_alu instid0(SALU_CYCLE_1)
	s_lshl_b32 s22, s20, 3
.LBB20_3:                               ; =>This Inner Loop Header: Depth=1
	v_add_nc_u64_e32 v[16:17], s[12:13], v[12:13]
	v_add_nc_u64_e32 v[18:19], s[16:17], v[12:13]
	;; [unrolled: 1-line block ×3, first 2 shown]
	global_load_b64 v[20:21], v[16:17], off
	global_load_b64 v[22:23], v[18:19], off
	s_wait_xcnt 0x1
	v_lshlrev_b64_e32 v[16:17], 2, v[14:15]
	s_delay_alu instid0(VALU_DEP_1)
	v_cmp_ge_i64_e64 s2, v[16:17], v[4:5]
	v_add_nc_u64_e32 v[16:17], s[14:15], v[12:13]
	v_add_nc_u64_e32 v[12:13], s[22:23], v[12:13]
	s_or_b32 s3, s2, s3
	s_wait_loadcnt 0x0
	v_dual_lshrrev_b32 v25, 16, v21 :: v_dual_lshrrev_b32 v1, 16, v22
	s_wait_xcnt 0x0
	v_lshrrev_b32_e32 v19, 16, v20
	v_cvt_f32_f16_e32 v18, v22
	v_cvt_f32_f16_e32 v22, v23
	v_lshrrev_b32_e32 v23, 16, v23
	v_cvt_f32_f16_e32 v20, v20
	v_cvt_f32_f16_e32 v24, v21
	v_cvt_f32_f16_e32 v21, v19
	v_cvt_f32_f16_e32 v25, v25
	v_cvt_f32_f16_e32 v23, v23
	v_cvt_f32_f16_e32 v19, v1
	s_delay_alu instid0(VALU_DEP_4) | instskip(NEXT) | instid1(VALU_DEP_4)
	v_pk_mul_f32 v[26:27], v[2:3], v[20:21]
	v_pk_mul_f32 v[28:29], v[6:7], v[24:25]
	s_delay_alu instid0(VALU_DEP_4) | instskip(NEXT) | instid1(VALU_DEP_4)
	v_pk_fma_f32 v[24:25], v[6:7], v[24:25], v[22:23]
	v_pk_fma_f32 v[20:21], v[2:3], v[20:21], v[18:19]
	s_delay_alu instid0(VALU_DEP_4) | instskip(NEXT) | instid1(VALU_DEP_4)
	v_pk_fma_f32 v[18:19], v[10:11], v[26:27], v[18:19]
	v_pk_fma_f32 v[22:23], v[8:9], v[28:29], v[22:23]
	s_delay_alu instid0(VALU_DEP_1) | instskip(NEXT) | instid1(VALU_DEP_2)
	v_dual_cndmask_b32 v1, v19, v21, vcc_lo :: v_dual_cndmask_b32 v21, v22, v24, vcc_lo
	v_dual_cndmask_b32 v19, v23, v25 :: v_dual_cndmask_b32 v18, v18, v20
	s_delay_alu instid0(VALU_DEP_1) | instskip(NEXT) | instid1(VALU_DEP_2)
	v_cvt_pk_f16_f32 v19, v21, v19
	v_cvt_pk_f16_f32 v18, v18, v1
	global_store_b64 v[16:17], v[18:19], off
	s_wait_xcnt 0x0
	s_and_not1_b32 exec_lo, exec_lo, s3
	s_cbranch_execnz .LBB20_3
.LBB20_4:
	s_or_b32 exec_lo, exec_lo, s24
	s_mov_b32 s11, 0
.LBB20_5:
	s_delay_alu instid0(SALU_CYCLE_1)
	s_and_not1_b32 vcc_lo, exec_lo, s11
	s_cbranch_vccnz .LBB20_25
; %bb.6:
	v_cmp_lt_i64_e64 s2, s[18:19], 1
	s_and_b32 vcc_lo, exec_lo, s2
	s_cbranch_vccnz .LBB20_25
; %bb.7:
	v_min_i64 v[4:5], 0x10000, s[18:19]
	v_min_u64 v[6:7], 0x10000, s[18:19]
	s_wait_xcnt 0x0
	s_load_b32 s0, s[0:1], 0xbfc
	v_mov_b32_e32 v1, 0
	s_mov_b32 s3, 0
	s_mov_b64 s[18:19], 0
	s_mov_b32 s13, s3
	s_mov_b32 s15, s3
	s_mov_b32 s17, s3
	s_wait_kmcnt 0x0
	s_and_b32 s2, s0, 0xffff
	s_cmp_eq_f32 s10, 1.0
	s_mul_i32 s14, s2, 3
	s_cselect_b32 s0, -1, 0
	s_lshl_b32 s12, s2, 1
	s_lshl_b32 s16, s2, 2
	s_branch .LBB20_9
.LBB20_8:                               ;   in Loop: Header=BB20_9 Depth=1
	s_wait_xcnt 0x0
	s_or_b32 exec_lo, exec_lo, s1
	s_add_nc_u64 s[18:19], s[18:19], s[16:17]
	s_delay_alu instid0(SALU_CYCLE_1)
	v_cmp_ge_i64_e32 vcc_lo, s[18:19], v[4:5]
	s_cbranch_vccnz .LBB20_25
.LBB20_9:                               ; =>This Inner Loop Header: Depth=1
	v_add_nc_u64_e32 v[8:9], s[18:19], v[0:1]
	v_dual_mov_b32 v17, 0 :: v_dual_mov_b32 v16, 0
	s_mov_b32 s1, exec_lo
	s_delay_alu instid0(VALU_DEP_2)
	v_cmpx_lt_i64_e64 v[8:9], v[4:5]
	s_cbranch_execz .LBB20_11
; %bb.10:                               ;   in Loop: Header=BB20_9 Depth=1
	v_lshlrev_b64_e32 v[10:11], 1, v[8:9]
	s_delay_alu instid0(VALU_DEP_1)
	v_add_nc_u64_e32 v[12:13], s[4:5], v[10:11]
	v_add_nc_u64_e32 v[10:11], s[6:7], v[10:11]
	global_load_u16 v3, v[12:13], off
	global_load_u16 v14, v[10:11], off
	s_wait_loadcnt 0x1
	v_cvt_f32_f16_e32 v16, v3
	s_wait_loadcnt 0x0
	v_cvt_f32_f16_e32 v17, v14
.LBB20_11:                              ;   in Loop: Header=BB20_9 Depth=1
	s_wait_xcnt 0x0
	s_or_b32 exec_lo, exec_lo, s1
	v_add_nc_u64_e32 v[10:11], s[2:3], v[8:9]
	v_dual_mov_b32 v3, 0 :: v_dual_mov_b32 v19, 0
	v_mov_b32_e32 v18, 0
	s_mov_b32 s1, exec_lo
	s_delay_alu instid0(VALU_DEP_3)
	v_cmpx_lt_i64_e64 v[10:11], v[4:5]
	s_cbranch_execz .LBB20_13
; %bb.12:                               ;   in Loop: Header=BB20_9 Depth=1
	v_lshlrev_b64_e32 v[12:13], 1, v[10:11]
	s_delay_alu instid0(VALU_DEP_1)
	v_add_nc_u64_e32 v[14:15], s[4:5], v[12:13]
	v_add_nc_u64_e32 v[12:13], s[6:7], v[12:13]
	global_load_u16 v18, v[14:15], off
	global_load_u16 v19, v[12:13], off
	s_wait_loadcnt 0x1
	v_cvt_f32_f16_e32 v18, v18
	s_wait_loadcnt 0x0
	v_cvt_f32_f16_e32 v19, v19
.LBB20_13:                              ;   in Loop: Header=BB20_9 Depth=1
	s_wait_xcnt 0x0
	s_or_b32 exec_lo, exec_lo, s1
	v_add_nc_u64_e32 v[12:13], s[12:13], v[8:9]
	v_mov_b32_e32 v20, 0
	s_mov_b32 s1, exec_lo
	s_delay_alu instid0(VALU_DEP_2)
	v_cmpx_lt_i64_e64 v[12:13], v[4:5]
	s_cbranch_execz .LBB20_15
; %bb.14:                               ;   in Loop: Header=BB20_9 Depth=1
	v_lshlrev_b64_e32 v[14:15], 1, v[12:13]
	s_delay_alu instid0(VALU_DEP_1)
	v_add_nc_u64_e32 v[20:21], s[4:5], v[14:15]
	v_add_nc_u64_e32 v[14:15], s[6:7], v[14:15]
	global_load_u16 v3, v[20:21], off
	global_load_u16 v22, v[14:15], off
	s_wait_loadcnt 0x1
	s_wait_xcnt 0x1
	v_cvt_f32_f16_e32 v20, v3
	s_wait_loadcnt 0x0
	v_cvt_f32_f16_e32 v3, v22
.LBB20_15:                              ;   in Loop: Header=BB20_9 Depth=1
	s_wait_xcnt 0x0
	s_or_b32 exec_lo, exec_lo, s1
	v_add_nc_u64_e32 v[14:15], s[14:15], v[8:9]
	v_dual_mov_b32 v22, 0 :: v_dual_mov_b32 v21, 0
	s_mov_b32 s1, exec_lo
	s_delay_alu instid0(VALU_DEP_2)
	v_cmpx_lt_i64_e64 v[14:15], v[4:5]
	s_cbranch_execnz .LBB20_20
; %bb.16:                               ;   in Loop: Header=BB20_9 Depth=1
	s_or_b32 exec_lo, exec_lo, s1
	s_delay_alu instid0(SALU_CYCLE_1)
	s_mov_b32 s1, exec_lo
	v_cmpx_lt_u64_e64 v[8:9], v[6:7]
	s_cbranch_execnz .LBB20_21
.LBB20_17:                              ;   in Loop: Header=BB20_9 Depth=1
	s_or_b32 exec_lo, exec_lo, s1
	s_delay_alu instid0(SALU_CYCLE_1)
	s_mov_b32 s1, exec_lo
	v_cmpx_lt_u64_e64 v[10:11], v[6:7]
	s_cbranch_execnz .LBB20_22
.LBB20_18:                              ;   in Loop: Header=BB20_9 Depth=1
	s_or_b32 exec_lo, exec_lo, s1
	s_delay_alu instid0(SALU_CYCLE_1)
	s_mov_b32 s1, exec_lo
	v_cmpx_lt_u64_e64 v[12:13], v[6:7]
	s_cbranch_execnz .LBB20_23
.LBB20_19:                              ;   in Loop: Header=BB20_9 Depth=1
	s_or_b32 exec_lo, exec_lo, s1
	s_delay_alu instid0(SALU_CYCLE_1)
	s_mov_b32 s1, exec_lo
	v_cmpx_lt_u64_e64 v[14:15], v[6:7]
	s_cbranch_execz .LBB20_8
	s_branch .LBB20_24
.LBB20_20:                              ;   in Loop: Header=BB20_9 Depth=1
	v_lshlrev_b64_e32 v[22:23], 1, v[14:15]
	s_delay_alu instid0(VALU_DEP_1)
	v_add_nc_u64_e32 v[24:25], s[4:5], v[22:23]
	v_add_nc_u64_e32 v[22:23], s[6:7], v[22:23]
	global_load_u16 v21, v[24:25], off
	global_load_u16 v26, v[22:23], off
	s_wait_loadcnt 0x1
	v_cvt_f32_f16_e32 v21, v21
	s_wait_loadcnt 0x0
	v_cvt_f32_f16_e32 v22, v26
	s_or_b32 exec_lo, exec_lo, s1
	s_delay_alu instid0(SALU_CYCLE_1)
	s_mov_b32 s1, exec_lo
	v_cmpx_lt_u64_e64 v[8:9], v[6:7]
	s_cbranch_execz .LBB20_17
.LBB20_21:                              ;   in Loop: Header=BB20_9 Depth=1
	v_dual_mul_f32 v23, v17, v2 :: v_dual_fma_f32 v17, v2, v17, v16
	v_lshl_add_u64 v[8:9], v[8:9], 1, s[8:9]
	s_delay_alu instid0(VALU_DEP_2) | instskip(NEXT) | instid1(VALU_DEP_1)
	v_fmac_f32_e32 v16, s10, v23
	v_cndmask_b32_e64 v16, v16, v17, s0
	s_delay_alu instid0(VALU_DEP_1) | instskip(SKIP_3) | instid1(SALU_CYCLE_1)
	v_cvt_f16_f32_e32 v16, v16
	global_store_b16 v[8:9], v16, off
	s_wait_xcnt 0x0
	s_or_b32 exec_lo, exec_lo, s1
	s_mov_b32 s1, exec_lo
	v_cmpx_lt_u64_e64 v[10:11], v[6:7]
	s_cbranch_execz .LBB20_18
.LBB20_22:                              ;   in Loop: Header=BB20_9 Depth=1
	v_dual_mul_f32 v8, v19, v2 :: v_dual_fma_f32 v9, v2, v19, v18
	s_delay_alu instid0(VALU_DEP_1) | instskip(NEXT) | instid1(VALU_DEP_1)
	v_fmac_f32_e32 v18, s10, v8
	v_cndmask_b32_e64 v8, v18, v9, s0
	s_delay_alu instid0(VALU_DEP_1) | instskip(SKIP_4) | instid1(SALU_CYCLE_1)
	v_cvt_f16_f32_e32 v16, v8
	v_lshl_add_u64 v[8:9], v[10:11], 1, s[8:9]
	global_store_b16 v[8:9], v16, off
	s_wait_xcnt 0x0
	s_or_b32 exec_lo, exec_lo, s1
	s_mov_b32 s1, exec_lo
	v_cmpx_lt_u64_e64 v[12:13], v[6:7]
	s_cbranch_execz .LBB20_19
.LBB20_23:                              ;   in Loop: Header=BB20_9 Depth=1
	v_dual_mul_f32 v8, v3, v2 :: v_dual_fma_f32 v3, v2, v3, v20
	s_delay_alu instid0(VALU_DEP_1) | instskip(SKIP_1) | instid1(VALU_DEP_2)
	v_fmac_f32_e32 v20, s10, v8
	v_lshl_add_u64 v[8:9], v[12:13], 1, s[8:9]
	v_cndmask_b32_e64 v3, v20, v3, s0
	s_delay_alu instid0(VALU_DEP_1) | instskip(SKIP_3) | instid1(SALU_CYCLE_1)
	v_cvt_f16_f32_e32 v3, v3
	global_store_b16 v[8:9], v3, off
	s_wait_xcnt 0x0
	s_or_b32 exec_lo, exec_lo, s1
	s_mov_b32 s1, exec_lo
	v_cmpx_lt_u64_e64 v[14:15], v[6:7]
	s_cbranch_execz .LBB20_8
.LBB20_24:                              ;   in Loop: Header=BB20_9 Depth=1
	v_mul_f32_e32 v3, v22, v2
	s_delay_alu instid0(VALU_DEP_1) | instskip(NEXT) | instid1(VALU_DEP_1)
	v_dual_fma_f32 v8, v2, v22, v21 :: v_dual_fmac_f32 v21, s10, v3
	v_cndmask_b32_e64 v3, v21, v8, s0
	v_lshl_add_u64 v[8:9], v[14:15], 1, s[8:9]
	s_delay_alu instid0(VALU_DEP_2)
	v_cvt_f16_f32_e32 v3, v3
	global_store_b16 v[8:9], v3, off
	s_branch .LBB20_8
.LBB20_25:
	s_endpgm
	.section	.rodata,"a",@progbits
	.p2align	6, 0x0
	.amdhsa_kernel _ZN2at6native12_GLOBAL__N_125multi_tensor_apply_kernelINS1_18TensorListMetadataILi4EEENS1_32PointwiseOpScalar0dTensorFunctorIN3c104HalfELi4ELi2ELi3EEEJSt10multipliesIfEfEEEvT_T0_DpT1_
		.amdhsa_group_segment_fixed_size 0
		.amdhsa_private_segment_fixed_size 0
		.amdhsa_kernarg_size 3312
		.amdhsa_user_sgpr_count 2
		.amdhsa_user_sgpr_dispatch_ptr 0
		.amdhsa_user_sgpr_queue_ptr 0
		.amdhsa_user_sgpr_kernarg_segment_ptr 1
		.amdhsa_user_sgpr_dispatch_id 0
		.amdhsa_user_sgpr_kernarg_preload_length 0
		.amdhsa_user_sgpr_kernarg_preload_offset 0
		.amdhsa_user_sgpr_private_segment_size 0
		.amdhsa_wavefront_size32 1
		.amdhsa_uses_dynamic_stack 0
		.amdhsa_enable_private_segment 0
		.amdhsa_system_sgpr_workgroup_id_x 1
		.amdhsa_system_sgpr_workgroup_id_y 0
		.amdhsa_system_sgpr_workgroup_id_z 0
		.amdhsa_system_sgpr_workgroup_info 0
		.amdhsa_system_vgpr_workitem_id 0
		.amdhsa_next_free_vgpr 30
		.amdhsa_next_free_sgpr 27
		.amdhsa_named_barrier_count 0
		.amdhsa_reserve_vcc 1
		.amdhsa_float_round_mode_32 0
		.amdhsa_float_round_mode_16_64 0
		.amdhsa_float_denorm_mode_32 3
		.amdhsa_float_denorm_mode_16_64 3
		.amdhsa_fp16_overflow 0
		.amdhsa_memory_ordered 1
		.amdhsa_forward_progress 1
		.amdhsa_inst_pref_size 13
		.amdhsa_round_robin_scheduling 0
		.amdhsa_exception_fp_ieee_invalid_op 0
		.amdhsa_exception_fp_denorm_src 0
		.amdhsa_exception_fp_ieee_div_zero 0
		.amdhsa_exception_fp_ieee_overflow 0
		.amdhsa_exception_fp_ieee_underflow 0
		.amdhsa_exception_fp_ieee_inexact 0
		.amdhsa_exception_int_div_zero 0
	.end_amdhsa_kernel
	.section	.text._ZN2at6native12_GLOBAL__N_125multi_tensor_apply_kernelINS1_18TensorListMetadataILi4EEENS1_32PointwiseOpScalar0dTensorFunctorIN3c104HalfELi4ELi2ELi3EEEJSt10multipliesIfEfEEEvT_T0_DpT1_,"axG",@progbits,_ZN2at6native12_GLOBAL__N_125multi_tensor_apply_kernelINS1_18TensorListMetadataILi4EEENS1_32PointwiseOpScalar0dTensorFunctorIN3c104HalfELi4ELi2ELi3EEEJSt10multipliesIfEfEEEvT_T0_DpT1_,comdat
.Lfunc_end20:
	.size	_ZN2at6native12_GLOBAL__N_125multi_tensor_apply_kernelINS1_18TensorListMetadataILi4EEENS1_32PointwiseOpScalar0dTensorFunctorIN3c104HalfELi4ELi2ELi3EEEJSt10multipliesIfEfEEEvT_T0_DpT1_, .Lfunc_end20-_ZN2at6native12_GLOBAL__N_125multi_tensor_apply_kernelINS1_18TensorListMetadataILi4EEENS1_32PointwiseOpScalar0dTensorFunctorIN3c104HalfELi4ELi2ELi3EEEJSt10multipliesIfEfEEEvT_T0_DpT1_
                                        ; -- End function
	.set _ZN2at6native12_GLOBAL__N_125multi_tensor_apply_kernelINS1_18TensorListMetadataILi4EEENS1_32PointwiseOpScalar0dTensorFunctorIN3c104HalfELi4ELi2ELi3EEEJSt10multipliesIfEfEEEvT_T0_DpT1_.num_vgpr, 30
	.set _ZN2at6native12_GLOBAL__N_125multi_tensor_apply_kernelINS1_18TensorListMetadataILi4EEENS1_32PointwiseOpScalar0dTensorFunctorIN3c104HalfELi4ELi2ELi3EEEJSt10multipliesIfEfEEEvT_T0_DpT1_.num_agpr, 0
	.set _ZN2at6native12_GLOBAL__N_125multi_tensor_apply_kernelINS1_18TensorListMetadataILi4EEENS1_32PointwiseOpScalar0dTensorFunctorIN3c104HalfELi4ELi2ELi3EEEJSt10multipliesIfEfEEEvT_T0_DpT1_.numbered_sgpr, 27
	.set _ZN2at6native12_GLOBAL__N_125multi_tensor_apply_kernelINS1_18TensorListMetadataILi4EEENS1_32PointwiseOpScalar0dTensorFunctorIN3c104HalfELi4ELi2ELi3EEEJSt10multipliesIfEfEEEvT_T0_DpT1_.num_named_barrier, 0
	.set _ZN2at6native12_GLOBAL__N_125multi_tensor_apply_kernelINS1_18TensorListMetadataILi4EEENS1_32PointwiseOpScalar0dTensorFunctorIN3c104HalfELi4ELi2ELi3EEEJSt10multipliesIfEfEEEvT_T0_DpT1_.private_seg_size, 0
	.set _ZN2at6native12_GLOBAL__N_125multi_tensor_apply_kernelINS1_18TensorListMetadataILi4EEENS1_32PointwiseOpScalar0dTensorFunctorIN3c104HalfELi4ELi2ELi3EEEJSt10multipliesIfEfEEEvT_T0_DpT1_.uses_vcc, 1
	.set _ZN2at6native12_GLOBAL__N_125multi_tensor_apply_kernelINS1_18TensorListMetadataILi4EEENS1_32PointwiseOpScalar0dTensorFunctorIN3c104HalfELi4ELi2ELi3EEEJSt10multipliesIfEfEEEvT_T0_DpT1_.uses_flat_scratch, 0
	.set _ZN2at6native12_GLOBAL__N_125multi_tensor_apply_kernelINS1_18TensorListMetadataILi4EEENS1_32PointwiseOpScalar0dTensorFunctorIN3c104HalfELi4ELi2ELi3EEEJSt10multipliesIfEfEEEvT_T0_DpT1_.has_dyn_sized_stack, 0
	.set _ZN2at6native12_GLOBAL__N_125multi_tensor_apply_kernelINS1_18TensorListMetadataILi4EEENS1_32PointwiseOpScalar0dTensorFunctorIN3c104HalfELi4ELi2ELi3EEEJSt10multipliesIfEfEEEvT_T0_DpT1_.has_recursion, 0
	.set _ZN2at6native12_GLOBAL__N_125multi_tensor_apply_kernelINS1_18TensorListMetadataILi4EEENS1_32PointwiseOpScalar0dTensorFunctorIN3c104HalfELi4ELi2ELi3EEEJSt10multipliesIfEfEEEvT_T0_DpT1_.has_indirect_call, 0
	.section	.AMDGPU.csdata,"",@progbits
; Kernel info:
; codeLenInByte = 1640
; TotalNumSgprs: 29
; NumVgprs: 30
; ScratchSize: 0
; MemoryBound: 0
; FloatMode: 240
; IeeeMode: 1
; LDSByteSize: 0 bytes/workgroup (compile time only)
; SGPRBlocks: 0
; VGPRBlocks: 1
; NumSGPRsForWavesPerEU: 29
; NumVGPRsForWavesPerEU: 30
; NamedBarCnt: 0
; Occupancy: 16
; WaveLimiterHint : 0
; COMPUTE_PGM_RSRC2:SCRATCH_EN: 0
; COMPUTE_PGM_RSRC2:USER_SGPR: 2
; COMPUTE_PGM_RSRC2:TRAP_HANDLER: 0
; COMPUTE_PGM_RSRC2:TGID_X_EN: 1
; COMPUTE_PGM_RSRC2:TGID_Y_EN: 0
; COMPUTE_PGM_RSRC2:TGID_Z_EN: 0
; COMPUTE_PGM_RSRC2:TIDIG_COMP_CNT: 0
	.section	.text._ZN2at6native12_GLOBAL__N_125multi_tensor_apply_kernelINS1_18TensorListMetadataILi4EEENS1_32PointwiseOpScalar0dTensorFunctorIN3c108BFloat16ELi4ELi2ELi3EEEJSt10multipliesIfEfEEEvT_T0_DpT1_,"axG",@progbits,_ZN2at6native12_GLOBAL__N_125multi_tensor_apply_kernelINS1_18TensorListMetadataILi4EEENS1_32PointwiseOpScalar0dTensorFunctorIN3c108BFloat16ELi4ELi2ELi3EEEJSt10multipliesIfEfEEEvT_T0_DpT1_,comdat
	.globl	_ZN2at6native12_GLOBAL__N_125multi_tensor_apply_kernelINS1_18TensorListMetadataILi4EEENS1_32PointwiseOpScalar0dTensorFunctorIN3c108BFloat16ELi4ELi2ELi3EEEJSt10multipliesIfEfEEEvT_T0_DpT1_ ; -- Begin function _ZN2at6native12_GLOBAL__N_125multi_tensor_apply_kernelINS1_18TensorListMetadataILi4EEENS1_32PointwiseOpScalar0dTensorFunctorIN3c108BFloat16ELi4ELi2ELi3EEEJSt10multipliesIfEfEEEvT_T0_DpT1_
	.p2align	8
	.type	_ZN2at6native12_GLOBAL__N_125multi_tensor_apply_kernelINS1_18TensorListMetadataILi4EEENS1_32PointwiseOpScalar0dTensorFunctorIN3c108BFloat16ELi4ELi2ELi3EEEJSt10multipliesIfEfEEEvT_T0_DpT1_,@function
_ZN2at6native12_GLOBAL__N_125multi_tensor_apply_kernelINS1_18TensorListMetadataILi4EEENS1_32PointwiseOpScalar0dTensorFunctorIN3c108BFloat16ELi4ELi2ELi3EEEJSt10multipliesIfEfEEEvT_T0_DpT1_: ; @_ZN2at6native12_GLOBAL__N_125multi_tensor_apply_kernelINS1_18TensorListMetadataILi4EEENS1_32PointwiseOpScalar0dTensorFunctorIN3c108BFloat16ELi4ELi2ELi3EEEJSt10multipliesIfEfEEEvT_T0_DpT1_
; %bb.0:
	s_bfe_u32 s2, ttmp6, 0x4000c
	s_and_b32 s3, ttmp6, 15
	s_add_co_i32 s2, s2, 1
	s_getreg_b32 s4, hwreg(HW_REG_IB_STS2, 6, 4)
	s_mul_i32 s2, ttmp9, s2
	s_mov_b32 s13, 0
	s_add_co_i32 s3, s3, s2
	s_cmp_eq_u32 s4, 0
	s_cselect_b32 s12, ttmp9, s3
	s_load_u8 s8, s[0:1], s12 offset:0x5a0
	s_add_nc_u64 s[2:3], s[0:1], s[12:13]
	s_mul_u64 s[4:5], s[12:13], 3
	s_delay_alu instid0(SALU_CYCLE_1)
	s_add_nc_u64 s[2:3], s[2:3], s[4:5]
	s_load_b32 s20, s[2:3], 0x6e0
	s_wait_kmcnt 0x0
	s_clause 0x4
	s_load_b64 s[6:7], s[0:1], s8 offset:0x120 scale_offset
	s_load_b64 s[14:15], s[0:1], s8 offset:0x0 scale_offset
	;; [unrolled: 1-line block ×5, first 2 shown]
	s_ashr_i32 s21, s20, 31
	s_wait_kmcnt 0x0
	s_load_u16 s11, s[6:7], 0x0
	s_lshl_b64 s[2:3], s[20:21], 17
	s_delay_alu instid0(SALU_CYCLE_1)
	s_add_nc_u64 s[8:9], s[6:7], s[2:3]
	s_add_nc_u64 s[4:5], s[14:15], s[2:3]
	s_and_b32 s12, s8, 7
	s_and_b64 s[24:25], s[4:5], 7
	s_wait_xcnt 0x0
	s_add_nc_u64 s[6:7], s[16:17], s[2:3]
	s_cmp_lg_u64 s[12:13], 0
	s_add_nc_u64 s[8:9], s[18:19], s[2:3]
	s_cselect_b32 s26, -1, 0
	s_or_b32 s10, s8, s6
	s_delay_alu instid0(SALU_CYCLE_1) | instskip(NEXT) | instid1(SALU_CYCLE_1)
	s_and_b32 s10, s10, 7
	s_cmp_lg_u32 s10, 0
	s_load_b32 s10, s[0:1], 0xbec
	s_cselect_b32 s27, -1, 0
	s_and_b32 s12, s22, 3
	s_lshl_b64 s[20:21], s[20:21], 16
	s_or_b64 s[24:25], s[24:25], s[12:13]
	s_or_b32 s26, s27, s26
	s_wait_kmcnt 0x0
	s_lshl_b32 s12, s11, 16
	s_cmp_lg_u64 s[24:25], 0
	s_sub_nc_u64 s[20:21], s[22:23], s[20:21]
	s_cselect_b32 s11, -1, 0
	s_delay_alu instid0(SALU_CYCLE_1) | instskip(NEXT) | instid1(SALU_CYCLE_1)
	s_or_b32 s11, s26, s11
	s_and_not1_b32 vcc_lo, exec_lo, s11
	s_mov_b32 s11, -1
	s_cbranch_vccz .LBB21_5
; %bb.1:
	v_min_i64 v[2:3], 0x10000, s[20:21]
	v_dual_mov_b32 v9, 0 :: v_dual_lshlrev_b32 v8, 2, v0
	s_mov_b32 s26, exec_lo
	s_delay_alu instid0(VALU_DEP_1)
	v_cmpx_lt_i64_e64 v[8:9], v[2:3]
	s_cbranch_execz .LBB21_4
; %bb.2:
	s_load_b32 s22, s[0:1], 0xbfc
	v_dual_mov_b32 v1, v9 :: v_dual_lshlrev_b32 v8, 3, v0
	s_mov_b32 s13, s12
	s_mov_b32 s11, s10
	s_cmp_eq_f32 s10, 1.0
	v_mov_b64_e32 v[4:5], s[12:13]
	v_mov_b64_e32 v[6:7], s[10:11]
	v_add_nc_u64_e32 v[8:9], s[2:3], v[8:9]
	v_mov_b64_e32 v[10:11], v[0:1]
	s_mov_b32 s23, 0
	s_cselect_b32 vcc_lo, -1, 0
	s_mov_b32 s25, s23
	s_mov_b32 s11, s23
	s_wait_kmcnt 0x0
	s_and_b32 s22, s22, 0xffff
	s_delay_alu instid0(SALU_CYCLE_1)
	s_lshl_b32 s24, s22, 3
.LBB21_3:                               ; =>This Inner Loop Header: Depth=1
	v_add_nc_u64_e32 v[12:13], s[16:17], v[8:9]
	v_add_nc_u64_e32 v[14:15], s[14:15], v[8:9]
	;; [unrolled: 1-line block ×3, first 2 shown]
	global_load_b64 v[16:17], v[12:13], off
	global_load_b64 v[18:19], v[14:15], off
	s_wait_xcnt 0x1
	v_lshlrev_b64_e32 v[12:13], 2, v[10:11]
	s_wait_loadcnt 0x1
	v_and_b32_e32 v20, 0xffff0000, v16
	s_wait_loadcnt 0x0
	s_wait_xcnt 0x0
	v_dual_lshlrev_b32 v15, 16, v18 :: v_dual_lshlrev_b32 v21, 16, v16
	v_and_b32_e32 v14, 0xffff0000, v18
	v_alignbit_b32 v24, v17, v16, 16
	v_alignbit_b32 v1, v19, v18, 16
	v_and_b32_e32 v16, 0xffff0000, v19
	v_pk_mul_f32 v[22:23], v[4:5], v[20:21]
	v_and_b32_e32 v18, 0xffff0000, v17
	v_and_b32_e32 v19, 0xffff0000, v24
	v_pk_fma_f32 v[20:21], v[4:5], v[20:21], v[14:15]
	v_and_b32_e32 v17, 0xffff0000, v1
	v_pk_fma_f32 v[14:15], v[6:7], v[22:23], v[14:15]
	s_delay_alu instid0(VALU_DEP_4) | instskip(NEXT) | instid1(VALU_DEP_3)
	v_pk_mul_f32 v[22:23], v[4:5], v[18:19]
	v_pk_fma_f32 v[18:19], v[4:5], v[18:19], v[16:17]
	s_delay_alu instid0(VALU_DEP_3) | instskip(NEXT) | instid1(VALU_DEP_3)
	v_dual_cndmask_b32 v1, v15, v21 :: v_dual_cndmask_b32 v20, v14, v20
	v_pk_fma_f32 v[14:15], v[6:7], v[22:23], v[16:17]
	s_delay_alu instid0(VALU_DEP_2) | instskip(NEXT) | instid1(VALU_DEP_3)
	v_bfe_u32 v16, v1, 16, 1
	v_bfe_u32 v17, v20, 16, 1
	s_delay_alu instid0(VALU_DEP_3) | instskip(SKIP_1) | instid1(VALU_DEP_4)
	v_dual_cndmask_b32 v15, v15, v19 :: v_dual_cndmask_b32 v14, v14, v18
	v_cmp_o_f32_e64 s2, v20, v20
	v_add3_u32 v16, v1, v16, 0x7fff
	s_delay_alu instid0(VALU_DEP_4) | instskip(NEXT) | instid1(VALU_DEP_4)
	v_add3_u32 v17, v20, v17, 0x7fff
	v_bfe_u32 v18, v15, 16, 1
	v_bfe_u32 v19, v14, 16, 1
	v_cmp_o_f32_e64 s3, v1, v1
	s_delay_alu instid0(VALU_DEP_4) | instskip(NEXT) | instid1(VALU_DEP_4)
	v_and_b32_e32 v17, 0xffff0000, v17
	v_add3_u32 v18, v15, v18, 0x7fff
	s_delay_alu instid0(VALU_DEP_4) | instskip(NEXT) | instid1(VALU_DEP_3)
	v_add3_u32 v19, v14, v19, 0x7fff
	v_cndmask_b32_e64 v17, 0x7fc00000, v17, s2
	v_lshrrev_b32_e32 v16, 16, v16
	v_cmp_o_f32_e64 s2, v14, v14
	s_delay_alu instid0(VALU_DEP_2) | instskip(SKIP_3) | instid1(VALU_DEP_4)
	v_cndmask_b32_e64 v1, 0x7fc0, v16, s3
	v_lshrrev_b32_e32 v16, 16, v18
	v_and_b32_e32 v18, 0xffff0000, v19
	v_cmp_o_f32_e64 s3, v15, v15
	v_or_b32_e32 v1, v1, v17
	s_delay_alu instid0(VALU_DEP_3) | instskip(NEXT) | instid1(VALU_DEP_3)
	v_cndmask_b32_e64 v15, 0x7fc00000, v18, s2
	v_cndmask_b32_e64 v14, 0x7fc0, v16, s3
	v_cmp_ge_i64_e64 s2, v[12:13], v[2:3]
	v_add_nc_u64_e32 v[12:13], s[18:19], v[8:9]
	v_add_nc_u64_e32 v[8:9], s[24:25], v[8:9]
	s_delay_alu instid0(VALU_DEP_4)
	v_or3_b32 v15, 0, v14, v15
	v_or3_b32 v14, v1, 0, 0
	s_or_b32 s11, s2, s11
	global_store_b64 v[12:13], v[14:15], off
	s_wait_xcnt 0x0
	s_and_not1_b32 exec_lo, exec_lo, s11
	s_cbranch_execnz .LBB21_3
.LBB21_4:
	s_or_b32 exec_lo, exec_lo, s26
	s_mov_b32 s11, 0
.LBB21_5:
	s_delay_alu instid0(SALU_CYCLE_1)
	s_and_not1_b32 vcc_lo, exec_lo, s11
	s_cbranch_vccnz .LBB21_25
; %bb.6:
	v_cmp_lt_i64_e64 s2, s[20:21], 1
	s_and_b32 vcc_lo, exec_lo, s2
	s_cbranch_vccnz .LBB21_25
; %bb.7:
	v_min_i64 v[2:3], 0x10000, s[20:21]
	v_min_u64 v[4:5], 0x10000, s[20:21]
	s_load_b32 s0, s[0:1], 0xbfc
	v_mov_b32_e32 v1, 0
	s_mov_b32 s3, 0
	s_mov_b64 s[20:21], 0
	s_mov_b32 s15, s3
	s_mov_b32 s17, s3
	;; [unrolled: 1-line block ×3, first 2 shown]
	s_wait_kmcnt 0x0
	s_and_b32 s2, s0, 0xffff
	s_cmp_eq_f32 s10, 1.0
	s_mul_i32 s16, s2, 3
	s_cselect_b32 s0, -1, 0
	s_lshl_b32 s14, s2, 1
	s_lshl_b32 s18, s2, 2
	s_branch .LBB21_9
.LBB21_8:                               ;   in Loop: Header=BB21_9 Depth=1
	s_wait_xcnt 0x0
	s_or_b32 exec_lo, exec_lo, s1
	s_add_nc_u64 s[20:21], s[20:21], s[18:19]
	s_delay_alu instid0(SALU_CYCLE_1)
	v_cmp_ge_i64_e32 vcc_lo, s[20:21], v[2:3]
	s_cbranch_vccnz .LBB21_25
.LBB21_9:                               ; =>This Inner Loop Header: Depth=1
	v_add_nc_u64_e32 v[10:11], s[20:21], v[0:1]
	v_mov_b64_e32 v[8:9], 0
	v_mov_b64_e32 v[6:7], 0
	s_mov_b32 s1, exec_lo
	s_delay_alu instid0(VALU_DEP_3)
	v_cmpx_lt_i64_e64 v[10:11], v[2:3]
	s_cbranch_execz .LBB21_11
; %bb.10:                               ;   in Loop: Header=BB21_9 Depth=1
	v_lshlrev_b64_e32 v[6:7], 1, v[10:11]
	s_delay_alu instid0(VALU_DEP_1)
	v_add_nc_u64_e32 v[8:9], s[4:5], v[6:7]
	v_add_nc_u64_e32 v[6:7], s[6:7], v[6:7]
	global_load_u16 v12, v[8:9], off
	global_load_u16 v13, v[6:7], off
	s_wait_xcnt 0x0
	v_dual_mov_b32 v7, s3 :: v_dual_mov_b32 v9, s3
	s_wait_loadcnt 0x1
	v_and_b32_e32 v6, 0xffff, v12
	s_wait_loadcnt 0x0
	v_and_b32_e32 v8, 0xffff, v13
.LBB21_11:                              ;   in Loop: Header=BB21_9 Depth=1
	s_or_b32 exec_lo, exec_lo, s1
	v_add_nc_u64_e32 v[12:13], s[2:3], v[10:11]
	s_mov_b32 s1, exec_lo
	s_delay_alu instid0(VALU_DEP_1)
	v_cmpx_lt_i64_e64 v[12:13], v[2:3]
	s_cbranch_execz .LBB21_13
; %bb.12:                               ;   in Loop: Header=BB21_9 Depth=1
	v_lshlrev_b64_e32 v[14:15], 1, v[12:13]
	s_delay_alu instid0(VALU_DEP_1)
	v_add_nc_u64_e32 v[16:17], s[4:5], v[14:15]
	v_add_nc_u64_e32 v[14:15], s[6:7], v[14:15]
	global_load_u16 v18, v[16:17], off
	global_load_u16 v19, v[14:15], off
	s_wait_loadcnt 0x1
	v_lshl_or_b32 v6, v18, 16, v6
	s_wait_loadcnt 0x0
	v_lshl_or_b32 v8, v19, 16, v8
.LBB21_13:                              ;   in Loop: Header=BB21_9 Depth=1
	s_wait_xcnt 0x0
	s_or_b32 exec_lo, exec_lo, s1
	v_add_nc_u64_e32 v[14:15], s[14:15], v[10:11]
	s_mov_b32 s1, exec_lo
	s_delay_alu instid0(VALU_DEP_1)
	v_cmpx_lt_i64_e64 v[14:15], v[2:3]
	s_cbranch_execz .LBB21_15
; %bb.14:                               ;   in Loop: Header=BB21_9 Depth=1
	v_lshlrev_b64_e32 v[16:17], 1, v[14:15]
	s_delay_alu instid0(VALU_DEP_1)
	v_add_nc_u64_e32 v[18:19], s[4:5], v[16:17]
	v_add_nc_u64_e32 v[16:17], s[6:7], v[16:17]
	global_load_u16 v20, v[18:19], off
	global_load_u16 v21, v[16:17], off
	s_wait_loadcnt 0x1
	v_or_b32_e32 v7, v20, v7
	s_wait_loadcnt 0x0
	v_or_b32_e32 v9, v21, v9
.LBB21_15:                              ;   in Loop: Header=BB21_9 Depth=1
	s_wait_xcnt 0x0
	s_or_b32 exec_lo, exec_lo, s1
	v_add_nc_u64_e32 v[16:17], s[16:17], v[10:11]
	s_mov_b32 s1, exec_lo
	s_delay_alu instid0(VALU_DEP_1)
	v_cmpx_lt_i64_e64 v[16:17], v[2:3]
	s_cbranch_execnz .LBB21_20
; %bb.16:                               ;   in Loop: Header=BB21_9 Depth=1
	s_or_b32 exec_lo, exec_lo, s1
	s_delay_alu instid0(SALU_CYCLE_1)
	s_mov_b32 s1, exec_lo
	v_cmpx_lt_u64_e64 v[10:11], v[4:5]
	s_cbranch_execnz .LBB21_21
.LBB21_17:                              ;   in Loop: Header=BB21_9 Depth=1
	s_or_b32 exec_lo, exec_lo, s1
	s_delay_alu instid0(SALU_CYCLE_1)
	s_mov_b32 s1, exec_lo
	v_cmpx_lt_u64_e64 v[12:13], v[4:5]
	s_cbranch_execnz .LBB21_22
.LBB21_18:                              ;   in Loop: Header=BB21_9 Depth=1
	s_or_b32 exec_lo, exec_lo, s1
	s_delay_alu instid0(SALU_CYCLE_1)
	s_mov_b32 s1, exec_lo
	v_cmpx_lt_u64_e64 v[14:15], v[4:5]
	s_cbranch_execnz .LBB21_23
.LBB21_19:                              ;   in Loop: Header=BB21_9 Depth=1
	s_or_b32 exec_lo, exec_lo, s1
	s_delay_alu instid0(SALU_CYCLE_1)
	s_mov_b32 s1, exec_lo
	v_cmpx_lt_u64_e64 v[16:17], v[4:5]
	s_cbranch_execz .LBB21_8
	s_branch .LBB21_24
.LBB21_20:                              ;   in Loop: Header=BB21_9 Depth=1
	v_lshlrev_b64_e32 v[18:19], 1, v[16:17]
	s_delay_alu instid0(VALU_DEP_1)
	v_add_nc_u64_e32 v[20:21], s[4:5], v[18:19]
	v_add_nc_u64_e32 v[18:19], s[6:7], v[18:19]
	global_load_u16 v22, v[20:21], off
	global_load_u16 v23, v[18:19], off
	s_wait_loadcnt 0x0
	v_dual_lshlrev_b32 v18, 16, v22 :: v_dual_lshlrev_b32 v19, 16, v23
	s_delay_alu instid0(VALU_DEP_1) | instskip(NEXT) | instid1(VALU_DEP_2)
	v_or_b32_e32 v7, v18, v7
	v_or_b32_e32 v9, v19, v9
	s_or_b32 exec_lo, exec_lo, s1
	s_delay_alu instid0(SALU_CYCLE_1)
	s_mov_b32 s1, exec_lo
	v_cmpx_lt_u64_e64 v[10:11], v[4:5]
	s_cbranch_execz .LBB21_17
.LBB21_21:                              ;   in Loop: Header=BB21_9 Depth=1
	v_lshlrev_b32_e32 v18, 16, v8
	v_fma_mix_f32_bf16 v19, s12, v8, v6 op_sel_hi:[0,1,1]
	v_lshl_add_u64 v[10:11], v[10:11], 1, s[8:9]
	s_delay_alu instid0(VALU_DEP_3) | instskip(NEXT) | instid1(VALU_DEP_1)
	v_mul_f32_e32 v18, s12, v18
	v_fma_mix_f32_bf16 v18, s10, v18, v6 op_sel_hi:[0,0,1]
	s_delay_alu instid0(VALU_DEP_1) | instskip(NEXT) | instid1(VALU_DEP_1)
	v_cndmask_b32_e64 v18, v18, v19, s0
	v_bfe_u32 v19, v18, 16, 1
	v_cmp_o_f32_e32 vcc_lo, v18, v18
	s_delay_alu instid0(VALU_DEP_2) | instskip(NEXT) | instid1(VALU_DEP_1)
	v_add3_u32 v19, v18, v19, 0x7fff
	v_lshrrev_b32_e32 v19, 16, v19
	s_delay_alu instid0(VALU_DEP_1) | instskip(SKIP_3) | instid1(SALU_CYCLE_1)
	v_cndmask_b32_e32 v18, 0x7fc0, v19, vcc_lo
	global_store_b16 v[10:11], v18, off
	s_wait_xcnt 0x0
	s_or_b32 exec_lo, exec_lo, s1
	s_mov_b32 s1, exec_lo
	v_cmpx_lt_u64_e64 v[12:13], v[4:5]
	s_cbranch_execz .LBB21_18
.LBB21_22:                              ;   in Loop: Header=BB21_9 Depth=1
	v_and_b32_e32 v10, 0xffff0000, v8
	v_fma_mix_f32_bf16 v11, s12, v8, v6 op_sel:[0,1,1] op_sel_hi:[0,1,1]
	s_delay_alu instid0(VALU_DEP_2) | instskip(NEXT) | instid1(VALU_DEP_1)
	v_mul_f32_e32 v10, s12, v10
	v_fma_mix_f32_bf16 v10, s10, v10, v6 op_sel:[0,0,1] op_sel_hi:[0,0,1]
	s_delay_alu instid0(VALU_DEP_1) | instskip(NEXT) | instid1(VALU_DEP_1)
	v_cndmask_b32_e64 v10, v10, v11, s0
	v_bfe_u32 v11, v10, 16, 1
	v_cmp_o_f32_e32 vcc_lo, v10, v10
	s_delay_alu instid0(VALU_DEP_2) | instskip(NEXT) | instid1(VALU_DEP_1)
	v_add3_u32 v11, v10, v11, 0x7fff
	v_lshrrev_b32_e32 v11, 16, v11
	s_delay_alu instid0(VALU_DEP_1) | instskip(SKIP_4) | instid1(SALU_CYCLE_1)
	v_cndmask_b32_e32 v18, 0x7fc0, v11, vcc_lo
	v_lshl_add_u64 v[10:11], v[12:13], 1, s[8:9]
	global_store_b16 v[10:11], v18, off
	s_wait_xcnt 0x0
	s_or_b32 exec_lo, exec_lo, s1
	s_mov_b32 s1, exec_lo
	v_cmpx_lt_u64_e64 v[14:15], v[4:5]
	s_cbranch_execz .LBB21_19
.LBB21_23:                              ;   in Loop: Header=BB21_9 Depth=1
	v_alignbit_b32 v8, v9, v8, 16
	v_alignbit_b32 v6, v7, v6, 16
	s_delay_alu instid0(VALU_DEP_2) | instskip(NEXT) | instid1(VALU_DEP_2)
	v_and_b32_e32 v10, 0xffff0000, v8
	v_fma_mix_f32_bf16 v8, s12, v8, v6 op_sel:[0,1,1] op_sel_hi:[0,1,1]
	s_delay_alu instid0(VALU_DEP_2) | instskip(NEXT) | instid1(VALU_DEP_1)
	v_mul_f32_e32 v10, s12, v10
	v_fma_mix_f32_bf16 v6, s10, v10, v6 op_sel:[0,0,1] op_sel_hi:[0,0,1]
	v_lshl_add_u64 v[10:11], v[14:15], 1, s[8:9]
	s_delay_alu instid0(VALU_DEP_2) | instskip(NEXT) | instid1(VALU_DEP_1)
	v_cndmask_b32_e64 v6, v6, v8, s0
	v_bfe_u32 v8, v6, 16, 1
	v_cmp_o_f32_e32 vcc_lo, v6, v6
	s_delay_alu instid0(VALU_DEP_2) | instskip(NEXT) | instid1(VALU_DEP_1)
	v_add3_u32 v8, v6, v8, 0x7fff
	v_lshrrev_b32_e32 v8, 16, v8
	s_delay_alu instid0(VALU_DEP_1) | instskip(SKIP_3) | instid1(SALU_CYCLE_1)
	v_cndmask_b32_e32 v6, 0x7fc0, v8, vcc_lo
	global_store_b16 v[10:11], v6, off
	s_wait_xcnt 0x0
	s_or_b32 exec_lo, exec_lo, s1
	s_mov_b32 s1, exec_lo
	v_cmpx_lt_u64_e64 v[16:17], v[4:5]
	s_cbranch_execz .LBB21_8
.LBB21_24:                              ;   in Loop: Header=BB21_9 Depth=1
	v_and_b32_e32 v6, 0xffff0000, v9
	v_fma_mix_f32_bf16 v8, s12, v9, v7 op_sel:[0,1,1] op_sel_hi:[0,1,1]
	s_delay_alu instid0(VALU_DEP_2) | instskip(NEXT) | instid1(VALU_DEP_1)
	v_mul_f32_e32 v6, s12, v6
	v_fma_mix_f32_bf16 v6, s10, v6, v7 op_sel:[0,0,1] op_sel_hi:[0,0,1]
	s_delay_alu instid0(VALU_DEP_1) | instskip(NEXT) | instid1(VALU_DEP_1)
	v_cndmask_b32_e64 v6, v6, v8, s0
	v_bfe_u32 v7, v6, 16, 1
	v_cmp_o_f32_e32 vcc_lo, v6, v6
	s_delay_alu instid0(VALU_DEP_2) | instskip(NEXT) | instid1(VALU_DEP_1)
	v_add3_u32 v7, v6, v7, 0x7fff
	v_lshrrev_b32_e32 v7, 16, v7
	s_delay_alu instid0(VALU_DEP_1)
	v_cndmask_b32_e32 v8, 0x7fc0, v7, vcc_lo
	v_lshl_add_u64 v[6:7], v[16:17], 1, s[8:9]
	global_store_b16 v[6:7], v8, off
	s_branch .LBB21_8
.LBB21_25:
	s_endpgm
	.section	.rodata,"a",@progbits
	.p2align	6, 0x0
	.amdhsa_kernel _ZN2at6native12_GLOBAL__N_125multi_tensor_apply_kernelINS1_18TensorListMetadataILi4EEENS1_32PointwiseOpScalar0dTensorFunctorIN3c108BFloat16ELi4ELi2ELi3EEEJSt10multipliesIfEfEEEvT_T0_DpT1_
		.amdhsa_group_segment_fixed_size 0
		.amdhsa_private_segment_fixed_size 0
		.amdhsa_kernarg_size 3312
		.amdhsa_user_sgpr_count 2
		.amdhsa_user_sgpr_dispatch_ptr 0
		.amdhsa_user_sgpr_queue_ptr 0
		.amdhsa_user_sgpr_kernarg_segment_ptr 1
		.amdhsa_user_sgpr_dispatch_id 0
		.amdhsa_user_sgpr_kernarg_preload_length 0
		.amdhsa_user_sgpr_kernarg_preload_offset 0
		.amdhsa_user_sgpr_private_segment_size 0
		.amdhsa_wavefront_size32 1
		.amdhsa_uses_dynamic_stack 0
		.amdhsa_enable_private_segment 0
		.amdhsa_system_sgpr_workgroup_id_x 1
		.amdhsa_system_sgpr_workgroup_id_y 0
		.amdhsa_system_sgpr_workgroup_id_z 0
		.amdhsa_system_sgpr_workgroup_info 0
		.amdhsa_system_vgpr_workitem_id 0
		.amdhsa_next_free_vgpr 25
		.amdhsa_next_free_sgpr 28
		.amdhsa_named_barrier_count 0
		.amdhsa_reserve_vcc 1
		.amdhsa_float_round_mode_32 0
		.amdhsa_float_round_mode_16_64 0
		.amdhsa_float_denorm_mode_32 3
		.amdhsa_float_denorm_mode_16_64 3
		.amdhsa_fp16_overflow 0
		.amdhsa_memory_ordered 1
		.amdhsa_forward_progress 1
		.amdhsa_inst_pref_size 17
		.amdhsa_round_robin_scheduling 0
		.amdhsa_exception_fp_ieee_invalid_op 0
		.amdhsa_exception_fp_denorm_src 0
		.amdhsa_exception_fp_ieee_div_zero 0
		.amdhsa_exception_fp_ieee_overflow 0
		.amdhsa_exception_fp_ieee_underflow 0
		.amdhsa_exception_fp_ieee_inexact 0
		.amdhsa_exception_int_div_zero 0
	.end_amdhsa_kernel
	.section	.text._ZN2at6native12_GLOBAL__N_125multi_tensor_apply_kernelINS1_18TensorListMetadataILi4EEENS1_32PointwiseOpScalar0dTensorFunctorIN3c108BFloat16ELi4ELi2ELi3EEEJSt10multipliesIfEfEEEvT_T0_DpT1_,"axG",@progbits,_ZN2at6native12_GLOBAL__N_125multi_tensor_apply_kernelINS1_18TensorListMetadataILi4EEENS1_32PointwiseOpScalar0dTensorFunctorIN3c108BFloat16ELi4ELi2ELi3EEEJSt10multipliesIfEfEEEvT_T0_DpT1_,comdat
.Lfunc_end21:
	.size	_ZN2at6native12_GLOBAL__N_125multi_tensor_apply_kernelINS1_18TensorListMetadataILi4EEENS1_32PointwiseOpScalar0dTensorFunctorIN3c108BFloat16ELi4ELi2ELi3EEEJSt10multipliesIfEfEEEvT_T0_DpT1_, .Lfunc_end21-_ZN2at6native12_GLOBAL__N_125multi_tensor_apply_kernelINS1_18TensorListMetadataILi4EEENS1_32PointwiseOpScalar0dTensorFunctorIN3c108BFloat16ELi4ELi2ELi3EEEJSt10multipliesIfEfEEEvT_T0_DpT1_
                                        ; -- End function
	.set _ZN2at6native12_GLOBAL__N_125multi_tensor_apply_kernelINS1_18TensorListMetadataILi4EEENS1_32PointwiseOpScalar0dTensorFunctorIN3c108BFloat16ELi4ELi2ELi3EEEJSt10multipliesIfEfEEEvT_T0_DpT1_.num_vgpr, 25
	.set _ZN2at6native12_GLOBAL__N_125multi_tensor_apply_kernelINS1_18TensorListMetadataILi4EEENS1_32PointwiseOpScalar0dTensorFunctorIN3c108BFloat16ELi4ELi2ELi3EEEJSt10multipliesIfEfEEEvT_T0_DpT1_.num_agpr, 0
	.set _ZN2at6native12_GLOBAL__N_125multi_tensor_apply_kernelINS1_18TensorListMetadataILi4EEENS1_32PointwiseOpScalar0dTensorFunctorIN3c108BFloat16ELi4ELi2ELi3EEEJSt10multipliesIfEfEEEvT_T0_DpT1_.numbered_sgpr, 28
	.set _ZN2at6native12_GLOBAL__N_125multi_tensor_apply_kernelINS1_18TensorListMetadataILi4EEENS1_32PointwiseOpScalar0dTensorFunctorIN3c108BFloat16ELi4ELi2ELi3EEEJSt10multipliesIfEfEEEvT_T0_DpT1_.num_named_barrier, 0
	.set _ZN2at6native12_GLOBAL__N_125multi_tensor_apply_kernelINS1_18TensorListMetadataILi4EEENS1_32PointwiseOpScalar0dTensorFunctorIN3c108BFloat16ELi4ELi2ELi3EEEJSt10multipliesIfEfEEEvT_T0_DpT1_.private_seg_size, 0
	.set _ZN2at6native12_GLOBAL__N_125multi_tensor_apply_kernelINS1_18TensorListMetadataILi4EEENS1_32PointwiseOpScalar0dTensorFunctorIN3c108BFloat16ELi4ELi2ELi3EEEJSt10multipliesIfEfEEEvT_T0_DpT1_.uses_vcc, 1
	.set _ZN2at6native12_GLOBAL__N_125multi_tensor_apply_kernelINS1_18TensorListMetadataILi4EEENS1_32PointwiseOpScalar0dTensorFunctorIN3c108BFloat16ELi4ELi2ELi3EEEJSt10multipliesIfEfEEEvT_T0_DpT1_.uses_flat_scratch, 0
	.set _ZN2at6native12_GLOBAL__N_125multi_tensor_apply_kernelINS1_18TensorListMetadataILi4EEENS1_32PointwiseOpScalar0dTensorFunctorIN3c108BFloat16ELi4ELi2ELi3EEEJSt10multipliesIfEfEEEvT_T0_DpT1_.has_dyn_sized_stack, 0
	.set _ZN2at6native12_GLOBAL__N_125multi_tensor_apply_kernelINS1_18TensorListMetadataILi4EEENS1_32PointwiseOpScalar0dTensorFunctorIN3c108BFloat16ELi4ELi2ELi3EEEJSt10multipliesIfEfEEEvT_T0_DpT1_.has_recursion, 0
	.set _ZN2at6native12_GLOBAL__N_125multi_tensor_apply_kernelINS1_18TensorListMetadataILi4EEENS1_32PointwiseOpScalar0dTensorFunctorIN3c108BFloat16ELi4ELi2ELi3EEEJSt10multipliesIfEfEEEvT_T0_DpT1_.has_indirect_call, 0
	.section	.AMDGPU.csdata,"",@progbits
; Kernel info:
; codeLenInByte = 2064
; TotalNumSgprs: 30
; NumVgprs: 25
; ScratchSize: 0
; MemoryBound: 0
; FloatMode: 240
; IeeeMode: 1
; LDSByteSize: 0 bytes/workgroup (compile time only)
; SGPRBlocks: 0
; VGPRBlocks: 1
; NumSGPRsForWavesPerEU: 30
; NumVGPRsForWavesPerEU: 25
; NamedBarCnt: 0
; Occupancy: 16
; WaveLimiterHint : 0
; COMPUTE_PGM_RSRC2:SCRATCH_EN: 0
; COMPUTE_PGM_RSRC2:USER_SGPR: 2
; COMPUTE_PGM_RSRC2:TRAP_HANDLER: 0
; COMPUTE_PGM_RSRC2:TGID_X_EN: 1
; COMPUTE_PGM_RSRC2:TGID_Y_EN: 0
; COMPUTE_PGM_RSRC2:TGID_Z_EN: 0
; COMPUTE_PGM_RSRC2:TIDIG_COMP_CNT: 0
	.section	.text._ZN2at6native12_GLOBAL__N_125multi_tensor_apply_kernelINS1_18TensorListMetadataILi3EEENS1_24PointwiseOpScalarFunctorIhLi3ELi3ELi0EEEJSt10multipliesIhEhEEEvT_T0_DpT1_,"axG",@progbits,_ZN2at6native12_GLOBAL__N_125multi_tensor_apply_kernelINS1_18TensorListMetadataILi3EEENS1_24PointwiseOpScalarFunctorIhLi3ELi3ELi0EEEJSt10multipliesIhEhEEEvT_T0_DpT1_,comdat
	.globl	_ZN2at6native12_GLOBAL__N_125multi_tensor_apply_kernelINS1_18TensorListMetadataILi3EEENS1_24PointwiseOpScalarFunctorIhLi3ELi3ELi0EEEJSt10multipliesIhEhEEEvT_T0_DpT1_ ; -- Begin function _ZN2at6native12_GLOBAL__N_125multi_tensor_apply_kernelINS1_18TensorListMetadataILi3EEENS1_24PointwiseOpScalarFunctorIhLi3ELi3ELi0EEEJSt10multipliesIhEhEEEvT_T0_DpT1_
	.p2align	8
	.type	_ZN2at6native12_GLOBAL__N_125multi_tensor_apply_kernelINS1_18TensorListMetadataILi3EEENS1_24PointwiseOpScalarFunctorIhLi3ELi3ELi0EEEJSt10multipliesIhEhEEEvT_T0_DpT1_,@function
_ZN2at6native12_GLOBAL__N_125multi_tensor_apply_kernelINS1_18TensorListMetadataILi3EEENS1_24PointwiseOpScalarFunctorIhLi3ELi3ELi0EEEJSt10multipliesIhEhEEEvT_T0_DpT1_: ; @_ZN2at6native12_GLOBAL__N_125multi_tensor_apply_kernelINS1_18TensorListMetadataILi3EEENS1_24PointwiseOpScalarFunctorIhLi3ELi3ELi0EEEJSt10multipliesIhEhEEEvT_T0_DpT1_
; %bb.0:
	s_bfe_u32 s2, ttmp6, 0x4000c
	s_and_b32 s3, ttmp6, 15
	s_add_co_i32 s2, s2, 1
	s_getreg_b32 s4, hwreg(HW_REG_IB_STS2, 6, 4)
	s_mul_i32 s2, ttmp9, s2
	s_delay_alu instid0(SALU_CYCLE_1) | instskip(SKIP_3) | instid1(SALU_CYCLE_1)
	s_add_co_i32 s2, s3, s2
	s_cmp_eq_u32 s4, 0
	s_mov_b32 s3, 0
	s_cselect_b32 s2, ttmp9, s2
	s_add_nc_u64 s[4:5], s[0:1], s[2:3]
	s_mul_u64 s[6:7], s[2:3], 3
	s_delay_alu instid0(SALU_CYCLE_1)
	s_add_nc_u64 s[4:5], s[4:5], s[6:7]
	s_clause 0x1
	s_load_b32 s12, s[4:5], 0x740
	s_load_u8 s13, s[0:1], s2 offset:0x600
	s_wait_kmcnt 0x0
	s_clause 0x3
	s_load_b64 s[6:7], s[0:1], s13 offset:0x180 scale_offset
	s_load_b64 s[8:9], s[0:1], s13 offset:0x300 scale_offset
	;; [unrolled: 1-line block ×4, first 2 shown]
	s_wait_xcnt 0x0
	s_ashr_i32 s13, s12, 31
	s_delay_alu instid0(SALU_CYCLE_1)
	s_lshl_b64 s[12:13], s[12:13], 16
	s_wait_kmcnt 0x0
	s_add_nc_u64 s[4:5], s[6:7], s[12:13]
	s_load_b32 s5, s[0:1], 0xc48
	s_or_b32 s2, s8, s4
	s_add_nc_u64 s[16:17], s[10:11], s[12:13]
	s_and_b32 s2, s2, 3
	s_delay_alu instid0(SALU_CYCLE_1) | instskip(SKIP_4) | instid1(SALU_CYCLE_1)
	s_cmp_eq_u32 s2, 0
	s_cselect_b32 s4, -1, 0
	s_or_b64 s[16:17], s[14:15], s[16:17]
	s_sub_nc_u64 s[14:15], s[14:15], s[12:13]
	s_and_b32 s2, s16, 3
	s_cmp_eq_u64 s[2:3], 0
	s_cselect_b32 s2, -1, 0
	s_delay_alu instid0(SALU_CYCLE_1) | instskip(NEXT) | instid1(SALU_CYCLE_1)
	s_and_b32 s2, s4, s2
	s_and_b32 vcc_lo, exec_lo, s2
	s_mov_b32 s2, -1
	s_cbranch_vccnz .LBB22_29
; %bb.1:
	v_cmp_lt_i64_e64 s2, s[14:15], 1
	s_and_b32 vcc_lo, exec_lo, s2
	s_cbranch_vccnz .LBB22_28
; %bb.2:
	s_load_b32 s2, s[0:1], 0xc5c
	v_min_i64 v[2:3], 0x10000, s[14:15]
	v_min_u64 v[4:5], 0x10000, s[14:15]
	v_mov_b32_e32 v1, 0
	s_mov_b32 s17, 0
	s_delay_alu instid0(SALU_CYCLE_1) | instskip(SKIP_1) | instid1(VALU_DEP_1)
	s_mov_b32 s3, s17
	s_mov_b32 s19, s17
	v_add_nc_u64_e32 v[12:13], s[12:13], v[0:1]
	s_delay_alu instid0(VALU_DEP_1) | instskip(SKIP_4) | instid1(SALU_CYCLE_1)
	v_add_nc_u64_e32 v[6:7], s[10:11], v[12:13]
	v_add_nc_u64_e32 v[8:9], s[6:7], v[12:13]
	;; [unrolled: 1-line block ×3, first 2 shown]
	s_wait_kmcnt 0x0
	s_and_b32 s16, s2, 0xffff
	s_lshl_b32 s2, s16, 1
	s_mul_i32 s18, s16, 3
	v_add_nc_u64_e32 v[20:21], s[16:17], v[12:13]
	s_add_nc_u64 s[20:21], s[12:13], s[18:19]
	v_add_nc_u64_e32 v[12:13], s[18:19], v[0:1]
	s_add_nc_u64 s[18:19], s[12:13], s[2:3]
	v_add_nc_u64_e32 v[26:27], s[20:21], v[0:1]
	v_add_nc_u64_e32 v[32:33], s[18:19], v[0:1]
	;; [unrolled: 1-line block ×13, first 2 shown]
	s_lshl_b32 s16, s16, 2
	s_mov_b64 s[18:19], 0
	s_lshr_b32 s20, s5, 16
	s_branch .LBB22_4
.LBB22_3:                               ;   in Loop: Header=BB22_4 Depth=1
	s_wait_xcnt 0x0
	s_or_b32 exec_lo, exec_lo, s2
	s_add_nc_u64 s[18:19], s[18:19], s[16:17]
	s_delay_alu instid0(SALU_CYCLE_1)
	v_cmp_lt_i64_e32 vcc_lo, s[18:19], v[2:3]
	s_cbranch_vccz .LBB22_28
.LBB22_4:                               ; =>This Inner Loop Header: Depth=1
	s_wait_loadcnt 0x0
	v_add_nc_u64_e32 v[36:37], s[18:19], v[0:1]
	s_delay_alu instid0(VALU_DEP_1)
	v_cmp_lt_u64_e32 vcc_lo, v[36:37], v[4:5]
	v_dual_mov_b32 v37, 0 :: v_dual_mov_b32 v36, 0
	s_and_saveexec_b32 s2, vcc_lo
	s_cbranch_execz .LBB22_6
; %bb.5:                                ;   in Loop: Header=BB22_4 Depth=1
	v_add_nc_u64_e32 v[38:39], s[18:19], v[6:7]
	v_add_nc_u64_e32 v[40:41], s[18:19], v[8:9]
	global_load_u8 v36, v[38:39], off
	global_load_u8 v37, v[40:41], off
.LBB22_6:                               ;   in Loop: Header=BB22_4 Depth=1
	s_wait_xcnt 0x0
	s_or_b32 exec_lo, exec_lo, s2
	v_dual_mov_b32 v38, 0 :: v_dual_mov_b32 v39, 0
	s_and_saveexec_b32 s2, vcc_lo
	s_cbranch_execz .LBB22_8
; %bb.7:                                ;   in Loop: Header=BB22_4 Depth=1
	v_add_nc_u64_e32 v[40:41], s[18:19], v[10:11]
	global_load_u8 v39, v[40:41], off
.LBB22_8:                               ;   in Loop: Header=BB22_4 Depth=1
	s_wait_xcnt 0x0
	s_or_b32 exec_lo, exec_lo, s2
	v_add_nc_u64_e32 v[40:41], s[18:19], v[34:35]
	s_delay_alu instid0(VALU_DEP_1)
	v_cmp_lt_u64_e64 s2, v[40:41], v[4:5]
	v_mov_b32_e32 v40, 0
	s_and_saveexec_b32 s3, s2
	s_cbranch_execz .LBB22_10
; %bb.9:                                ;   in Loop: Header=BB22_4 Depth=1
	v_add_nc_u64_e32 v[42:43], s[18:19], v[16:17]
	v_add_nc_u64_e32 v[44:45], s[18:19], v[18:19]
	global_load_u8 v40, v[42:43], off
	global_load_u8 v38, v[44:45], off
.LBB22_10:                              ;   in Loop: Header=BB22_4 Depth=1
	s_wait_xcnt 0x0
	s_or_b32 exec_lo, exec_lo, s3
	v_dual_mov_b32 v41, 0 :: v_dual_mov_b32 v42, 0
	s_and_saveexec_b32 s3, s2
	s_cbranch_execz .LBB22_12
; %bb.11:                               ;   in Loop: Header=BB22_4 Depth=1
	v_add_nc_u64_e32 v[42:43], s[18:19], v[20:21]
	global_load_u8 v42, v[42:43], off
.LBB22_12:                              ;   in Loop: Header=BB22_4 Depth=1
	s_wait_xcnt 0x0
	s_or_b32 exec_lo, exec_lo, s3
	v_add_nc_u64_e32 v[44:45], s[18:19], v[14:15]
	v_mov_b32_e32 v43, 0
	s_delay_alu instid0(VALU_DEP_2)
	v_cmp_lt_u64_e64 s3, v[44:45], v[4:5]
	s_and_saveexec_b32 s4, s3
	s_cbranch_execz .LBB22_14
; %bb.13:                               ;   in Loop: Header=BB22_4 Depth=1
	v_add_nc_u64_e32 v[44:45], s[18:19], v[28:29]
	v_add_nc_u64_e32 v[46:47], s[18:19], v[30:31]
	global_load_u8 v43, v[44:45], off
	global_load_u8 v41, v[46:47], off
.LBB22_14:                              ;   in Loop: Header=BB22_4 Depth=1
	s_wait_xcnt 0x0
	s_or_b32 exec_lo, exec_lo, s4
	v_dual_mov_b32 v44, 0 :: v_dual_mov_b32 v45, 0
	s_and_saveexec_b32 s4, s3
	s_cbranch_execz .LBB22_16
; %bb.15:                               ;   in Loop: Header=BB22_4 Depth=1
	v_add_nc_u64_e32 v[46:47], s[18:19], v[32:33]
	global_load_u8 v45, v[46:47], off
.LBB22_16:                              ;   in Loop: Header=BB22_4 Depth=1
	s_wait_xcnt 0x0
	s_or_b32 exec_lo, exec_lo, s4
	v_add_nc_u64_e32 v[46:47], s[18:19], v[12:13]
	s_delay_alu instid0(VALU_DEP_1)
	v_cmp_lt_u64_e64 s4, v[46:47], v[4:5]
	v_mov_b32_e32 v46, 0
	s_and_saveexec_b32 s21, s4
	s_cbranch_execnz .LBB22_22
; %bb.17:                               ;   in Loop: Header=BB22_4 Depth=1
	s_or_b32 exec_lo, exec_lo, s21
	v_mov_b32_e32 v47, 0
	s_and_saveexec_b32 s21, s4
	s_cbranch_execnz .LBB22_23
.LBB22_18:                              ;   in Loop: Header=BB22_4 Depth=1
	s_or_b32 exec_lo, exec_lo, s21
	s_and_saveexec_b32 s21, vcc_lo
	s_cbranch_execnz .LBB22_24
.LBB22_19:                              ;   in Loop: Header=BB22_4 Depth=1
	s_or_b32 exec_lo, exec_lo, s21
	s_and_saveexec_b32 s21, s2
	s_cbranch_execnz .LBB22_25
.LBB22_20:                              ;   in Loop: Header=BB22_4 Depth=1
	s_or_b32 exec_lo, exec_lo, s21
	s_and_saveexec_b32 s2, s3
	s_cbranch_execnz .LBB22_26
.LBB22_21:                              ;   in Loop: Header=BB22_4 Depth=1
	s_or_b32 exec_lo, exec_lo, s2
	s_and_saveexec_b32 s2, s4
	s_cbranch_execz .LBB22_3
	s_branch .LBB22_27
.LBB22_22:                              ;   in Loop: Header=BB22_4 Depth=1
	v_add_nc_u64_e32 v[48:49], s[18:19], v[22:23]
	v_add_nc_u64_e32 v[50:51], s[18:19], v[24:25]
	global_load_u8 v46, v[48:49], off
	global_load_u8 v44, v[50:51], off
	s_wait_xcnt 0x0
	s_or_b32 exec_lo, exec_lo, s21
	v_mov_b32_e32 v47, 0
	s_and_saveexec_b32 s21, s4
	s_cbranch_execz .LBB22_18
.LBB22_23:                              ;   in Loop: Header=BB22_4 Depth=1
	v_add_nc_u64_e32 v[48:49], s[18:19], v[26:27]
	global_load_u8 v47, v[48:49], off
	s_wait_xcnt 0x0
	s_or_b32 exec_lo, exec_lo, s21
	s_and_saveexec_b32 s21, vcc_lo
	s_cbranch_execz .LBB22_19
.LBB22_24:                              ;   in Loop: Header=BB22_4 Depth=1
	s_wait_loadcnt 0x0
	v_mul_lo_u16 v37, v37, s20
	v_add_nc_u64_e32 v[48:49], s[18:19], v[6:7]
	s_delay_alu instid0(VALU_DEP_2)
	v_mad_u16 v36, v37, v39, v36
	global_store_b8 v[48:49], v36, off
	s_wait_xcnt 0x0
	s_or_b32 exec_lo, exec_lo, s21
	s_and_saveexec_b32 s21, s2
	s_cbranch_execz .LBB22_20
.LBB22_25:                              ;   in Loop: Header=BB22_4 Depth=1
	s_wait_loadcnt 0x0
	v_mul_lo_u16 v38, v38, s20
	v_add_nc_u64_e32 v[36:37], s[18:19], v[16:17]
	s_delay_alu instid0(VALU_DEP_2)
	v_mad_u16 v38, v38, v42, v40
	global_store_b8 v[36:37], v38, off
	s_wait_xcnt 0x0
	s_or_b32 exec_lo, exec_lo, s21
	s_and_saveexec_b32 s2, s3
	s_cbranch_execz .LBB22_21
.LBB22_26:                              ;   in Loop: Header=BB22_4 Depth=1
	s_wait_loadcnt 0x0
	v_mul_lo_u16 v38, v41, s20
	v_add_nc_u64_e32 v[36:37], s[18:19], v[28:29]
	s_delay_alu instid0(VALU_DEP_2)
	v_mad_u16 v38, v38, v45, v43
	global_store_b8 v[36:37], v38, off
	s_wait_xcnt 0x0
	s_or_b32 exec_lo, exec_lo, s2
	s_and_saveexec_b32 s2, s4
	s_cbranch_execz .LBB22_3
.LBB22_27:                              ;   in Loop: Header=BB22_4 Depth=1
	s_wait_loadcnt 0x0
	v_mul_lo_u16 v38, v44, s20
	v_add_nc_u64_e32 v[36:37], s[18:19], v[22:23]
	s_delay_alu instid0(VALU_DEP_2)
	v_mad_u16 v38, v38, v47, v46
	global_store_b8 v[36:37], v38, off
	s_branch .LBB22_3
.LBB22_28:
	s_mov_b32 s2, 0
.LBB22_29:
	s_delay_alu instid0(SALU_CYCLE_1)
	s_and_not1_b32 vcc_lo, exec_lo, s2
	s_cbranch_vccnz .LBB22_33
; %bb.30:
	v_min_i64 v[2:3], 0x10000, s[14:15]
	v_dual_mov_b32 v5, 0 :: v_dual_lshlrev_b32 v4, 2, v0
	s_mov_b32 s2, exec_lo
	s_delay_alu instid0(VALU_DEP_1)
	v_cmpx_lt_i64_e64 v[4:5], v[2:3]
	s_cbranch_execz .LBB22_33
; %bb.31:
	s_wait_xcnt 0x0
	s_load_b32 s0, s[0:1], 0xc5c
	v_mov_b32_e32 v1, v5
	v_add_nc_u64_e32 v[4:5], s[12:13], v[4:5]
	s_wait_xcnt 0x0
	s_mov_b32 s1, 0
	s_wait_kmcnt 0x0
	s_lshr_b32 s4, s5, 16
	s_mov_b32 s3, s1
	s_mov_b32 s5, s1
	s_and_b32 s0, s0, 0xffff
	s_delay_alu instid0(SALU_CYCLE_1)
	s_lshl_b32 s2, s0, 2
.LBB22_32:                              ; =>This Inner Loop Header: Depth=1
	v_add_nc_u64_e32 v[6:7], s[6:7], v[4:5]
	v_add_nc_u64_e32 v[8:9], s[10:11], v[4:5]
	;; [unrolled: 1-line block ×5, first 2 shown]
	global_load_b32 v12, v[6:7], off
	global_load_b32 v13, v[8:9], off
	;; [unrolled: 1-line block ×3, first 2 shown]
	s_wait_loadcnt 0x2
	s_wait_xcnt 0x0
	v_mul_lo_u16 v10, s4, v12
	s_wait_loadcnt 0x1
	v_dual_lshrrev_b32 v6, 8, v13 :: v_dual_lshrrev_b32 v7, 8, v12
	s_wait_loadcnt 0x0
	v_dual_lshrrev_b32 v11, 8, v14 :: v_dual_lshrrev_b32 v15, 16, v12
	v_dual_lshrrev_b32 v16, 16, v13 :: v_dual_lshrrev_b32 v17, 16, v14
	;; [unrolled: 1-line block ×3, first 2 shown]
	v_mul_lo_u16 v7, s4, v7
	s_delay_alu instid0(VALU_DEP_4) | instskip(SKIP_1) | instid1(VALU_DEP_4)
	v_mul_lo_u16 v15, s4, v15
	v_lshrrev_b32_e32 v19, 24, v14
	v_mul_lo_u16 v12, s4, v12
	v_mad_u16 v10, v10, v14, v13
	v_mad_u16 v11, v7, v11, v6
	;; [unrolled: 1-line block ×3, first 2 shown]
	v_lshlrev_b64_e32 v[6:7], 2, v[0:1]
	v_mad_u16 v12, v12, v19, v18
	s_delay_alu instid0(VALU_DEP_4) | instskip(NEXT) | instid1(VALU_DEP_4)
	v_and_b32_e32 v11, 0xff, v11
	v_and_b32_e32 v13, 0xff, v15
	s_delay_alu instid0(VALU_DEP_3) | instskip(SKIP_1) | instid1(VALU_DEP_4)
	v_lshlrev_b32_e32 v12, 24, v12
	v_cmp_ge_i64_e32 vcc_lo, v[6:7], v[2:3]
	v_perm_b32 v10, v11, v10, 0x6050400
	s_delay_alu instid0(VALU_DEP_4) | instskip(SKIP_1) | instid1(VALU_DEP_1)
	v_lshlrev_b32_e32 v11, 16, v13
	s_or_b32 s5, vcc_lo, s5
	v_or3_b32 v6, v10, v11, v12
	global_store_b32 v[8:9], v6, off
	s_wait_xcnt 0x0
	s_and_not1_b32 exec_lo, exec_lo, s5
	s_cbranch_execnz .LBB22_32
.LBB22_33:
	s_endpgm
	.section	.rodata,"a",@progbits
	.p2align	6, 0x0
	.amdhsa_kernel _ZN2at6native12_GLOBAL__N_125multi_tensor_apply_kernelINS1_18TensorListMetadataILi3EEENS1_24PointwiseOpScalarFunctorIhLi3ELi3ELi0EEEJSt10multipliesIhEhEEEvT_T0_DpT1_
		.amdhsa_group_segment_fixed_size 0
		.amdhsa_private_segment_fixed_size 0
		.amdhsa_kernarg_size 3408
		.amdhsa_user_sgpr_count 2
		.amdhsa_user_sgpr_dispatch_ptr 0
		.amdhsa_user_sgpr_queue_ptr 0
		.amdhsa_user_sgpr_kernarg_segment_ptr 1
		.amdhsa_user_sgpr_dispatch_id 0
		.amdhsa_user_sgpr_kernarg_preload_length 0
		.amdhsa_user_sgpr_kernarg_preload_offset 0
		.amdhsa_user_sgpr_private_segment_size 0
		.amdhsa_wavefront_size32 1
		.amdhsa_uses_dynamic_stack 0
		.amdhsa_enable_private_segment 0
		.amdhsa_system_sgpr_workgroup_id_x 1
		.amdhsa_system_sgpr_workgroup_id_y 0
		.amdhsa_system_sgpr_workgroup_id_z 0
		.amdhsa_system_sgpr_workgroup_info 0
		.amdhsa_system_vgpr_workitem_id 0
		.amdhsa_next_free_vgpr 52
		.amdhsa_next_free_sgpr 22
		.amdhsa_named_barrier_count 0
		.amdhsa_reserve_vcc 1
		.amdhsa_float_round_mode_32 0
		.amdhsa_float_round_mode_16_64 0
		.amdhsa_float_denorm_mode_32 3
		.amdhsa_float_denorm_mode_16_64 3
		.amdhsa_fp16_overflow 0
		.amdhsa_memory_ordered 1
		.amdhsa_forward_progress 1
		.amdhsa_inst_pref_size 13
		.amdhsa_round_robin_scheduling 0
		.amdhsa_exception_fp_ieee_invalid_op 0
		.amdhsa_exception_fp_denorm_src 0
		.amdhsa_exception_fp_ieee_div_zero 0
		.amdhsa_exception_fp_ieee_overflow 0
		.amdhsa_exception_fp_ieee_underflow 0
		.amdhsa_exception_fp_ieee_inexact 0
		.amdhsa_exception_int_div_zero 0
	.end_amdhsa_kernel
	.section	.text._ZN2at6native12_GLOBAL__N_125multi_tensor_apply_kernelINS1_18TensorListMetadataILi3EEENS1_24PointwiseOpScalarFunctorIhLi3ELi3ELi0EEEJSt10multipliesIhEhEEEvT_T0_DpT1_,"axG",@progbits,_ZN2at6native12_GLOBAL__N_125multi_tensor_apply_kernelINS1_18TensorListMetadataILi3EEENS1_24PointwiseOpScalarFunctorIhLi3ELi3ELi0EEEJSt10multipliesIhEhEEEvT_T0_DpT1_,comdat
.Lfunc_end22:
	.size	_ZN2at6native12_GLOBAL__N_125multi_tensor_apply_kernelINS1_18TensorListMetadataILi3EEENS1_24PointwiseOpScalarFunctorIhLi3ELi3ELi0EEEJSt10multipliesIhEhEEEvT_T0_DpT1_, .Lfunc_end22-_ZN2at6native12_GLOBAL__N_125multi_tensor_apply_kernelINS1_18TensorListMetadataILi3EEENS1_24PointwiseOpScalarFunctorIhLi3ELi3ELi0EEEJSt10multipliesIhEhEEEvT_T0_DpT1_
                                        ; -- End function
	.set _ZN2at6native12_GLOBAL__N_125multi_tensor_apply_kernelINS1_18TensorListMetadataILi3EEENS1_24PointwiseOpScalarFunctorIhLi3ELi3ELi0EEEJSt10multipliesIhEhEEEvT_T0_DpT1_.num_vgpr, 52
	.set _ZN2at6native12_GLOBAL__N_125multi_tensor_apply_kernelINS1_18TensorListMetadataILi3EEENS1_24PointwiseOpScalarFunctorIhLi3ELi3ELi0EEEJSt10multipliesIhEhEEEvT_T0_DpT1_.num_agpr, 0
	.set _ZN2at6native12_GLOBAL__N_125multi_tensor_apply_kernelINS1_18TensorListMetadataILi3EEENS1_24PointwiseOpScalarFunctorIhLi3ELi3ELi0EEEJSt10multipliesIhEhEEEvT_T0_DpT1_.numbered_sgpr, 22
	.set _ZN2at6native12_GLOBAL__N_125multi_tensor_apply_kernelINS1_18TensorListMetadataILi3EEENS1_24PointwiseOpScalarFunctorIhLi3ELi3ELi0EEEJSt10multipliesIhEhEEEvT_T0_DpT1_.num_named_barrier, 0
	.set _ZN2at6native12_GLOBAL__N_125multi_tensor_apply_kernelINS1_18TensorListMetadataILi3EEENS1_24PointwiseOpScalarFunctorIhLi3ELi3ELi0EEEJSt10multipliesIhEhEEEvT_T0_DpT1_.private_seg_size, 0
	.set _ZN2at6native12_GLOBAL__N_125multi_tensor_apply_kernelINS1_18TensorListMetadataILi3EEENS1_24PointwiseOpScalarFunctorIhLi3ELi3ELi0EEEJSt10multipliesIhEhEEEvT_T0_DpT1_.uses_vcc, 1
	.set _ZN2at6native12_GLOBAL__N_125multi_tensor_apply_kernelINS1_18TensorListMetadataILi3EEENS1_24PointwiseOpScalarFunctorIhLi3ELi3ELi0EEEJSt10multipliesIhEhEEEvT_T0_DpT1_.uses_flat_scratch, 0
	.set _ZN2at6native12_GLOBAL__N_125multi_tensor_apply_kernelINS1_18TensorListMetadataILi3EEENS1_24PointwiseOpScalarFunctorIhLi3ELi3ELi0EEEJSt10multipliesIhEhEEEvT_T0_DpT1_.has_dyn_sized_stack, 0
	.set _ZN2at6native12_GLOBAL__N_125multi_tensor_apply_kernelINS1_18TensorListMetadataILi3EEENS1_24PointwiseOpScalarFunctorIhLi3ELi3ELi0EEEJSt10multipliesIhEhEEEvT_T0_DpT1_.has_recursion, 0
	.set _ZN2at6native12_GLOBAL__N_125multi_tensor_apply_kernelINS1_18TensorListMetadataILi3EEENS1_24PointwiseOpScalarFunctorIhLi3ELi3ELi0EEEJSt10multipliesIhEhEEEvT_T0_DpT1_.has_indirect_call, 0
	.section	.AMDGPU.csdata,"",@progbits
; Kernel info:
; codeLenInByte = 1556
; TotalNumSgprs: 24
; NumVgprs: 52
; ScratchSize: 0
; MemoryBound: 0
; FloatMode: 240
; IeeeMode: 1
; LDSByteSize: 0 bytes/workgroup (compile time only)
; SGPRBlocks: 0
; VGPRBlocks: 3
; NumSGPRsForWavesPerEU: 24
; NumVGPRsForWavesPerEU: 52
; NamedBarCnt: 0
; Occupancy: 16
; WaveLimiterHint : 0
; COMPUTE_PGM_RSRC2:SCRATCH_EN: 0
; COMPUTE_PGM_RSRC2:USER_SGPR: 2
; COMPUTE_PGM_RSRC2:TRAP_HANDLER: 0
; COMPUTE_PGM_RSRC2:TGID_X_EN: 1
; COMPUTE_PGM_RSRC2:TGID_Y_EN: 0
; COMPUTE_PGM_RSRC2:TGID_Z_EN: 0
; COMPUTE_PGM_RSRC2:TIDIG_COMP_CNT: 0
	.section	.text._ZN2at6native12_GLOBAL__N_125multi_tensor_apply_kernelINS1_18TensorListMetadataILi3EEENS1_24PointwiseOpScalarFunctorIaLi3ELi3ELi0EEEJSt10multipliesIaEaEEEvT_T0_DpT1_,"axG",@progbits,_ZN2at6native12_GLOBAL__N_125multi_tensor_apply_kernelINS1_18TensorListMetadataILi3EEENS1_24PointwiseOpScalarFunctorIaLi3ELi3ELi0EEEJSt10multipliesIaEaEEEvT_T0_DpT1_,comdat
	.globl	_ZN2at6native12_GLOBAL__N_125multi_tensor_apply_kernelINS1_18TensorListMetadataILi3EEENS1_24PointwiseOpScalarFunctorIaLi3ELi3ELi0EEEJSt10multipliesIaEaEEEvT_T0_DpT1_ ; -- Begin function _ZN2at6native12_GLOBAL__N_125multi_tensor_apply_kernelINS1_18TensorListMetadataILi3EEENS1_24PointwiseOpScalarFunctorIaLi3ELi3ELi0EEEJSt10multipliesIaEaEEEvT_T0_DpT1_
	.p2align	8
	.type	_ZN2at6native12_GLOBAL__N_125multi_tensor_apply_kernelINS1_18TensorListMetadataILi3EEENS1_24PointwiseOpScalarFunctorIaLi3ELi3ELi0EEEJSt10multipliesIaEaEEEvT_T0_DpT1_,@function
_ZN2at6native12_GLOBAL__N_125multi_tensor_apply_kernelINS1_18TensorListMetadataILi3EEENS1_24PointwiseOpScalarFunctorIaLi3ELi3ELi0EEEJSt10multipliesIaEaEEEvT_T0_DpT1_: ; @_ZN2at6native12_GLOBAL__N_125multi_tensor_apply_kernelINS1_18TensorListMetadataILi3EEENS1_24PointwiseOpScalarFunctorIaLi3ELi3ELi0EEEJSt10multipliesIaEaEEEvT_T0_DpT1_
; %bb.0:
	s_bfe_u32 s2, ttmp6, 0x4000c
	s_and_b32 s3, ttmp6, 15
	s_add_co_i32 s2, s2, 1
	s_getreg_b32 s4, hwreg(HW_REG_IB_STS2, 6, 4)
	s_mul_i32 s2, ttmp9, s2
	s_delay_alu instid0(SALU_CYCLE_1) | instskip(SKIP_3) | instid1(SALU_CYCLE_1)
	s_add_co_i32 s2, s3, s2
	s_cmp_eq_u32 s4, 0
	s_mov_b32 s3, 0
	s_cselect_b32 s2, ttmp9, s2
	s_add_nc_u64 s[4:5], s[0:1], s[2:3]
	s_mul_u64 s[6:7], s[2:3], 3
	s_delay_alu instid0(SALU_CYCLE_1)
	s_add_nc_u64 s[4:5], s[4:5], s[6:7]
	s_clause 0x1
	s_load_b32 s12, s[4:5], 0x740
	s_load_u8 s13, s[0:1], s2 offset:0x600
	s_wait_kmcnt 0x0
	s_clause 0x3
	s_load_b64 s[6:7], s[0:1], s13 offset:0x180 scale_offset
	s_load_b64 s[8:9], s[0:1], s13 offset:0x300 scale_offset
	;; [unrolled: 1-line block ×4, first 2 shown]
	s_wait_xcnt 0x0
	s_ashr_i32 s13, s12, 31
	s_delay_alu instid0(SALU_CYCLE_1)
	s_lshl_b64 s[12:13], s[12:13], 16
	s_wait_kmcnt 0x0
	s_add_nc_u64 s[4:5], s[6:7], s[12:13]
	s_load_b32 s5, s[0:1], 0xc48
	s_or_b32 s2, s8, s4
	s_add_nc_u64 s[16:17], s[10:11], s[12:13]
	s_and_b32 s2, s2, 3
	s_delay_alu instid0(SALU_CYCLE_1) | instskip(SKIP_4) | instid1(SALU_CYCLE_1)
	s_cmp_eq_u32 s2, 0
	s_cselect_b32 s4, -1, 0
	s_or_b64 s[16:17], s[14:15], s[16:17]
	s_sub_nc_u64 s[14:15], s[14:15], s[12:13]
	s_and_b32 s2, s16, 3
	s_cmp_eq_u64 s[2:3], 0
	s_cselect_b32 s2, -1, 0
	s_delay_alu instid0(SALU_CYCLE_1) | instskip(NEXT) | instid1(SALU_CYCLE_1)
	s_and_b32 s2, s4, s2
	s_and_b32 vcc_lo, exec_lo, s2
	s_mov_b32 s2, -1
	s_cbranch_vccnz .LBB23_29
; %bb.1:
	v_cmp_lt_i64_e64 s2, s[14:15], 1
	s_and_b32 vcc_lo, exec_lo, s2
	s_cbranch_vccnz .LBB23_28
; %bb.2:
	s_load_b32 s2, s[0:1], 0xc5c
	v_min_i64 v[2:3], 0x10000, s[14:15]
	v_min_u64 v[4:5], 0x10000, s[14:15]
	v_mov_b32_e32 v1, 0
	s_mov_b32 s17, 0
	s_delay_alu instid0(SALU_CYCLE_1) | instskip(SKIP_1) | instid1(VALU_DEP_1)
	s_mov_b32 s3, s17
	s_mov_b32 s19, s17
	v_add_nc_u64_e32 v[12:13], s[12:13], v[0:1]
	s_delay_alu instid0(VALU_DEP_1) | instskip(SKIP_4) | instid1(SALU_CYCLE_1)
	v_add_nc_u64_e32 v[6:7], s[10:11], v[12:13]
	v_add_nc_u64_e32 v[8:9], s[6:7], v[12:13]
	;; [unrolled: 1-line block ×3, first 2 shown]
	s_wait_kmcnt 0x0
	s_and_b32 s16, s2, 0xffff
	s_lshl_b32 s2, s16, 1
	s_mul_i32 s18, s16, 3
	v_add_nc_u64_e32 v[20:21], s[16:17], v[12:13]
	s_add_nc_u64 s[20:21], s[12:13], s[18:19]
	v_add_nc_u64_e32 v[12:13], s[18:19], v[0:1]
	s_add_nc_u64 s[18:19], s[12:13], s[2:3]
	v_add_nc_u64_e32 v[26:27], s[20:21], v[0:1]
	v_add_nc_u64_e32 v[32:33], s[18:19], v[0:1]
	;; [unrolled: 1-line block ×13, first 2 shown]
	s_lshl_b32 s16, s16, 2
	s_mov_b64 s[18:19], 0
	s_lshr_b32 s20, s5, 16
	s_branch .LBB23_4
.LBB23_3:                               ;   in Loop: Header=BB23_4 Depth=1
	s_wait_xcnt 0x0
	s_or_b32 exec_lo, exec_lo, s2
	s_add_nc_u64 s[18:19], s[18:19], s[16:17]
	s_delay_alu instid0(SALU_CYCLE_1)
	v_cmp_lt_i64_e32 vcc_lo, s[18:19], v[2:3]
	s_cbranch_vccz .LBB23_28
.LBB23_4:                               ; =>This Inner Loop Header: Depth=1
	s_wait_loadcnt 0x0
	v_add_nc_u64_e32 v[36:37], s[18:19], v[0:1]
	s_delay_alu instid0(VALU_DEP_1)
	v_cmp_lt_u64_e32 vcc_lo, v[36:37], v[4:5]
	v_dual_mov_b32 v37, 0 :: v_dual_mov_b32 v36, 0
	s_and_saveexec_b32 s2, vcc_lo
	s_cbranch_execz .LBB23_6
; %bb.5:                                ;   in Loop: Header=BB23_4 Depth=1
	v_add_nc_u64_e32 v[38:39], s[18:19], v[6:7]
	v_add_nc_u64_e32 v[40:41], s[18:19], v[8:9]
	global_load_u8 v36, v[38:39], off
	global_load_u8 v37, v[40:41], off
.LBB23_6:                               ;   in Loop: Header=BB23_4 Depth=1
	s_wait_xcnt 0x0
	s_or_b32 exec_lo, exec_lo, s2
	v_dual_mov_b32 v38, 0 :: v_dual_mov_b32 v39, 0
	s_and_saveexec_b32 s2, vcc_lo
	s_cbranch_execz .LBB23_8
; %bb.7:                                ;   in Loop: Header=BB23_4 Depth=1
	v_add_nc_u64_e32 v[40:41], s[18:19], v[10:11]
	global_load_u8 v39, v[40:41], off
.LBB23_8:                               ;   in Loop: Header=BB23_4 Depth=1
	s_wait_xcnt 0x0
	s_or_b32 exec_lo, exec_lo, s2
	v_add_nc_u64_e32 v[40:41], s[18:19], v[34:35]
	s_delay_alu instid0(VALU_DEP_1)
	v_cmp_lt_u64_e64 s2, v[40:41], v[4:5]
	v_mov_b32_e32 v40, 0
	s_and_saveexec_b32 s3, s2
	s_cbranch_execz .LBB23_10
; %bb.9:                                ;   in Loop: Header=BB23_4 Depth=1
	v_add_nc_u64_e32 v[42:43], s[18:19], v[16:17]
	v_add_nc_u64_e32 v[44:45], s[18:19], v[18:19]
	global_load_u8 v40, v[42:43], off
	global_load_u8 v38, v[44:45], off
.LBB23_10:                              ;   in Loop: Header=BB23_4 Depth=1
	s_wait_xcnt 0x0
	s_or_b32 exec_lo, exec_lo, s3
	v_dual_mov_b32 v41, 0 :: v_dual_mov_b32 v42, 0
	s_and_saveexec_b32 s3, s2
	s_cbranch_execz .LBB23_12
; %bb.11:                               ;   in Loop: Header=BB23_4 Depth=1
	v_add_nc_u64_e32 v[42:43], s[18:19], v[20:21]
	global_load_u8 v42, v[42:43], off
.LBB23_12:                              ;   in Loop: Header=BB23_4 Depth=1
	s_wait_xcnt 0x0
	s_or_b32 exec_lo, exec_lo, s3
	v_add_nc_u64_e32 v[44:45], s[18:19], v[14:15]
	v_mov_b32_e32 v43, 0
	s_delay_alu instid0(VALU_DEP_2)
	v_cmp_lt_u64_e64 s3, v[44:45], v[4:5]
	s_and_saveexec_b32 s4, s3
	s_cbranch_execz .LBB23_14
; %bb.13:                               ;   in Loop: Header=BB23_4 Depth=1
	v_add_nc_u64_e32 v[44:45], s[18:19], v[28:29]
	v_add_nc_u64_e32 v[46:47], s[18:19], v[30:31]
	global_load_u8 v43, v[44:45], off
	global_load_u8 v41, v[46:47], off
.LBB23_14:                              ;   in Loop: Header=BB23_4 Depth=1
	s_wait_xcnt 0x0
	s_or_b32 exec_lo, exec_lo, s4
	v_dual_mov_b32 v44, 0 :: v_dual_mov_b32 v45, 0
	s_and_saveexec_b32 s4, s3
	s_cbranch_execz .LBB23_16
; %bb.15:                               ;   in Loop: Header=BB23_4 Depth=1
	v_add_nc_u64_e32 v[46:47], s[18:19], v[32:33]
	global_load_u8 v45, v[46:47], off
.LBB23_16:                              ;   in Loop: Header=BB23_4 Depth=1
	s_wait_xcnt 0x0
	s_or_b32 exec_lo, exec_lo, s4
	v_add_nc_u64_e32 v[46:47], s[18:19], v[12:13]
	s_delay_alu instid0(VALU_DEP_1)
	v_cmp_lt_u64_e64 s4, v[46:47], v[4:5]
	v_mov_b32_e32 v46, 0
	s_and_saveexec_b32 s21, s4
	s_cbranch_execnz .LBB23_22
; %bb.17:                               ;   in Loop: Header=BB23_4 Depth=1
	s_or_b32 exec_lo, exec_lo, s21
	v_mov_b32_e32 v47, 0
	s_and_saveexec_b32 s21, s4
	s_cbranch_execnz .LBB23_23
.LBB23_18:                              ;   in Loop: Header=BB23_4 Depth=1
	s_or_b32 exec_lo, exec_lo, s21
	s_and_saveexec_b32 s21, vcc_lo
	s_cbranch_execnz .LBB23_24
.LBB23_19:                              ;   in Loop: Header=BB23_4 Depth=1
	s_or_b32 exec_lo, exec_lo, s21
	s_and_saveexec_b32 s21, s2
	s_cbranch_execnz .LBB23_25
.LBB23_20:                              ;   in Loop: Header=BB23_4 Depth=1
	s_or_b32 exec_lo, exec_lo, s21
	s_and_saveexec_b32 s2, s3
	s_cbranch_execnz .LBB23_26
.LBB23_21:                              ;   in Loop: Header=BB23_4 Depth=1
	s_or_b32 exec_lo, exec_lo, s2
	s_and_saveexec_b32 s2, s4
	s_cbranch_execz .LBB23_3
	s_branch .LBB23_27
.LBB23_22:                              ;   in Loop: Header=BB23_4 Depth=1
	v_add_nc_u64_e32 v[48:49], s[18:19], v[22:23]
	v_add_nc_u64_e32 v[50:51], s[18:19], v[24:25]
	global_load_u8 v46, v[48:49], off
	global_load_u8 v44, v[50:51], off
	s_wait_xcnt 0x0
	s_or_b32 exec_lo, exec_lo, s21
	v_mov_b32_e32 v47, 0
	s_and_saveexec_b32 s21, s4
	s_cbranch_execz .LBB23_18
.LBB23_23:                              ;   in Loop: Header=BB23_4 Depth=1
	v_add_nc_u64_e32 v[48:49], s[18:19], v[26:27]
	global_load_u8 v47, v[48:49], off
	s_wait_xcnt 0x0
	s_or_b32 exec_lo, exec_lo, s21
	s_and_saveexec_b32 s21, vcc_lo
	s_cbranch_execz .LBB23_19
.LBB23_24:                              ;   in Loop: Header=BB23_4 Depth=1
	s_wait_loadcnt 0x0
	v_mul_lo_u16 v37, v37, s20
	v_add_nc_u64_e32 v[48:49], s[18:19], v[6:7]
	s_delay_alu instid0(VALU_DEP_2)
	v_mad_u16 v36, v37, v39, v36
	global_store_b8 v[48:49], v36, off
	s_wait_xcnt 0x0
	s_or_b32 exec_lo, exec_lo, s21
	s_and_saveexec_b32 s21, s2
	s_cbranch_execz .LBB23_20
.LBB23_25:                              ;   in Loop: Header=BB23_4 Depth=1
	s_wait_loadcnt 0x0
	v_mul_lo_u16 v38, v38, s20
	v_add_nc_u64_e32 v[36:37], s[18:19], v[16:17]
	s_delay_alu instid0(VALU_DEP_2)
	v_mad_u16 v38, v38, v42, v40
	global_store_b8 v[36:37], v38, off
	s_wait_xcnt 0x0
	s_or_b32 exec_lo, exec_lo, s21
	s_and_saveexec_b32 s2, s3
	s_cbranch_execz .LBB23_21
.LBB23_26:                              ;   in Loop: Header=BB23_4 Depth=1
	s_wait_loadcnt 0x0
	v_mul_lo_u16 v38, v41, s20
	v_add_nc_u64_e32 v[36:37], s[18:19], v[28:29]
	s_delay_alu instid0(VALU_DEP_2)
	v_mad_u16 v38, v38, v45, v43
	global_store_b8 v[36:37], v38, off
	s_wait_xcnt 0x0
	s_or_b32 exec_lo, exec_lo, s2
	s_and_saveexec_b32 s2, s4
	s_cbranch_execz .LBB23_3
.LBB23_27:                              ;   in Loop: Header=BB23_4 Depth=1
	s_wait_loadcnt 0x0
	v_mul_lo_u16 v38, v44, s20
	v_add_nc_u64_e32 v[36:37], s[18:19], v[22:23]
	s_delay_alu instid0(VALU_DEP_2)
	v_mad_u16 v38, v38, v47, v46
	global_store_b8 v[36:37], v38, off
	s_branch .LBB23_3
.LBB23_28:
	s_mov_b32 s2, 0
.LBB23_29:
	s_delay_alu instid0(SALU_CYCLE_1)
	s_and_not1_b32 vcc_lo, exec_lo, s2
	s_cbranch_vccnz .LBB23_33
; %bb.30:
	v_min_i64 v[2:3], 0x10000, s[14:15]
	v_dual_mov_b32 v5, 0 :: v_dual_lshlrev_b32 v4, 2, v0
	s_mov_b32 s2, exec_lo
	s_delay_alu instid0(VALU_DEP_1)
	v_cmpx_lt_i64_e64 v[4:5], v[2:3]
	s_cbranch_execz .LBB23_33
; %bb.31:
	s_wait_xcnt 0x0
	s_load_b32 s0, s[0:1], 0xc5c
	v_mov_b32_e32 v1, v5
	v_add_nc_u64_e32 v[4:5], s[12:13], v[4:5]
	s_wait_xcnt 0x0
	s_mov_b32 s1, 0
	s_wait_kmcnt 0x0
	s_lshr_b32 s4, s5, 16
	s_mov_b32 s3, s1
	s_mov_b32 s5, s1
	s_and_b32 s0, s0, 0xffff
	s_delay_alu instid0(SALU_CYCLE_1)
	s_lshl_b32 s2, s0, 2
.LBB23_32:                              ; =>This Inner Loop Header: Depth=1
	v_add_nc_u64_e32 v[6:7], s[6:7], v[4:5]
	v_add_nc_u64_e32 v[8:9], s[10:11], v[4:5]
	;; [unrolled: 1-line block ×5, first 2 shown]
	global_load_b32 v12, v[6:7], off
	global_load_b32 v13, v[8:9], off
	;; [unrolled: 1-line block ×3, first 2 shown]
	s_wait_loadcnt 0x2
	s_wait_xcnt 0x0
	v_mul_lo_u16 v10, s4, v12
	s_wait_loadcnt 0x1
	v_dual_lshrrev_b32 v6, 8, v13 :: v_dual_lshrrev_b32 v7, 8, v12
	s_wait_loadcnt 0x0
	v_dual_lshrrev_b32 v11, 8, v14 :: v_dual_lshrrev_b32 v15, 16, v12
	v_dual_lshrrev_b32 v16, 16, v13 :: v_dual_lshrrev_b32 v17, 16, v14
	v_dual_lshrrev_b32 v12, 24, v12 :: v_dual_lshrrev_b32 v18, 24, v13
	v_mul_lo_u16 v7, s4, v7
	s_delay_alu instid0(VALU_DEP_4) | instskip(SKIP_1) | instid1(VALU_DEP_4)
	v_mul_lo_u16 v15, s4, v15
	v_lshrrev_b32_e32 v19, 24, v14
	v_mul_lo_u16 v12, s4, v12
	v_mad_u16 v10, v10, v14, v13
	v_mad_u16 v11, v7, v11, v6
	;; [unrolled: 1-line block ×3, first 2 shown]
	v_lshlrev_b64_e32 v[6:7], 2, v[0:1]
	v_mad_u16 v12, v12, v19, v18
	s_delay_alu instid0(VALU_DEP_4) | instskip(NEXT) | instid1(VALU_DEP_4)
	v_and_b32_e32 v11, 0xff, v11
	v_and_b32_e32 v13, 0xff, v15
	s_delay_alu instid0(VALU_DEP_3) | instskip(SKIP_1) | instid1(VALU_DEP_4)
	v_lshlrev_b32_e32 v12, 24, v12
	v_cmp_ge_i64_e32 vcc_lo, v[6:7], v[2:3]
	v_perm_b32 v10, v11, v10, 0x6050400
	s_delay_alu instid0(VALU_DEP_4) | instskip(SKIP_1) | instid1(VALU_DEP_1)
	v_lshlrev_b32_e32 v11, 16, v13
	s_or_b32 s5, vcc_lo, s5
	v_or3_b32 v6, v10, v11, v12
	global_store_b32 v[8:9], v6, off
	s_wait_xcnt 0x0
	s_and_not1_b32 exec_lo, exec_lo, s5
	s_cbranch_execnz .LBB23_32
.LBB23_33:
	s_endpgm
	.section	.rodata,"a",@progbits
	.p2align	6, 0x0
	.amdhsa_kernel _ZN2at6native12_GLOBAL__N_125multi_tensor_apply_kernelINS1_18TensorListMetadataILi3EEENS1_24PointwiseOpScalarFunctorIaLi3ELi3ELi0EEEJSt10multipliesIaEaEEEvT_T0_DpT1_
		.amdhsa_group_segment_fixed_size 0
		.amdhsa_private_segment_fixed_size 0
		.amdhsa_kernarg_size 3408
		.amdhsa_user_sgpr_count 2
		.amdhsa_user_sgpr_dispatch_ptr 0
		.amdhsa_user_sgpr_queue_ptr 0
		.amdhsa_user_sgpr_kernarg_segment_ptr 1
		.amdhsa_user_sgpr_dispatch_id 0
		.amdhsa_user_sgpr_kernarg_preload_length 0
		.amdhsa_user_sgpr_kernarg_preload_offset 0
		.amdhsa_user_sgpr_private_segment_size 0
		.amdhsa_wavefront_size32 1
		.amdhsa_uses_dynamic_stack 0
		.amdhsa_enable_private_segment 0
		.amdhsa_system_sgpr_workgroup_id_x 1
		.amdhsa_system_sgpr_workgroup_id_y 0
		.amdhsa_system_sgpr_workgroup_id_z 0
		.amdhsa_system_sgpr_workgroup_info 0
		.amdhsa_system_vgpr_workitem_id 0
		.amdhsa_next_free_vgpr 52
		.amdhsa_next_free_sgpr 22
		.amdhsa_named_barrier_count 0
		.amdhsa_reserve_vcc 1
		.amdhsa_float_round_mode_32 0
		.amdhsa_float_round_mode_16_64 0
		.amdhsa_float_denorm_mode_32 3
		.amdhsa_float_denorm_mode_16_64 3
		.amdhsa_fp16_overflow 0
		.amdhsa_memory_ordered 1
		.amdhsa_forward_progress 1
		.amdhsa_inst_pref_size 13
		.amdhsa_round_robin_scheduling 0
		.amdhsa_exception_fp_ieee_invalid_op 0
		.amdhsa_exception_fp_denorm_src 0
		.amdhsa_exception_fp_ieee_div_zero 0
		.amdhsa_exception_fp_ieee_overflow 0
		.amdhsa_exception_fp_ieee_underflow 0
		.amdhsa_exception_fp_ieee_inexact 0
		.amdhsa_exception_int_div_zero 0
	.end_amdhsa_kernel
	.section	.text._ZN2at6native12_GLOBAL__N_125multi_tensor_apply_kernelINS1_18TensorListMetadataILi3EEENS1_24PointwiseOpScalarFunctorIaLi3ELi3ELi0EEEJSt10multipliesIaEaEEEvT_T0_DpT1_,"axG",@progbits,_ZN2at6native12_GLOBAL__N_125multi_tensor_apply_kernelINS1_18TensorListMetadataILi3EEENS1_24PointwiseOpScalarFunctorIaLi3ELi3ELi0EEEJSt10multipliesIaEaEEEvT_T0_DpT1_,comdat
.Lfunc_end23:
	.size	_ZN2at6native12_GLOBAL__N_125multi_tensor_apply_kernelINS1_18TensorListMetadataILi3EEENS1_24PointwiseOpScalarFunctorIaLi3ELi3ELi0EEEJSt10multipliesIaEaEEEvT_T0_DpT1_, .Lfunc_end23-_ZN2at6native12_GLOBAL__N_125multi_tensor_apply_kernelINS1_18TensorListMetadataILi3EEENS1_24PointwiseOpScalarFunctorIaLi3ELi3ELi0EEEJSt10multipliesIaEaEEEvT_T0_DpT1_
                                        ; -- End function
	.set _ZN2at6native12_GLOBAL__N_125multi_tensor_apply_kernelINS1_18TensorListMetadataILi3EEENS1_24PointwiseOpScalarFunctorIaLi3ELi3ELi0EEEJSt10multipliesIaEaEEEvT_T0_DpT1_.num_vgpr, 52
	.set _ZN2at6native12_GLOBAL__N_125multi_tensor_apply_kernelINS1_18TensorListMetadataILi3EEENS1_24PointwiseOpScalarFunctorIaLi3ELi3ELi0EEEJSt10multipliesIaEaEEEvT_T0_DpT1_.num_agpr, 0
	.set _ZN2at6native12_GLOBAL__N_125multi_tensor_apply_kernelINS1_18TensorListMetadataILi3EEENS1_24PointwiseOpScalarFunctorIaLi3ELi3ELi0EEEJSt10multipliesIaEaEEEvT_T0_DpT1_.numbered_sgpr, 22
	.set _ZN2at6native12_GLOBAL__N_125multi_tensor_apply_kernelINS1_18TensorListMetadataILi3EEENS1_24PointwiseOpScalarFunctorIaLi3ELi3ELi0EEEJSt10multipliesIaEaEEEvT_T0_DpT1_.num_named_barrier, 0
	.set _ZN2at6native12_GLOBAL__N_125multi_tensor_apply_kernelINS1_18TensorListMetadataILi3EEENS1_24PointwiseOpScalarFunctorIaLi3ELi3ELi0EEEJSt10multipliesIaEaEEEvT_T0_DpT1_.private_seg_size, 0
	.set _ZN2at6native12_GLOBAL__N_125multi_tensor_apply_kernelINS1_18TensorListMetadataILi3EEENS1_24PointwiseOpScalarFunctorIaLi3ELi3ELi0EEEJSt10multipliesIaEaEEEvT_T0_DpT1_.uses_vcc, 1
	.set _ZN2at6native12_GLOBAL__N_125multi_tensor_apply_kernelINS1_18TensorListMetadataILi3EEENS1_24PointwiseOpScalarFunctorIaLi3ELi3ELi0EEEJSt10multipliesIaEaEEEvT_T0_DpT1_.uses_flat_scratch, 0
	.set _ZN2at6native12_GLOBAL__N_125multi_tensor_apply_kernelINS1_18TensorListMetadataILi3EEENS1_24PointwiseOpScalarFunctorIaLi3ELi3ELi0EEEJSt10multipliesIaEaEEEvT_T0_DpT1_.has_dyn_sized_stack, 0
	.set _ZN2at6native12_GLOBAL__N_125multi_tensor_apply_kernelINS1_18TensorListMetadataILi3EEENS1_24PointwiseOpScalarFunctorIaLi3ELi3ELi0EEEJSt10multipliesIaEaEEEvT_T0_DpT1_.has_recursion, 0
	.set _ZN2at6native12_GLOBAL__N_125multi_tensor_apply_kernelINS1_18TensorListMetadataILi3EEENS1_24PointwiseOpScalarFunctorIaLi3ELi3ELi0EEEJSt10multipliesIaEaEEEvT_T0_DpT1_.has_indirect_call, 0
	.section	.AMDGPU.csdata,"",@progbits
; Kernel info:
; codeLenInByte = 1556
; TotalNumSgprs: 24
; NumVgprs: 52
; ScratchSize: 0
; MemoryBound: 0
; FloatMode: 240
; IeeeMode: 1
; LDSByteSize: 0 bytes/workgroup (compile time only)
; SGPRBlocks: 0
; VGPRBlocks: 3
; NumSGPRsForWavesPerEU: 24
; NumVGPRsForWavesPerEU: 52
; NamedBarCnt: 0
; Occupancy: 16
; WaveLimiterHint : 0
; COMPUTE_PGM_RSRC2:SCRATCH_EN: 0
; COMPUTE_PGM_RSRC2:USER_SGPR: 2
; COMPUTE_PGM_RSRC2:TRAP_HANDLER: 0
; COMPUTE_PGM_RSRC2:TGID_X_EN: 1
; COMPUTE_PGM_RSRC2:TGID_Y_EN: 0
; COMPUTE_PGM_RSRC2:TGID_Z_EN: 0
; COMPUTE_PGM_RSRC2:TIDIG_COMP_CNT: 0
	.section	.text._ZN2at6native12_GLOBAL__N_125multi_tensor_apply_kernelINS1_18TensorListMetadataILi3EEENS1_24PointwiseOpScalarFunctorIiLi3ELi3ELi0EEEJSt10multipliesIiEiEEEvT_T0_DpT1_,"axG",@progbits,_ZN2at6native12_GLOBAL__N_125multi_tensor_apply_kernelINS1_18TensorListMetadataILi3EEENS1_24PointwiseOpScalarFunctorIiLi3ELi3ELi0EEEJSt10multipliesIiEiEEEvT_T0_DpT1_,comdat
	.globl	_ZN2at6native12_GLOBAL__N_125multi_tensor_apply_kernelINS1_18TensorListMetadataILi3EEENS1_24PointwiseOpScalarFunctorIiLi3ELi3ELi0EEEJSt10multipliesIiEiEEEvT_T0_DpT1_ ; -- Begin function _ZN2at6native12_GLOBAL__N_125multi_tensor_apply_kernelINS1_18TensorListMetadataILi3EEENS1_24PointwiseOpScalarFunctorIiLi3ELi3ELi0EEEJSt10multipliesIiEiEEEvT_T0_DpT1_
	.p2align	8
	.type	_ZN2at6native12_GLOBAL__N_125multi_tensor_apply_kernelINS1_18TensorListMetadataILi3EEENS1_24PointwiseOpScalarFunctorIiLi3ELi3ELi0EEEJSt10multipliesIiEiEEEvT_T0_DpT1_,@function
_ZN2at6native12_GLOBAL__N_125multi_tensor_apply_kernelINS1_18TensorListMetadataILi3EEENS1_24PointwiseOpScalarFunctorIiLi3ELi3ELi0EEEJSt10multipliesIiEiEEEvT_T0_DpT1_: ; @_ZN2at6native12_GLOBAL__N_125multi_tensor_apply_kernelINS1_18TensorListMetadataILi3EEENS1_24PointwiseOpScalarFunctorIiLi3ELi3ELi0EEEJSt10multipliesIiEiEEEvT_T0_DpT1_
; %bb.0:
	s_bfe_u32 s2, ttmp6, 0x4000c
	s_and_b32 s3, ttmp6, 15
	s_add_co_i32 s2, s2, 1
	s_getreg_b32 s4, hwreg(HW_REG_IB_STS2, 6, 4)
	s_mul_i32 s2, ttmp9, s2
	s_load_b32 s22, s[0:1], 0xc4c
	s_add_co_i32 s2, s3, s2
	s_cmp_eq_u32 s4, 0
	s_mov_b32 s3, 0
	s_cselect_b32 s2, ttmp9, s2
	s_delay_alu instid0(SALU_CYCLE_1) | instskip(SKIP_1) | instid1(SALU_CYCLE_1)
	s_add_nc_u64 s[4:5], s[0:1], s[2:3]
	s_mul_u64 s[6:7], s[2:3], 3
	s_add_nc_u64 s[4:5], s[4:5], s[6:7]
	s_clause 0x1
	s_load_b32 s14, s[4:5], 0x740
	s_load_u8 s12, s[0:1], s2 offset:0x600
	s_wait_kmcnt 0x0
	s_clause 0x3
	s_load_b64 s[8:9], s[0:1], s12 offset:0x180 scale_offset
	s_load_b64 s[6:7], s[0:1], s12 offset:0x300 scale_offset
	;; [unrolled: 1-line block ×4, first 2 shown]
	s_ashr_i32 s15, s14, 31
	s_wait_xcnt 0x0
	s_lshl_b64 s[12:13], s[14:15], 18
	s_wait_kmcnt 0x0
	s_add_nc_u64 s[16:17], s[8:9], s[12:13]
	s_delay_alu instid0(SALU_CYCLE_1) | instskip(SKIP_2) | instid1(SALU_CYCLE_1)
	s_or_b32 s2, s6, s16
	s_and_b64 s[16:17], s[10:11], 15
	s_and_b32 s2, s2, 15
	s_cmp_eq_u32 s2, 0
	s_cselect_b32 s18, -1, 0
	s_and_b32 s2, s4, 3
	s_lshl_b64 s[14:15], s[14:15], 16
	s_or_b64 s[2:3], s[16:17], s[2:3]
	s_sub_nc_u64 s[14:15], s[4:5], s[14:15]
	s_cmp_eq_u64 s[2:3], 0
	s_cselect_b32 s2, -1, 0
	s_delay_alu instid0(SALU_CYCLE_1) | instskip(NEXT) | instid1(SALU_CYCLE_1)
	s_and_b32 s2, s18, s2
	s_and_b32 vcc_lo, exec_lo, s2
	s_mov_b32 s2, -1
	s_cbranch_vccnz .LBB24_29
; %bb.1:
	v_cmp_lt_i64_e64 s2, s[14:15], 1
	s_and_b32 vcc_lo, exec_lo, s2
	s_cbranch_vccnz .LBB24_28
; %bb.2:
	s_load_b32 s2, s[0:1], 0xc5c
	v_min_i64 v[2:3], 0x10000, s[14:15]
	v_min_u64 v[4:5], 0x10000, s[14:15]
	v_dual_mov_b32 v1, 0 :: v_dual_lshlrev_b32 v12, 2, v0
	s_mov_b32 s19, 0
	s_mov_b64 s[20:21], 0
	s_mov_b32 s17, s19
	s_delay_alu instid0(VALU_DEP_1) | instskip(SKIP_2) | instid1(VALU_DEP_1)
	v_dual_mov_b32 v13, v1 :: v_dual_mov_b32 v35, v1
	s_mov_b32 s3, s19
	s_mov_b32 s5, s19
	v_add_nc_u64_e32 v[6:7], s[10:11], v[12:13]
	v_add_nc_u64_e32 v[8:9], s[8:9], v[12:13]
	s_wait_kmcnt 0x0
	s_and_b32 s18, s2, 0xffff
	s_delay_alu instid0(SALU_CYCLE_1)
	v_add_nc_u64_e32 v[10:11], s[18:19], v[0:1]
	v_mad_nc_u64_u32 v[28:29], s18, 12, v[12:13]
	s_lshl_b32 s16, s18, 3
	s_mul_i32 s4, s18, 3
	v_add_nc_u64_e32 v[22:23], s[16:17], v[12:13]
	s_lshl_b32 s2, s18, 1
	v_add_nc_u64_e32 v[12:13], s[6:7], v[12:13]
	v_lshlrev_b32_e32 v34, 2, v10
	v_add_nc_u64_e32 v[14:15], s[4:5], v[0:1]
	v_add_nc_u64_e32 v[16:17], s[2:3], v[0:1]
	s_lshl_b32 s16, s18, 2
	v_add_nc_u64_e32 v[18:19], s[10:11], v[22:23]
	v_add_nc_u64_e32 v[20:21], s[8:9], v[22:23]
	;; [unrolled: 1-line block ×9, first 2 shown]
	s_lshl_b32 s18, s18, 4
	s_branch .LBB24_4
.LBB24_3:                               ;   in Loop: Header=BB24_4 Depth=1
	s_wait_xcnt 0x0
	s_or_b32 exec_lo, exec_lo, s2
	s_add_nc_u64 s[20:21], s[20:21], s[16:17]
	v_add_nc_u64_e32 v[6:7], s[18:19], v[6:7]
	v_cmp_lt_i64_e32 vcc_lo, s[20:21], v[2:3]
	v_add_nc_u64_e32 v[8:9], s[18:19], v[8:9]
	v_add_nc_u64_e32 v[12:13], s[18:19], v[12:13]
	;; [unrolled: 1-line block ×11, first 2 shown]
	s_cbranch_vccz .LBB24_28
.LBB24_4:                               ; =>This Inner Loop Header: Depth=1
	s_wait_loadcnt 0x0
	v_add_nc_u64_e32 v[36:37], s[20:21], v[0:1]
	s_delay_alu instid0(VALU_DEP_1)
	v_cmp_lt_u64_e32 vcc_lo, v[36:37], v[4:5]
	v_dual_mov_b32 v37, 0 :: v_dual_mov_b32 v36, 0
	s_and_saveexec_b32 s2, vcc_lo
	s_cbranch_execz .LBB24_6
; %bb.5:                                ;   in Loop: Header=BB24_4 Depth=1
	v_add_nc_u64_e32 v[38:39], s[12:13], v[6:7]
	v_add_nc_u64_e32 v[40:41], s[12:13], v[8:9]
	global_load_b32 v36, v[38:39], off
	global_load_b32 v37, v[40:41], off
.LBB24_6:                               ;   in Loop: Header=BB24_4 Depth=1
	s_wait_xcnt 0x0
	s_or_b32 exec_lo, exec_lo, s2
	v_dual_mov_b32 v38, 0 :: v_dual_mov_b32 v39, 0
	s_and_saveexec_b32 s2, vcc_lo
	s_cbranch_execz .LBB24_8
; %bb.7:                                ;   in Loop: Header=BB24_4 Depth=1
	v_add_nc_u64_e32 v[40:41], s[12:13], v[12:13]
	global_load_b32 v39, v[40:41], off
.LBB24_8:                               ;   in Loop: Header=BB24_4 Depth=1
	s_wait_xcnt 0x0
	s_or_b32 exec_lo, exec_lo, s2
	v_add_nc_u64_e32 v[40:41], s[20:21], v[10:11]
	s_delay_alu instid0(VALU_DEP_1)
	v_cmp_lt_u64_e64 s2, v[40:41], v[4:5]
	v_mov_b32_e32 v40, 0
	s_and_saveexec_b32 s3, s2
	s_cbranch_execz .LBB24_10
; %bb.9:                                ;   in Loop: Header=BB24_4 Depth=1
	v_add_nc_u64_e32 v[42:43], s[12:13], v[30:31]
	v_add_nc_u64_e32 v[44:45], s[12:13], v[32:33]
	global_load_b32 v40, v[42:43], off
	global_load_b32 v38, v[44:45], off
.LBB24_10:                              ;   in Loop: Header=BB24_4 Depth=1
	s_wait_xcnt 0x0
	s_or_b32 exec_lo, exec_lo, s3
	v_dual_mov_b32 v41, 0 :: v_dual_mov_b32 v42, 0
	s_and_saveexec_b32 s3, s2
	s_cbranch_execz .LBB24_12
; %bb.11:                               ;   in Loop: Header=BB24_4 Depth=1
	v_add_nc_u64_e32 v[42:43], s[12:13], v[34:35]
	global_load_b32 v42, v[42:43], off
.LBB24_12:                              ;   in Loop: Header=BB24_4 Depth=1
	s_wait_xcnt 0x0
	s_or_b32 exec_lo, exec_lo, s3
	v_add_nc_u64_e32 v[44:45], s[20:21], v[16:17]
	v_mov_b32_e32 v43, 0
	s_delay_alu instid0(VALU_DEP_2)
	v_cmp_lt_u64_e64 s3, v[44:45], v[4:5]
	s_and_saveexec_b32 s4, s3
	s_cbranch_execz .LBB24_14
; %bb.13:                               ;   in Loop: Header=BB24_4 Depth=1
	v_add_nc_u64_e32 v[44:45], s[12:13], v[18:19]
	v_add_nc_u64_e32 v[46:47], s[12:13], v[20:21]
	global_load_b32 v43, v[44:45], off
	global_load_b32 v41, v[46:47], off
.LBB24_14:                              ;   in Loop: Header=BB24_4 Depth=1
	s_wait_xcnt 0x0
	s_or_b32 exec_lo, exec_lo, s4
	v_dual_mov_b32 v44, 0 :: v_dual_mov_b32 v45, 0
	s_and_saveexec_b32 s4, s3
	s_cbranch_execz .LBB24_16
; %bb.15:                               ;   in Loop: Header=BB24_4 Depth=1
	v_add_nc_u64_e32 v[46:47], s[12:13], v[22:23]
	global_load_b32 v45, v[46:47], off
.LBB24_16:                              ;   in Loop: Header=BB24_4 Depth=1
	s_wait_xcnt 0x0
	s_or_b32 exec_lo, exec_lo, s4
	v_add_nc_u64_e32 v[46:47], s[20:21], v[14:15]
	s_delay_alu instid0(VALU_DEP_1)
	v_cmp_lt_u64_e64 s4, v[46:47], v[4:5]
	v_mov_b32_e32 v46, 0
	s_and_saveexec_b32 s5, s4
	s_cbranch_execnz .LBB24_22
; %bb.17:                               ;   in Loop: Header=BB24_4 Depth=1
	s_or_b32 exec_lo, exec_lo, s5
	v_mov_b32_e32 v47, 0
	s_and_saveexec_b32 s5, s4
	s_cbranch_execnz .LBB24_23
.LBB24_18:                              ;   in Loop: Header=BB24_4 Depth=1
	s_or_b32 exec_lo, exec_lo, s5
	s_and_saveexec_b32 s5, vcc_lo
	s_cbranch_execnz .LBB24_24
.LBB24_19:                              ;   in Loop: Header=BB24_4 Depth=1
	s_or_b32 exec_lo, exec_lo, s5
	s_and_saveexec_b32 s5, s2
	s_cbranch_execnz .LBB24_25
.LBB24_20:                              ;   in Loop: Header=BB24_4 Depth=1
	s_or_b32 exec_lo, exec_lo, s5
	s_and_saveexec_b32 s2, s3
	s_cbranch_execnz .LBB24_26
.LBB24_21:                              ;   in Loop: Header=BB24_4 Depth=1
	s_or_b32 exec_lo, exec_lo, s2
	s_and_saveexec_b32 s2, s4
	s_cbranch_execz .LBB24_3
	s_branch .LBB24_27
.LBB24_22:                              ;   in Loop: Header=BB24_4 Depth=1
	v_add_nc_u64_e32 v[48:49], s[12:13], v[24:25]
	v_add_nc_u64_e32 v[50:51], s[12:13], v[26:27]
	global_load_b32 v46, v[48:49], off
	global_load_b32 v44, v[50:51], off
	s_wait_xcnt 0x0
	s_or_b32 exec_lo, exec_lo, s5
	v_mov_b32_e32 v47, 0
	s_and_saveexec_b32 s5, s4
	s_cbranch_execz .LBB24_18
.LBB24_23:                              ;   in Loop: Header=BB24_4 Depth=1
	v_add_nc_u64_e32 v[48:49], s[12:13], v[28:29]
	global_load_b32 v47, v[48:49], off
	s_wait_xcnt 0x0
	s_or_b32 exec_lo, exec_lo, s5
	s_and_saveexec_b32 s5, vcc_lo
	s_cbranch_execz .LBB24_19
.LBB24_24:                              ;   in Loop: Header=BB24_4 Depth=1
	s_wait_loadcnt 0x0
	v_mul_lo_u32 v37, v37, s22
	s_delay_alu instid0(VALU_DEP_1)
	v_mad_u32 v39, v37, v39, v36
	v_add_nc_u64_e32 v[36:37], s[12:13], v[6:7]
	global_store_b32 v[36:37], v39, off
	s_wait_xcnt 0x0
	s_or_b32 exec_lo, exec_lo, s5
	s_and_saveexec_b32 s5, s2
	s_cbranch_execz .LBB24_20
.LBB24_25:                              ;   in Loop: Header=BB24_4 Depth=1
	s_wait_loadcnt 0x0
	v_mul_lo_u32 v36, v38, s22
	s_delay_alu instid0(VALU_DEP_1)
	v_mad_u32 v38, v36, v42, v40
	v_add_nc_u64_e32 v[36:37], s[12:13], v[30:31]
	global_store_b32 v[36:37], v38, off
	s_wait_xcnt 0x0
	s_or_b32 exec_lo, exec_lo, s5
	s_and_saveexec_b32 s2, s3
	s_cbranch_execz .LBB24_21
.LBB24_26:                              ;   in Loop: Header=BB24_4 Depth=1
	s_wait_loadcnt 0x0
	v_mul_lo_u32 v36, v41, s22
	s_delay_alu instid0(VALU_DEP_1)
	v_mad_u32 v38, v36, v45, v43
	v_add_nc_u64_e32 v[36:37], s[12:13], v[18:19]
	global_store_b32 v[36:37], v38, off
	s_wait_xcnt 0x0
	s_or_b32 exec_lo, exec_lo, s2
	s_and_saveexec_b32 s2, s4
	s_cbranch_execz .LBB24_3
.LBB24_27:                              ;   in Loop: Header=BB24_4 Depth=1
	s_wait_loadcnt 0x0
	v_mul_lo_u32 v36, v44, s22
	s_delay_alu instid0(VALU_DEP_1)
	v_mad_u32 v38, v36, v47, v46
	v_add_nc_u64_e32 v[36:37], s[12:13], v[24:25]
	global_store_b32 v[36:37], v38, off
	s_branch .LBB24_3
.LBB24_28:
	s_mov_b32 s2, 0
.LBB24_29:
	s_delay_alu instid0(SALU_CYCLE_1)
	s_and_not1_b32 vcc_lo, exec_lo, s2
	s_cbranch_vccnz .LBB24_33
; %bb.30:
	v_min_i64 v[2:3], 0x10000, s[14:15]
	v_dual_mov_b32 v5, 0 :: v_dual_lshlrev_b32 v4, 2, v0
	s_mov_b32 s2, exec_lo
	s_delay_alu instid0(VALU_DEP_1)
	v_cmpx_lt_i64_e64 v[4:5], v[2:3]
	s_cbranch_execz .LBB24_33
; %bb.31:
	s_load_b32 s0, s[0:1], 0xc5c
	v_dual_mov_b32 v1, v5 :: v_dual_lshlrev_b32 v4, 4, v0
	s_wait_xcnt 0x0
	s_mov_b32 s1, 0
	s_mov_b32 s14, s22
	s_add_nc_u64 s[2:3], s[10:11], 8
	v_add_nc_u64_e32 v[4:5], s[12:13], v[4:5]
	s_add_nc_u64 s[4:5], s[8:9], 8
	s_mov_b32 s9, s1
	s_mov_b32 s10, s1
	s_wait_kmcnt 0x0
	s_and_b32 s0, s0, 0xffff
	s_delay_alu instid0(SALU_CYCLE_1)
	s_lshl_b32 s8, s0, 4
.LBB24_32:                              ; =>This Inner Loop Header: Depth=1
	v_add_nc_u64_e32 v[6:7], s[4:5], v[4:5]
	v_add_nc_u64_e32 v[18:19], s[2:3], v[4:5]
	;; [unrolled: 1-line block ×5, first 2 shown]
	global_load_b128 v[6:9], v[6:7], off offset:-8
	global_load_b128 v[10:13], v[18:19], off offset:-8
	global_load_b128 v[14:17], v[20:21], off
	s_wait_xcnt 0x0
	v_lshlrev_b64_e32 v[20:21], 2, v[0:1]
	s_delay_alu instid0(VALU_DEP_1)
	v_cmp_ge_i64_e32 vcc_lo, v[20:21], v[2:3]
	s_or_b32 s10, vcc_lo, s10
	s_wait_loadcnt 0x2
	v_mul_lo_u32 v7, v7, s14
	v_mul_lo_u32 v6, v6, s22
	;; [unrolled: 1-line block ×4, first 2 shown]
	s_wait_loadcnt 0x0
	s_delay_alu instid0(VALU_DEP_4) | instskip(NEXT) | instid1(VALU_DEP_4)
	v_mad_u32 v7, v7, v15, v11
	v_mad_u32 v6, v6, v14, v10
	s_delay_alu instid0(VALU_DEP_4) | instskip(NEXT) | instid1(VALU_DEP_4)
	v_mad_u32 v9, v9, v17, v13
	v_mad_u32 v8, v8, v16, v12
	global_store_b128 v[18:19], v[6:9], off offset:-8
	s_wait_xcnt 0x0
	s_and_not1_b32 exec_lo, exec_lo, s10
	s_cbranch_execnz .LBB24_32
.LBB24_33:
	s_endpgm
	.section	.rodata,"a",@progbits
	.p2align	6, 0x0
	.amdhsa_kernel _ZN2at6native12_GLOBAL__N_125multi_tensor_apply_kernelINS1_18TensorListMetadataILi3EEENS1_24PointwiseOpScalarFunctorIiLi3ELi3ELi0EEEJSt10multipliesIiEiEEEvT_T0_DpT1_
		.amdhsa_group_segment_fixed_size 0
		.amdhsa_private_segment_fixed_size 0
		.amdhsa_kernarg_size 3408
		.amdhsa_user_sgpr_count 2
		.amdhsa_user_sgpr_dispatch_ptr 0
		.amdhsa_user_sgpr_queue_ptr 0
		.amdhsa_user_sgpr_kernarg_segment_ptr 1
		.amdhsa_user_sgpr_dispatch_id 0
		.amdhsa_user_sgpr_kernarg_preload_length 0
		.amdhsa_user_sgpr_kernarg_preload_offset 0
		.amdhsa_user_sgpr_private_segment_size 0
		.amdhsa_wavefront_size32 1
		.amdhsa_uses_dynamic_stack 0
		.amdhsa_enable_private_segment 0
		.amdhsa_system_sgpr_workgroup_id_x 1
		.amdhsa_system_sgpr_workgroup_id_y 0
		.amdhsa_system_sgpr_workgroup_id_z 0
		.amdhsa_system_sgpr_workgroup_info 0
		.amdhsa_system_vgpr_workitem_id 0
		.amdhsa_next_free_vgpr 52
		.amdhsa_next_free_sgpr 23
		.amdhsa_named_barrier_count 0
		.amdhsa_reserve_vcc 1
		.amdhsa_float_round_mode_32 0
		.amdhsa_float_round_mode_16_64 0
		.amdhsa_float_denorm_mode_32 3
		.amdhsa_float_denorm_mode_16_64 3
		.amdhsa_fp16_overflow 0
		.amdhsa_memory_ordered 1
		.amdhsa_forward_progress 1
		.amdhsa_inst_pref_size 12
		.amdhsa_round_robin_scheduling 0
		.amdhsa_exception_fp_ieee_invalid_op 0
		.amdhsa_exception_fp_denorm_src 0
		.amdhsa_exception_fp_ieee_div_zero 0
		.amdhsa_exception_fp_ieee_overflow 0
		.amdhsa_exception_fp_ieee_underflow 0
		.amdhsa_exception_fp_ieee_inexact 0
		.amdhsa_exception_int_div_zero 0
	.end_amdhsa_kernel
	.section	.text._ZN2at6native12_GLOBAL__N_125multi_tensor_apply_kernelINS1_18TensorListMetadataILi3EEENS1_24PointwiseOpScalarFunctorIiLi3ELi3ELi0EEEJSt10multipliesIiEiEEEvT_T0_DpT1_,"axG",@progbits,_ZN2at6native12_GLOBAL__N_125multi_tensor_apply_kernelINS1_18TensorListMetadataILi3EEENS1_24PointwiseOpScalarFunctorIiLi3ELi3ELi0EEEJSt10multipliesIiEiEEEvT_T0_DpT1_,comdat
.Lfunc_end24:
	.size	_ZN2at6native12_GLOBAL__N_125multi_tensor_apply_kernelINS1_18TensorListMetadataILi3EEENS1_24PointwiseOpScalarFunctorIiLi3ELi3ELi0EEEJSt10multipliesIiEiEEEvT_T0_DpT1_, .Lfunc_end24-_ZN2at6native12_GLOBAL__N_125multi_tensor_apply_kernelINS1_18TensorListMetadataILi3EEENS1_24PointwiseOpScalarFunctorIiLi3ELi3ELi0EEEJSt10multipliesIiEiEEEvT_T0_DpT1_
                                        ; -- End function
	.set _ZN2at6native12_GLOBAL__N_125multi_tensor_apply_kernelINS1_18TensorListMetadataILi3EEENS1_24PointwiseOpScalarFunctorIiLi3ELi3ELi0EEEJSt10multipliesIiEiEEEvT_T0_DpT1_.num_vgpr, 52
	.set _ZN2at6native12_GLOBAL__N_125multi_tensor_apply_kernelINS1_18TensorListMetadataILi3EEENS1_24PointwiseOpScalarFunctorIiLi3ELi3ELi0EEEJSt10multipliesIiEiEEEvT_T0_DpT1_.num_agpr, 0
	.set _ZN2at6native12_GLOBAL__N_125multi_tensor_apply_kernelINS1_18TensorListMetadataILi3EEENS1_24PointwiseOpScalarFunctorIiLi3ELi3ELi0EEEJSt10multipliesIiEiEEEvT_T0_DpT1_.numbered_sgpr, 23
	.set _ZN2at6native12_GLOBAL__N_125multi_tensor_apply_kernelINS1_18TensorListMetadataILi3EEENS1_24PointwiseOpScalarFunctorIiLi3ELi3ELi0EEEJSt10multipliesIiEiEEEvT_T0_DpT1_.num_named_barrier, 0
	.set _ZN2at6native12_GLOBAL__N_125multi_tensor_apply_kernelINS1_18TensorListMetadataILi3EEENS1_24PointwiseOpScalarFunctorIiLi3ELi3ELi0EEEJSt10multipliesIiEiEEEvT_T0_DpT1_.private_seg_size, 0
	.set _ZN2at6native12_GLOBAL__N_125multi_tensor_apply_kernelINS1_18TensorListMetadataILi3EEENS1_24PointwiseOpScalarFunctorIiLi3ELi3ELi0EEEJSt10multipliesIiEiEEEvT_T0_DpT1_.uses_vcc, 1
	.set _ZN2at6native12_GLOBAL__N_125multi_tensor_apply_kernelINS1_18TensorListMetadataILi3EEENS1_24PointwiseOpScalarFunctorIiLi3ELi3ELi0EEEJSt10multipliesIiEiEEEvT_T0_DpT1_.uses_flat_scratch, 0
	.set _ZN2at6native12_GLOBAL__N_125multi_tensor_apply_kernelINS1_18TensorListMetadataILi3EEENS1_24PointwiseOpScalarFunctorIiLi3ELi3ELi0EEEJSt10multipliesIiEiEEEvT_T0_DpT1_.has_dyn_sized_stack, 0
	.set _ZN2at6native12_GLOBAL__N_125multi_tensor_apply_kernelINS1_18TensorListMetadataILi3EEENS1_24PointwiseOpScalarFunctorIiLi3ELi3ELi0EEEJSt10multipliesIiEiEEEvT_T0_DpT1_.has_recursion, 0
	.set _ZN2at6native12_GLOBAL__N_125multi_tensor_apply_kernelINS1_18TensorListMetadataILi3EEENS1_24PointwiseOpScalarFunctorIiLi3ELi3ELi0EEEJSt10multipliesIiEiEEEvT_T0_DpT1_.has_indirect_call, 0
	.section	.AMDGPU.csdata,"",@progbits
; Kernel info:
; codeLenInByte = 1516
; TotalNumSgprs: 25
; NumVgprs: 52
; ScratchSize: 0
; MemoryBound: 0
; FloatMode: 240
; IeeeMode: 1
; LDSByteSize: 0 bytes/workgroup (compile time only)
; SGPRBlocks: 0
; VGPRBlocks: 3
; NumSGPRsForWavesPerEU: 25
; NumVGPRsForWavesPerEU: 52
; NamedBarCnt: 0
; Occupancy: 16
; WaveLimiterHint : 0
; COMPUTE_PGM_RSRC2:SCRATCH_EN: 0
; COMPUTE_PGM_RSRC2:USER_SGPR: 2
; COMPUTE_PGM_RSRC2:TRAP_HANDLER: 0
; COMPUTE_PGM_RSRC2:TGID_X_EN: 1
; COMPUTE_PGM_RSRC2:TGID_Y_EN: 0
; COMPUTE_PGM_RSRC2:TGID_Z_EN: 0
; COMPUTE_PGM_RSRC2:TIDIG_COMP_CNT: 0
	.section	.text._ZN2at6native12_GLOBAL__N_125multi_tensor_apply_kernelINS1_18TensorListMetadataILi3EEENS1_24PointwiseOpScalarFunctorIlLi3ELi3ELi0EEEJSt10multipliesIlElEEEvT_T0_DpT1_,"axG",@progbits,_ZN2at6native12_GLOBAL__N_125multi_tensor_apply_kernelINS1_18TensorListMetadataILi3EEENS1_24PointwiseOpScalarFunctorIlLi3ELi3ELi0EEEJSt10multipliesIlElEEEvT_T0_DpT1_,comdat
	.globl	_ZN2at6native12_GLOBAL__N_125multi_tensor_apply_kernelINS1_18TensorListMetadataILi3EEENS1_24PointwiseOpScalarFunctorIlLi3ELi3ELi0EEEJSt10multipliesIlElEEEvT_T0_DpT1_ ; -- Begin function _ZN2at6native12_GLOBAL__N_125multi_tensor_apply_kernelINS1_18TensorListMetadataILi3EEENS1_24PointwiseOpScalarFunctorIlLi3ELi3ELi0EEEJSt10multipliesIlElEEEvT_T0_DpT1_
	.p2align	8
	.type	_ZN2at6native12_GLOBAL__N_125multi_tensor_apply_kernelINS1_18TensorListMetadataILi3EEENS1_24PointwiseOpScalarFunctorIlLi3ELi3ELi0EEEJSt10multipliesIlElEEEvT_T0_DpT1_,@function
_ZN2at6native12_GLOBAL__N_125multi_tensor_apply_kernelINS1_18TensorListMetadataILi3EEENS1_24PointwiseOpScalarFunctorIlLi3ELi3ELi0EEEJSt10multipliesIlElEEEvT_T0_DpT1_: ; @_ZN2at6native12_GLOBAL__N_125multi_tensor_apply_kernelINS1_18TensorListMetadataILi3EEENS1_24PointwiseOpScalarFunctorIlLi3ELi3ELi0EEEJSt10multipliesIlElEEEvT_T0_DpT1_
; %bb.0:
	s_bfe_u32 s2, ttmp6, 0x4000c
	s_and_b32 s3, ttmp6, 15
	s_add_co_i32 s2, s2, 1
	s_getreg_b32 s4, hwreg(HW_REG_IB_STS2, 6, 4)
	s_mul_i32 s2, ttmp9, s2
	s_mov_b32 s17, 0
	s_add_co_i32 s3, s3, s2
	s_cmp_eq_u32 s4, 0
	s_load_b64 s[10:11], s[0:1], 0xc50
	s_cselect_b32 s16, ttmp9, s3
	s_delay_alu instid0(SALU_CYCLE_1) | instskip(SKIP_1) | instid1(SALU_CYCLE_1)
	s_add_nc_u64 s[2:3], s[0:1], s[16:17]
	s_mul_u64 s[4:5], s[16:17], 3
	s_add_nc_u64 s[2:3], s[2:3], s[4:5]
	s_clause 0x1
	s_load_b32 s20, s[2:3], 0x740
	s_load_u8 s6, s[0:1], s16 offset:0x600
	s_wait_kmcnt 0x0
	s_clause 0x3
	s_load_b64 s[2:3], s[0:1], s6 offset:0x180 scale_offset
	s_load_b64 s[4:5], s[0:1], s6 offset:0x300 scale_offset
	;; [unrolled: 1-line block ×4, first 2 shown]
	s_ashr_i32 s21, s20, 31
	s_delay_alu instid0(SALU_CYCLE_1)
	s_lshl_b64 s[14:15], s[20:21], 19
	s_wait_kmcnt 0x0
	s_add_nc_u64 s[6:7], s[2:3], s[14:15]
	s_add_nc_u64 s[8:9], s[4:5], s[14:15]
	s_add_nc_u64 s[12:13], s[18:19], s[14:15]
	s_or_b32 s16, s8, s6
	s_and_b64 s[24:25], s[12:13], 31
	s_and_b32 s16, s16, 31
	s_delay_alu instid0(SALU_CYCLE_1) | instskip(SKIP_4) | instid1(SALU_CYCLE_1)
	s_cmp_eq_u32 s16, 0
	s_cselect_b32 s26, -1, 0
	s_and_b32 s16, s22, 3
	s_lshl_b64 s[20:21], s[20:21], 16
	s_or_b64 s[16:17], s[24:25], s[16:17]
	s_cmp_eq_u64 s[16:17], 0
	s_cselect_b32 s16, -1, 0
	s_delay_alu instid0(SALU_CYCLE_1)
	s_and_b32 s24, s26, s16
	s_sub_nc_u64 s[16:17], s[22:23], s[20:21]
	s_and_b32 vcc_lo, exec_lo, s24
	s_mov_b32 s20, -1
	s_cbranch_vccnz .LBB25_29
; %bb.1:
	v_cmp_lt_i64_e64 s20, s[16:17], 1
	s_and_b32 vcc_lo, exec_lo, s20
	s_cbranch_vccnz .LBB25_28
; %bb.2:
	s_load_b32 s20, s[0:1], 0xc64
	v_min_i64 v[2:3], 0x10000, s[16:17]
	v_min_u64 v[4:5], 0x10000, s[16:17]
	v_dual_mov_b32 v1, 0 :: v_dual_lshlrev_b32 v12, 3, v0
	s_mov_b32 s21, 0
	s_delay_alu instid0(SALU_CYCLE_1) | instskip(NEXT) | instid1(VALU_DEP_1)
	s_mov_b32 s27, s21
	v_dual_mov_b32 v13, v1 :: v_dual_mov_b32 v35, v1
	s_mov_b32 s23, s21
	s_mov_b32 s25, s21
	s_delay_alu instid0(VALU_DEP_1) | instskip(SKIP_3) | instid1(SALU_CYCLE_1)
	v_add_nc_u64_e32 v[6:7], s[18:19], v[12:13]
	v_add_nc_u64_e32 v[8:9], s[2:3], v[12:13]
	s_wait_kmcnt 0x0
	s_and_b32 s20, s20, 0xffff
	v_add_nc_u64_e32 v[10:11], s[20:21], v[0:1]
	v_mad_nc_u64_u32 v[28:29], s20, 24, v[12:13]
	s_lshl_b32 s26, s20, 4
	s_mul_i32 s24, s20, 3
	v_add_nc_u64_e32 v[22:23], s[26:27], v[12:13]
	s_lshl_b32 s22, s20, 1
	v_add_nc_u64_e32 v[12:13], s[4:5], v[12:13]
	v_lshlrev_b32_e32 v34, 3, v10
	v_add_nc_u64_e32 v[14:15], s[24:25], v[0:1]
	v_add_nc_u64_e32 v[16:17], s[22:23], v[0:1]
	s_mov_b64 s[22:23], 0
	v_add_nc_u64_e32 v[18:19], s[18:19], v[22:23]
	v_add_nc_u64_e32 v[20:21], s[2:3], v[22:23]
	;; [unrolled: 1-line block ×9, first 2 shown]
	s_lshl_b32 s18, s20, 2
	s_mov_b32 s19, s21
	s_lshl_b32 s20, s20, 5
	s_branch .LBB25_4
.LBB25_3:                               ;   in Loop: Header=BB25_4 Depth=1
	s_wait_xcnt 0x0
	s_or_b32 exec_lo, exec_lo, s2
	s_add_nc_u64 s[22:23], s[22:23], s[18:19]
	v_add_nc_u64_e32 v[6:7], s[20:21], v[6:7]
	v_cmp_lt_i64_e32 vcc_lo, s[22:23], v[2:3]
	v_add_nc_u64_e32 v[8:9], s[20:21], v[8:9]
	v_add_nc_u64_e32 v[12:13], s[20:21], v[12:13]
	;; [unrolled: 1-line block ×11, first 2 shown]
	s_cbranch_vccz .LBB25_28
.LBB25_4:                               ; =>This Inner Loop Header: Depth=1
	s_wait_loadcnt 0x1
	v_add_nc_u64_e32 v[40:41], s[22:23], v[0:1]
	s_wait_loadcnt 0x0
	v_mov_b64_e32 v[36:37], 0
	v_mov_b64_e32 v[38:39], 0
	s_delay_alu instid0(VALU_DEP_3)
	v_cmp_lt_u64_e32 vcc_lo, v[40:41], v[4:5]
	v_mov_b64_e32 v[40:41], 0
	s_and_saveexec_b32 s2, vcc_lo
	s_cbranch_execz .LBB25_6
; %bb.5:                                ;   in Loop: Header=BB25_4 Depth=1
	v_add_nc_u64_e32 v[42:43], s[14:15], v[6:7]
	v_add_nc_u64_e32 v[44:45], s[14:15], v[8:9]
	global_load_b64 v[40:41], v[42:43], off
	global_load_b64 v[38:39], v[44:45], off
.LBB25_6:                               ;   in Loop: Header=BB25_4 Depth=1
	s_wait_xcnt 0x0
	s_or_b32 exec_lo, exec_lo, s2
	s_and_saveexec_b32 s2, vcc_lo
	s_cbranch_execz .LBB25_8
; %bb.7:                                ;   in Loop: Header=BB25_4 Depth=1
	v_add_nc_u64_e32 v[36:37], s[14:15], v[12:13]
	global_load_b64 v[36:37], v[36:37], off
.LBB25_8:                               ;   in Loop: Header=BB25_4 Depth=1
	s_wait_xcnt 0x0
	s_or_b32 exec_lo, exec_lo, s2
	v_add_nc_u64_e32 v[46:47], s[22:23], v[10:11]
	v_mov_b64_e32 v[42:43], 0
	v_mov_b64_e32 v[44:45], 0
	s_delay_alu instid0(VALU_DEP_3)
	v_cmp_lt_u64_e64 s2, v[46:47], v[4:5]
	v_mov_b64_e32 v[46:47], 0
	s_and_saveexec_b32 s3, s2
	s_cbranch_execz .LBB25_10
; %bb.9:                                ;   in Loop: Header=BB25_4 Depth=1
	v_add_nc_u64_e32 v[48:49], s[14:15], v[30:31]
	v_add_nc_u64_e32 v[50:51], s[14:15], v[32:33]
	global_load_b64 v[46:47], v[48:49], off
	global_load_b64 v[44:45], v[50:51], off
.LBB25_10:                              ;   in Loop: Header=BB25_4 Depth=1
	s_wait_xcnt 0x0
	s_or_b32 exec_lo, exec_lo, s3
	s_and_saveexec_b32 s3, s2
	s_cbranch_execz .LBB25_12
; %bb.11:                               ;   in Loop: Header=BB25_4 Depth=1
	v_add_nc_u64_e32 v[42:43], s[14:15], v[34:35]
	global_load_b64 v[42:43], v[42:43], off
.LBB25_12:                              ;   in Loop: Header=BB25_4 Depth=1
	s_wait_xcnt 0x0
	s_or_b32 exec_lo, exec_lo, s3
	v_add_nc_u64_e32 v[52:53], s[22:23], v[16:17]
	v_mov_b64_e32 v[48:49], 0
	v_mov_b64_e32 v[50:51], 0
	s_delay_alu instid0(VALU_DEP_3)
	v_cmp_lt_u64_e64 s3, v[52:53], v[4:5]
	v_mov_b64_e32 v[52:53], 0
	s_and_saveexec_b32 s4, s3
	s_cbranch_execz .LBB25_14
; %bb.13:                               ;   in Loop: Header=BB25_4 Depth=1
	v_add_nc_u64_e32 v[54:55], s[14:15], v[18:19]
	v_add_nc_u64_e32 v[56:57], s[14:15], v[20:21]
	global_load_b64 v[52:53], v[54:55], off
	global_load_b64 v[50:51], v[56:57], off
.LBB25_14:                              ;   in Loop: Header=BB25_4 Depth=1
	s_wait_xcnt 0x0
	s_or_b32 exec_lo, exec_lo, s4
	s_and_saveexec_b32 s4, s3
	s_cbranch_execz .LBB25_16
; %bb.15:                               ;   in Loop: Header=BB25_4 Depth=1
	v_add_nc_u64_e32 v[48:49], s[14:15], v[22:23]
	global_load_b64 v[48:49], v[48:49], off
.LBB25_16:                              ;   in Loop: Header=BB25_4 Depth=1
	s_wait_xcnt 0x0
	s_or_b32 exec_lo, exec_lo, s4
	v_add_nc_u64_e32 v[58:59], s[22:23], v[14:15]
	v_mov_b64_e32 v[54:55], 0
	v_mov_b64_e32 v[56:57], 0
	s_delay_alu instid0(VALU_DEP_3)
	v_cmp_lt_u64_e64 s4, v[58:59], v[4:5]
	v_mov_b64_e32 v[58:59], 0
	s_and_saveexec_b32 s5, s4
	s_cbranch_execnz .LBB25_22
; %bb.17:                               ;   in Loop: Header=BB25_4 Depth=1
	s_or_b32 exec_lo, exec_lo, s5
	s_and_saveexec_b32 s5, s4
	s_cbranch_execnz .LBB25_23
.LBB25_18:                              ;   in Loop: Header=BB25_4 Depth=1
	s_or_b32 exec_lo, exec_lo, s5
	s_and_saveexec_b32 s5, vcc_lo
	s_cbranch_execnz .LBB25_24
.LBB25_19:                              ;   in Loop: Header=BB25_4 Depth=1
	s_or_b32 exec_lo, exec_lo, s5
	s_and_saveexec_b32 s5, s2
	s_cbranch_execnz .LBB25_25
.LBB25_20:                              ;   in Loop: Header=BB25_4 Depth=1
	s_or_b32 exec_lo, exec_lo, s5
	s_and_saveexec_b32 s2, s3
	s_cbranch_execnz .LBB25_26
.LBB25_21:                              ;   in Loop: Header=BB25_4 Depth=1
	s_or_b32 exec_lo, exec_lo, s2
	s_and_saveexec_b32 s2, s4
	s_cbranch_execz .LBB25_3
	s_branch .LBB25_27
.LBB25_22:                              ;   in Loop: Header=BB25_4 Depth=1
	v_add_nc_u64_e32 v[60:61], s[14:15], v[24:25]
	v_add_nc_u64_e32 v[62:63], s[14:15], v[26:27]
	global_load_b64 v[58:59], v[60:61], off
	global_load_b64 v[56:57], v[62:63], off
	s_wait_xcnt 0x0
	s_or_b32 exec_lo, exec_lo, s5
	s_and_saveexec_b32 s5, s4
	s_cbranch_execz .LBB25_18
.LBB25_23:                              ;   in Loop: Header=BB25_4 Depth=1
	v_add_nc_u64_e32 v[54:55], s[14:15], v[28:29]
	global_load_b64 v[54:55], v[54:55], off
	s_wait_xcnt 0x0
	s_or_b32 exec_lo, exec_lo, s5
	s_and_saveexec_b32 s5, vcc_lo
	s_cbranch_execz .LBB25_19
.LBB25_24:                              ;   in Loop: Header=BB25_4 Depth=1
	s_wait_loadcnt 0x0
	v_mul_u64_e32 v[38:39], s[10:11], v[38:39]
	s_delay_alu instid0(VALU_DEP_1) | instskip(NEXT) | instid1(VALU_DEP_1)
	v_mad_nc_u64_u32 v[40:41], v38, v36, v[40:41]
	v_mad_u32 v36, v39, v36, v41
	s_delay_alu instid0(VALU_DEP_1)
	v_mad_u32 v41, v38, v37, v36
	v_add_nc_u64_e32 v[36:37], s[14:15], v[6:7]
	global_store_b64 v[36:37], v[40:41], off
	s_wait_xcnt 0x0
	s_or_b32 exec_lo, exec_lo, s5
	s_and_saveexec_b32 s5, s2
	s_cbranch_execz .LBB25_20
.LBB25_25:                              ;   in Loop: Header=BB25_4 Depth=1
	s_wait_loadcnt 0x0
	v_mul_u64_e32 v[36:37], s[10:11], v[44:45]
	s_delay_alu instid0(VALU_DEP_1) | instskip(NEXT) | instid1(VALU_DEP_1)
	v_mad_nc_u64_u32 v[38:39], v36, v42, v[46:47]
	v_mad_u32 v37, v37, v42, v39
	s_delay_alu instid0(VALU_DEP_1)
	v_mad_u32 v39, v36, v43, v37
	v_add_nc_u64_e32 v[36:37], s[14:15], v[30:31]
	global_store_b64 v[36:37], v[38:39], off
	s_wait_xcnt 0x0
	s_or_b32 exec_lo, exec_lo, s5
	s_and_saveexec_b32 s2, s3
	s_cbranch_execz .LBB25_21
.LBB25_26:                              ;   in Loop: Header=BB25_4 Depth=1
	s_wait_loadcnt 0x0
	v_mul_u64_e32 v[36:37], s[10:11], v[50:51]
	s_delay_alu instid0(VALU_DEP_1) | instskip(NEXT) | instid1(VALU_DEP_1)
	v_mad_nc_u64_u32 v[38:39], v36, v48, v[52:53]
	v_mad_u32 v37, v37, v48, v39
	s_delay_alu instid0(VALU_DEP_1)
	v_mad_u32 v39, v36, v49, v37
	v_add_nc_u64_e32 v[36:37], s[14:15], v[18:19]
	global_store_b64 v[36:37], v[38:39], off
	s_wait_xcnt 0x0
	s_or_b32 exec_lo, exec_lo, s2
	s_and_saveexec_b32 s2, s4
	s_cbranch_execz .LBB25_3
.LBB25_27:                              ;   in Loop: Header=BB25_4 Depth=1
	s_wait_loadcnt 0x0
	v_mul_u64_e32 v[36:37], s[10:11], v[56:57]
	s_delay_alu instid0(VALU_DEP_1) | instskip(NEXT) | instid1(VALU_DEP_1)
	v_mad_nc_u64_u32 v[38:39], v36, v54, v[58:59]
	v_mad_u32 v37, v37, v54, v39
	s_delay_alu instid0(VALU_DEP_1)
	v_mad_u32 v39, v36, v55, v37
	v_add_nc_u64_e32 v[36:37], s[14:15], v[24:25]
	global_store_b64 v[36:37], v[38:39], off
	s_branch .LBB25_3
.LBB25_28:
	s_mov_b32 s20, 0
.LBB25_29:
	s_delay_alu instid0(SALU_CYCLE_1)
	s_and_not1_b32 vcc_lo, exec_lo, s20
	s_cbranch_vccnz .LBB25_33
; %bb.30:
	v_min_i64 v[2:3], 0x10000, s[16:17]
	v_dual_mov_b32 v5, 0 :: v_dual_lshlrev_b32 v4, 2, v0
	s_mov_b32 s2, exec_lo
	s_delay_alu instid0(VALU_DEP_1)
	v_cmpx_lt_i64_e64 v[4:5], v[2:3]
	s_cbranch_execz .LBB25_33
; %bb.31:
	s_load_b32 s0, s[0:1], 0xc64
	v_dual_mov_b32 v1, v5 :: v_dual_lshlrev_b32 v4, 5, v0
	s_wait_xcnt 0x0
	s_mov_b32 s1, 0
	s_delay_alu instid0(SALU_CYCLE_1) | instskip(SKIP_3) | instid1(SALU_CYCLE_1)
	s_mov_b32 s3, s1
	s_mov_b32 s4, s1
	s_wait_kmcnt 0x0
	s_and_b32 s0, s0, 0xffff
	s_lshl_b32 s2, s0, 5
.LBB25_32:                              ; =>This Inner Loop Header: Depth=1
	v_add_nc_u64_e32 v[14:15], s[6:7], v[4:5]
	v_add_nc_u64_e32 v[30:31], s[8:9], v[4:5]
	;; [unrolled: 1-line block ×4, first 2 shown]
	s_add_nc_u64 s[8:9], s[8:9], s[2:3]
	s_add_nc_u64 s[12:13], s[12:13], s[2:3]
	;; [unrolled: 1-line block ×3, first 2 shown]
	s_clause 0x1
	global_load_b128 v[6:9], v[14:15], off
	global_load_b128 v[10:13], v[14:15], off offset:16
	global_load_b128 v[14:17], v[30:31], off
	s_clause 0x1
	global_load_b128 v[18:21], v[32:33], off
	global_load_b128 v[22:25], v[32:33], off offset:16
	global_load_b128 v[26:29], v[30:31], off offset:16
	s_wait_loadcnt 0x5
	s_wait_xcnt 0x0
	v_mul_u64_e32 v[30:31], s[10:11], v[6:7]
	v_mul_u64_e32 v[34:35], s[10:11], v[8:9]
	s_wait_loadcnt 0x4
	v_mul_u64_e32 v[36:37], s[10:11], v[10:11]
	v_mul_u64_e32 v[38:39], s[10:11], v[12:13]
	s_wait_loadcnt 0x2
	s_delay_alu instid0(VALU_DEP_4) | instskip(NEXT) | instid1(VALU_DEP_4)
	v_mad_nc_u64_u32 v[6:7], v30, v14, v[18:19]
	v_mad_nc_u64_u32 v[8:9], v34, v16, v[20:21]
	s_wait_loadcnt 0x0
	s_delay_alu instid0(VALU_DEP_4) | instskip(NEXT) | instid1(VALU_DEP_4)
	v_mad_nc_u64_u32 v[10:11], v36, v26, v[22:23]
	v_mad_nc_u64_u32 v[12:13], v38, v28, v[24:25]
	v_lshlrev_b64_e32 v[18:19], 2, v[0:1]
	s_delay_alu instid0(VALU_DEP_1)
	v_cmp_ge_i64_e32 vcc_lo, v[18:19], v[2:3]
	v_mad_u32 v7, v31, v14, v7
	v_mad_u32 v9, v35, v16, v9
	;; [unrolled: 1-line block ×4, first 2 shown]
	s_or_b32 s4, vcc_lo, s4
	s_delay_alu instid0(VALU_DEP_4) | instskip(NEXT) | instid1(VALU_DEP_4)
	v_mad_u32 v7, v30, v15, v7
	v_mad_u32 v9, v34, v17, v9
	s_delay_alu instid0(VALU_DEP_4) | instskip(NEXT) | instid1(VALU_DEP_4)
	v_mad_u32 v11, v36, v27, v11
	v_mad_u32 v13, v38, v29, v13
	s_clause 0x1
	global_store_b128 v[32:33], v[6:9], off
	global_store_b128 v[32:33], v[10:13], off offset:16
	s_wait_xcnt 0x0
	s_and_not1_b32 exec_lo, exec_lo, s4
	s_cbranch_execnz .LBB25_32
.LBB25_33:
	s_endpgm
	.section	.rodata,"a",@progbits
	.p2align	6, 0x0
	.amdhsa_kernel _ZN2at6native12_GLOBAL__N_125multi_tensor_apply_kernelINS1_18TensorListMetadataILi3EEENS1_24PointwiseOpScalarFunctorIlLi3ELi3ELi0EEEJSt10multipliesIlElEEEvT_T0_DpT1_
		.amdhsa_group_segment_fixed_size 0
		.amdhsa_private_segment_fixed_size 0
		.amdhsa_kernarg_size 3416
		.amdhsa_user_sgpr_count 2
		.amdhsa_user_sgpr_dispatch_ptr 0
		.amdhsa_user_sgpr_queue_ptr 0
		.amdhsa_user_sgpr_kernarg_segment_ptr 1
		.amdhsa_user_sgpr_dispatch_id 0
		.amdhsa_user_sgpr_kernarg_preload_length 0
		.amdhsa_user_sgpr_kernarg_preload_offset 0
		.amdhsa_user_sgpr_private_segment_size 0
		.amdhsa_wavefront_size32 1
		.amdhsa_uses_dynamic_stack 0
		.amdhsa_enable_private_segment 0
		.amdhsa_system_sgpr_workgroup_id_x 1
		.amdhsa_system_sgpr_workgroup_id_y 0
		.amdhsa_system_sgpr_workgroup_id_z 0
		.amdhsa_system_sgpr_workgroup_info 0
		.amdhsa_system_vgpr_workitem_id 0
		.amdhsa_next_free_vgpr 64
		.amdhsa_next_free_sgpr 28
		.amdhsa_named_barrier_count 0
		.amdhsa_reserve_vcc 1
		.amdhsa_float_round_mode_32 0
		.amdhsa_float_round_mode_16_64 0
		.amdhsa_float_denorm_mode_32 3
		.amdhsa_float_denorm_mode_16_64 3
		.amdhsa_fp16_overflow 0
		.amdhsa_memory_ordered 1
		.amdhsa_forward_progress 1
		.amdhsa_inst_pref_size 14
		.amdhsa_round_robin_scheduling 0
		.amdhsa_exception_fp_ieee_invalid_op 0
		.amdhsa_exception_fp_denorm_src 0
		.amdhsa_exception_fp_ieee_div_zero 0
		.amdhsa_exception_fp_ieee_overflow 0
		.amdhsa_exception_fp_ieee_underflow 0
		.amdhsa_exception_fp_ieee_inexact 0
		.amdhsa_exception_int_div_zero 0
	.end_amdhsa_kernel
	.section	.text._ZN2at6native12_GLOBAL__N_125multi_tensor_apply_kernelINS1_18TensorListMetadataILi3EEENS1_24PointwiseOpScalarFunctorIlLi3ELi3ELi0EEEJSt10multipliesIlElEEEvT_T0_DpT1_,"axG",@progbits,_ZN2at6native12_GLOBAL__N_125multi_tensor_apply_kernelINS1_18TensorListMetadataILi3EEENS1_24PointwiseOpScalarFunctorIlLi3ELi3ELi0EEEJSt10multipliesIlElEEEvT_T0_DpT1_,comdat
.Lfunc_end25:
	.size	_ZN2at6native12_GLOBAL__N_125multi_tensor_apply_kernelINS1_18TensorListMetadataILi3EEENS1_24PointwiseOpScalarFunctorIlLi3ELi3ELi0EEEJSt10multipliesIlElEEEvT_T0_DpT1_, .Lfunc_end25-_ZN2at6native12_GLOBAL__N_125multi_tensor_apply_kernelINS1_18TensorListMetadataILi3EEENS1_24PointwiseOpScalarFunctorIlLi3ELi3ELi0EEEJSt10multipliesIlElEEEvT_T0_DpT1_
                                        ; -- End function
	.set _ZN2at6native12_GLOBAL__N_125multi_tensor_apply_kernelINS1_18TensorListMetadataILi3EEENS1_24PointwiseOpScalarFunctorIlLi3ELi3ELi0EEEJSt10multipliesIlElEEEvT_T0_DpT1_.num_vgpr, 64
	.set _ZN2at6native12_GLOBAL__N_125multi_tensor_apply_kernelINS1_18TensorListMetadataILi3EEENS1_24PointwiseOpScalarFunctorIlLi3ELi3ELi0EEEJSt10multipliesIlElEEEvT_T0_DpT1_.num_agpr, 0
	.set _ZN2at6native12_GLOBAL__N_125multi_tensor_apply_kernelINS1_18TensorListMetadataILi3EEENS1_24PointwiseOpScalarFunctorIlLi3ELi3ELi0EEEJSt10multipliesIlElEEEvT_T0_DpT1_.numbered_sgpr, 28
	.set _ZN2at6native12_GLOBAL__N_125multi_tensor_apply_kernelINS1_18TensorListMetadataILi3EEENS1_24PointwiseOpScalarFunctorIlLi3ELi3ELi0EEEJSt10multipliesIlElEEEvT_T0_DpT1_.num_named_barrier, 0
	.set _ZN2at6native12_GLOBAL__N_125multi_tensor_apply_kernelINS1_18TensorListMetadataILi3EEENS1_24PointwiseOpScalarFunctorIlLi3ELi3ELi0EEEJSt10multipliesIlElEEEvT_T0_DpT1_.private_seg_size, 0
	.set _ZN2at6native12_GLOBAL__N_125multi_tensor_apply_kernelINS1_18TensorListMetadataILi3EEENS1_24PointwiseOpScalarFunctorIlLi3ELi3ELi0EEEJSt10multipliesIlElEEEvT_T0_DpT1_.uses_vcc, 1
	.set _ZN2at6native12_GLOBAL__N_125multi_tensor_apply_kernelINS1_18TensorListMetadataILi3EEENS1_24PointwiseOpScalarFunctorIlLi3ELi3ELi0EEEJSt10multipliesIlElEEEvT_T0_DpT1_.uses_flat_scratch, 0
	.set _ZN2at6native12_GLOBAL__N_125multi_tensor_apply_kernelINS1_18TensorListMetadataILi3EEENS1_24PointwiseOpScalarFunctorIlLi3ELi3ELi0EEEJSt10multipliesIlElEEEvT_T0_DpT1_.has_dyn_sized_stack, 0
	.set _ZN2at6native12_GLOBAL__N_125multi_tensor_apply_kernelINS1_18TensorListMetadataILi3EEENS1_24PointwiseOpScalarFunctorIlLi3ELi3ELi0EEEJSt10multipliesIlElEEEvT_T0_DpT1_.has_recursion, 0
	.set _ZN2at6native12_GLOBAL__N_125multi_tensor_apply_kernelINS1_18TensorListMetadataILi3EEENS1_24PointwiseOpScalarFunctorIlLi3ELi3ELi0EEEJSt10multipliesIlElEEEvT_T0_DpT1_.has_indirect_call, 0
	.section	.AMDGPU.csdata,"",@progbits
; Kernel info:
; codeLenInByte = 1708
; TotalNumSgprs: 30
; NumVgprs: 64
; ScratchSize: 0
; MemoryBound: 0
; FloatMode: 240
; IeeeMode: 1
; LDSByteSize: 0 bytes/workgroup (compile time only)
; SGPRBlocks: 0
; VGPRBlocks: 3
; NumSGPRsForWavesPerEU: 30
; NumVGPRsForWavesPerEU: 64
; NamedBarCnt: 0
; Occupancy: 16
; WaveLimiterHint : 0
; COMPUTE_PGM_RSRC2:SCRATCH_EN: 0
; COMPUTE_PGM_RSRC2:USER_SGPR: 2
; COMPUTE_PGM_RSRC2:TRAP_HANDLER: 0
; COMPUTE_PGM_RSRC2:TGID_X_EN: 1
; COMPUTE_PGM_RSRC2:TGID_Y_EN: 0
; COMPUTE_PGM_RSRC2:TGID_Z_EN: 0
; COMPUTE_PGM_RSRC2:TIDIG_COMP_CNT: 0
	.section	.text._ZN2at6native12_GLOBAL__N_125multi_tensor_apply_kernelINS1_18TensorListMetadataILi3EEENS1_24PointwiseOpScalarFunctorIsLi3ELi3ELi0EEEJSt10multipliesIsEsEEEvT_T0_DpT1_,"axG",@progbits,_ZN2at6native12_GLOBAL__N_125multi_tensor_apply_kernelINS1_18TensorListMetadataILi3EEENS1_24PointwiseOpScalarFunctorIsLi3ELi3ELi0EEEJSt10multipliesIsEsEEEvT_T0_DpT1_,comdat
	.globl	_ZN2at6native12_GLOBAL__N_125multi_tensor_apply_kernelINS1_18TensorListMetadataILi3EEENS1_24PointwiseOpScalarFunctorIsLi3ELi3ELi0EEEJSt10multipliesIsEsEEEvT_T0_DpT1_ ; -- Begin function _ZN2at6native12_GLOBAL__N_125multi_tensor_apply_kernelINS1_18TensorListMetadataILi3EEENS1_24PointwiseOpScalarFunctorIsLi3ELi3ELi0EEEJSt10multipliesIsEsEEEvT_T0_DpT1_
	.p2align	8
	.type	_ZN2at6native12_GLOBAL__N_125multi_tensor_apply_kernelINS1_18TensorListMetadataILi3EEENS1_24PointwiseOpScalarFunctorIsLi3ELi3ELi0EEEJSt10multipliesIsEsEEEvT_T0_DpT1_,@function
_ZN2at6native12_GLOBAL__N_125multi_tensor_apply_kernelINS1_18TensorListMetadataILi3EEENS1_24PointwiseOpScalarFunctorIsLi3ELi3ELi0EEEJSt10multipliesIsEsEEEvT_T0_DpT1_: ; @_ZN2at6native12_GLOBAL__N_125multi_tensor_apply_kernelINS1_18TensorListMetadataILi3EEENS1_24PointwiseOpScalarFunctorIsLi3ELi3ELi0EEEJSt10multipliesIsEsEEEvT_T0_DpT1_
; %bb.0:
	s_load_b32 s2, s[0:1], 0xc48
	s_bfe_u32 s3, ttmp6, 0x4000c
	s_and_b32 s4, ttmp6, 15
	s_add_co_i32 s3, s3, 1
	s_getreg_b32 s6, hwreg(HW_REG_IB_STS2, 6, 4)
	s_mul_i32 s3, ttmp9, s3
	s_delay_alu instid0(SALU_CYCLE_1)
	s_add_co_i32 s4, s4, s3
	s_mov_b32 s3, 0
	s_wait_kmcnt 0x0
	s_lshr_b32 s5, s2, 16
	s_cmp_eq_u32 s6, 0
	s_cselect_b32 s2, ttmp9, s4
	s_load_u8 s4, s[0:1], s2 offset:0x600
	s_add_nc_u64 s[6:7], s[0:1], s[2:3]
	s_mul_u64 s[8:9], s[2:3], 3
	s_delay_alu instid0(SALU_CYCLE_1)
	s_add_nc_u64 s[12:13], s[6:7], s[8:9]
	s_load_b32 s14, s[12:13], 0x740
	s_wait_kmcnt 0x0
	s_clause 0x3
	s_load_b64 s[6:7], s[0:1], s4 offset:0x180 scale_offset
	s_load_b64 s[8:9], s[0:1], s4 offset:0x300 scale_offset
	;; [unrolled: 1-line block ×4, first 2 shown]
	s_ashr_i32 s15, s14, 31
	s_delay_alu instid0(SALU_CYCLE_1) | instskip(SKIP_2) | instid1(SALU_CYCLE_1)
	s_lshl_b64 s[12:13], s[14:15], 17
	s_wait_kmcnt 0x0
	s_add_nc_u64 s[18:19], s[6:7], s[12:13]
	s_or_b32 s2, s8, s18
	s_and_b64 s[18:19], s[10:11], 7
	s_and_b32 s2, s2, 7
	s_delay_alu instid0(SALU_CYCLE_1)
	s_cmp_eq_u32 s2, 0
	s_cselect_b32 s4, -1, 0
	s_and_b32 s2, s16, 3
	s_lshl_b64 s[14:15], s[14:15], 16
	s_or_b64 s[2:3], s[18:19], s[2:3]
	s_sub_nc_u64 s[14:15], s[16:17], s[14:15]
	s_cmp_eq_u64 s[2:3], 0
	s_cselect_b32 s2, -1, 0
	s_delay_alu instid0(SALU_CYCLE_1) | instskip(NEXT) | instid1(SALU_CYCLE_1)
	s_and_b32 s2, s4, s2
	s_and_b32 vcc_lo, exec_lo, s2
	s_mov_b32 s2, -1
	s_cbranch_vccnz .LBB26_29
; %bb.1:
	v_cmp_lt_i64_e64 s2, s[14:15], 1
	s_and_b32 vcc_lo, exec_lo, s2
	s_cbranch_vccnz .LBB26_28
; %bb.2:
	s_load_b32 s2, s[0:1], 0xc5c
	v_min_i64 v[2:3], 0x10000, s[14:15]
	v_min_u64 v[4:5], 0x10000, s[14:15]
	v_dual_mov_b32 v1, 0 :: v_dual_lshlrev_b32 v12, 1, v0
	s_mov_b32 s19, 0
	s_delay_alu instid0(SALU_CYCLE_1) | instskip(NEXT) | instid1(VALU_DEP_1)
	s_mov_b32 s17, s19
	v_dual_mov_b32 v13, v1 :: v_dual_mov_b32 v35, v1
	s_mov_b32 s3, s19
	s_mov_b32 s21, s19
	s_delay_alu instid0(VALU_DEP_1) | instskip(SKIP_3) | instid1(SALU_CYCLE_1)
	v_add_nc_u64_e32 v[6:7], s[10:11], v[12:13]
	v_add_nc_u64_e32 v[8:9], s[6:7], v[12:13]
	s_wait_kmcnt 0x0
	s_and_b32 s18, s2, 0xffff
	v_add_nc_u64_e32 v[10:11], s[18:19], v[0:1]
	v_mad_nc_u64_u32 v[28:29], s18, 6, v[12:13]
	s_lshl_b32 s16, s18, 2
	s_mul_i32 s20, s18, 3
	v_add_nc_u64_e32 v[22:23], s[16:17], v[12:13]
	s_lshl_b32 s2, s18, 1
	v_add_nc_u64_e32 v[12:13], s[8:9], v[12:13]
	v_lshlrev_b32_e32 v34, 1, v10
	v_add_nc_u64_e32 v[14:15], s[20:21], v[0:1]
	v_add_nc_u64_e32 v[16:17], s[2:3], v[0:1]
	s_lshl_b32 s18, s18, 3
	v_add_nc_u64_e32 v[18:19], s[10:11], v[22:23]
	v_add_nc_u64_e32 v[20:21], s[6:7], v[22:23]
	;; [unrolled: 1-line block ×9, first 2 shown]
	s_mov_b64 s[20:21], 0
	s_branch .LBB26_4
.LBB26_3:                               ;   in Loop: Header=BB26_4 Depth=1
	s_wait_xcnt 0x0
	s_or_b32 exec_lo, exec_lo, s2
	s_add_nc_u64 s[20:21], s[20:21], s[16:17]
	v_add_nc_u64_e32 v[6:7], s[18:19], v[6:7]
	v_cmp_lt_i64_e32 vcc_lo, s[20:21], v[2:3]
	v_add_nc_u64_e32 v[8:9], s[18:19], v[8:9]
	v_add_nc_u64_e32 v[12:13], s[18:19], v[12:13]
	v_add_nc_u64_e32 v[24:25], s[18:19], v[24:25]
	v_add_nc_u64_e32 v[26:27], s[18:19], v[26:27]
	v_add_nc_u64_e32 v[28:29], s[18:19], v[28:29]
	v_add_nc_u64_e32 v[18:19], s[18:19], v[18:19]
	v_add_nc_u64_e32 v[20:21], s[18:19], v[20:21]
	v_add_nc_u64_e32 v[22:23], s[18:19], v[22:23]
	v_add_nc_u64_e32 v[30:31], s[18:19], v[30:31]
	v_add_nc_u64_e32 v[32:33], s[18:19], v[32:33]
	v_add_nc_u64_e32 v[34:35], s[18:19], v[34:35]
	s_cbranch_vccz .LBB26_28
.LBB26_4:                               ; =>This Inner Loop Header: Depth=1
	s_wait_loadcnt 0x0
	v_add_nc_u64_e32 v[36:37], s[20:21], v[0:1]
	s_delay_alu instid0(VALU_DEP_1)
	v_cmp_lt_u64_e32 vcc_lo, v[36:37], v[4:5]
	v_dual_mov_b32 v37, 0 :: v_dual_mov_b32 v36, 0
	s_and_saveexec_b32 s2, vcc_lo
	s_cbranch_execz .LBB26_6
; %bb.5:                                ;   in Loop: Header=BB26_4 Depth=1
	v_add_nc_u64_e32 v[38:39], s[12:13], v[6:7]
	v_add_nc_u64_e32 v[40:41], s[12:13], v[8:9]
	global_load_u16 v36, v[38:39], off
	global_load_u16 v37, v[40:41], off
.LBB26_6:                               ;   in Loop: Header=BB26_4 Depth=1
	s_wait_xcnt 0x0
	s_or_b32 exec_lo, exec_lo, s2
	v_dual_mov_b32 v38, 0 :: v_dual_mov_b32 v39, 0
	s_and_saveexec_b32 s2, vcc_lo
	s_cbranch_execz .LBB26_8
; %bb.7:                                ;   in Loop: Header=BB26_4 Depth=1
	v_add_nc_u64_e32 v[40:41], s[12:13], v[12:13]
	global_load_u16 v39, v[40:41], off
.LBB26_8:                               ;   in Loop: Header=BB26_4 Depth=1
	s_wait_xcnt 0x0
	s_or_b32 exec_lo, exec_lo, s2
	v_add_nc_u64_e32 v[40:41], s[20:21], v[10:11]
	s_delay_alu instid0(VALU_DEP_1)
	v_cmp_lt_u64_e64 s2, v[40:41], v[4:5]
	v_mov_b32_e32 v40, 0
	s_and_saveexec_b32 s3, s2
	s_cbranch_execz .LBB26_10
; %bb.9:                                ;   in Loop: Header=BB26_4 Depth=1
	v_add_nc_u64_e32 v[42:43], s[12:13], v[30:31]
	v_add_nc_u64_e32 v[44:45], s[12:13], v[32:33]
	global_load_u16 v40, v[42:43], off
	global_load_u16 v38, v[44:45], off
.LBB26_10:                              ;   in Loop: Header=BB26_4 Depth=1
	s_wait_xcnt 0x0
	s_or_b32 exec_lo, exec_lo, s3
	v_dual_mov_b32 v41, 0 :: v_dual_mov_b32 v42, 0
	s_and_saveexec_b32 s3, s2
	s_cbranch_execz .LBB26_12
; %bb.11:                               ;   in Loop: Header=BB26_4 Depth=1
	v_add_nc_u64_e32 v[42:43], s[12:13], v[34:35]
	global_load_u16 v42, v[42:43], off
.LBB26_12:                              ;   in Loop: Header=BB26_4 Depth=1
	s_wait_xcnt 0x0
	s_or_b32 exec_lo, exec_lo, s3
	v_add_nc_u64_e32 v[44:45], s[20:21], v[16:17]
	v_mov_b32_e32 v43, 0
	s_delay_alu instid0(VALU_DEP_2)
	v_cmp_lt_u64_e64 s3, v[44:45], v[4:5]
	s_and_saveexec_b32 s4, s3
	s_cbranch_execz .LBB26_14
; %bb.13:                               ;   in Loop: Header=BB26_4 Depth=1
	v_add_nc_u64_e32 v[44:45], s[12:13], v[18:19]
	v_add_nc_u64_e32 v[46:47], s[12:13], v[20:21]
	global_load_u16 v43, v[44:45], off
	global_load_u16 v41, v[46:47], off
.LBB26_14:                              ;   in Loop: Header=BB26_4 Depth=1
	s_wait_xcnt 0x0
	s_or_b32 exec_lo, exec_lo, s4
	v_dual_mov_b32 v44, 0 :: v_dual_mov_b32 v45, 0
	s_and_saveexec_b32 s4, s3
	s_cbranch_execz .LBB26_16
; %bb.15:                               ;   in Loop: Header=BB26_4 Depth=1
	v_add_nc_u64_e32 v[46:47], s[12:13], v[22:23]
	global_load_u16 v45, v[46:47], off
.LBB26_16:                              ;   in Loop: Header=BB26_4 Depth=1
	s_wait_xcnt 0x0
	s_or_b32 exec_lo, exec_lo, s4
	v_add_nc_u64_e32 v[46:47], s[20:21], v[14:15]
	s_delay_alu instid0(VALU_DEP_1)
	v_cmp_lt_u64_e64 s4, v[46:47], v[4:5]
	v_mov_b32_e32 v46, 0
	s_and_saveexec_b32 s22, s4
	s_cbranch_execnz .LBB26_22
; %bb.17:                               ;   in Loop: Header=BB26_4 Depth=1
	s_or_b32 exec_lo, exec_lo, s22
	v_mov_b32_e32 v47, 0
	s_and_saveexec_b32 s22, s4
	s_cbranch_execnz .LBB26_23
.LBB26_18:                              ;   in Loop: Header=BB26_4 Depth=1
	s_or_b32 exec_lo, exec_lo, s22
	s_and_saveexec_b32 s22, vcc_lo
	s_cbranch_execnz .LBB26_24
.LBB26_19:                              ;   in Loop: Header=BB26_4 Depth=1
	s_or_b32 exec_lo, exec_lo, s22
	s_and_saveexec_b32 s22, s2
	s_cbranch_execnz .LBB26_25
.LBB26_20:                              ;   in Loop: Header=BB26_4 Depth=1
	s_or_b32 exec_lo, exec_lo, s22
	s_and_saveexec_b32 s2, s3
	s_cbranch_execnz .LBB26_26
.LBB26_21:                              ;   in Loop: Header=BB26_4 Depth=1
	s_or_b32 exec_lo, exec_lo, s2
	s_and_saveexec_b32 s2, s4
	s_cbranch_execz .LBB26_3
	s_branch .LBB26_27
.LBB26_22:                              ;   in Loop: Header=BB26_4 Depth=1
	v_add_nc_u64_e32 v[48:49], s[12:13], v[24:25]
	v_add_nc_u64_e32 v[50:51], s[12:13], v[26:27]
	global_load_u16 v46, v[48:49], off
	global_load_u16 v44, v[50:51], off
	s_wait_xcnt 0x0
	s_or_b32 exec_lo, exec_lo, s22
	v_mov_b32_e32 v47, 0
	s_and_saveexec_b32 s22, s4
	s_cbranch_execz .LBB26_18
.LBB26_23:                              ;   in Loop: Header=BB26_4 Depth=1
	v_add_nc_u64_e32 v[48:49], s[12:13], v[28:29]
	global_load_u16 v47, v[48:49], off
	s_wait_xcnt 0x0
	s_or_b32 exec_lo, exec_lo, s22
	s_and_saveexec_b32 s22, vcc_lo
	s_cbranch_execz .LBB26_19
.LBB26_24:                              ;   in Loop: Header=BB26_4 Depth=1
	s_wait_loadcnt 0x0
	v_mul_lo_u16 v37, v37, s5
	v_add_nc_u64_e32 v[48:49], s[12:13], v[6:7]
	s_delay_alu instid0(VALU_DEP_2)
	v_mad_u16 v36, v37, v39, v36
	global_store_b16 v[48:49], v36, off
	s_wait_xcnt 0x0
	s_or_b32 exec_lo, exec_lo, s22
	s_and_saveexec_b32 s22, s2
	s_cbranch_execz .LBB26_20
.LBB26_25:                              ;   in Loop: Header=BB26_4 Depth=1
	s_wait_loadcnt 0x0
	v_mul_lo_u16 v38, v38, s5
	v_add_nc_u64_e32 v[36:37], s[12:13], v[30:31]
	s_delay_alu instid0(VALU_DEP_2)
	v_mad_u16 v38, v38, v42, v40
	global_store_b16 v[36:37], v38, off
	s_wait_xcnt 0x0
	s_or_b32 exec_lo, exec_lo, s22
	s_and_saveexec_b32 s2, s3
	s_cbranch_execz .LBB26_21
.LBB26_26:                              ;   in Loop: Header=BB26_4 Depth=1
	s_wait_loadcnt 0x0
	v_mul_lo_u16 v38, v41, s5
	v_add_nc_u64_e32 v[36:37], s[12:13], v[18:19]
	s_delay_alu instid0(VALU_DEP_2)
	v_mad_u16 v38, v38, v45, v43
	global_store_b16 v[36:37], v38, off
	s_wait_xcnt 0x0
	s_or_b32 exec_lo, exec_lo, s2
	s_and_saveexec_b32 s2, s4
	s_cbranch_execz .LBB26_3
.LBB26_27:                              ;   in Loop: Header=BB26_4 Depth=1
	s_wait_loadcnt 0x0
	v_mul_lo_u16 v38, v44, s5
	v_add_nc_u64_e32 v[36:37], s[12:13], v[24:25]
	s_delay_alu instid0(VALU_DEP_2)
	v_mad_u16 v38, v38, v47, v46
	global_store_b16 v[36:37], v38, off
	s_branch .LBB26_3
.LBB26_28:
	s_mov_b32 s2, 0
.LBB26_29:
	s_delay_alu instid0(SALU_CYCLE_1)
	s_and_not1_b32 vcc_lo, exec_lo, s2
	s_cbranch_vccnz .LBB26_33
; %bb.30:
	v_min_i64 v[2:3], 0x10000, s[14:15]
	v_dual_mov_b32 v5, 0 :: v_dual_lshlrev_b32 v4, 2, v0
	s_mov_b32 s2, exec_lo
	s_delay_alu instid0(VALU_DEP_1)
	v_cmpx_lt_i64_e64 v[4:5], v[2:3]
	s_cbranch_execz .LBB26_33
; %bb.31:
	s_load_b32 s0, s[0:1], 0xc5c
	v_dual_mov_b32 v1, v5 :: v_dual_lshlrev_b32 v4, 3, v0
	s_wait_xcnt 0x0
	s_mov_b32 s1, 0
	s_delay_alu instid0(SALU_CYCLE_1) | instskip(NEXT) | instid1(VALU_DEP_1)
	s_mov_b32 s3, s1
	v_add_nc_u64_e32 v[4:5], s[12:13], v[4:5]
	s_mov_b32 s4, s1
	s_wait_kmcnt 0x0
	s_and_b32 s0, s0, 0xffff
	s_delay_alu instid0(SALU_CYCLE_1)
	s_lshl_b32 s2, s0, 3
.LBB26_32:                              ; =>This Inner Loop Header: Depth=1
	s_delay_alu instid0(VALU_DEP_1)
	v_add_nc_u64_e32 v[6:7], s[6:7], v[4:5]
	v_add_nc_u64_e32 v[8:9], s[10:11], v[4:5]
	;; [unrolled: 1-line block ×5, first 2 shown]
	global_load_b64 v[12:13], v[6:7], off
	global_load_b64 v[14:15], v[8:9], off
	;; [unrolled: 1-line block ×3, first 2 shown]
	s_wait_loadcnt 0x1
	s_wait_xcnt 0x0
	v_dual_lshrrev_b32 v7, 16, v12 :: v_dual_lshrrev_b32 v10, 16, v14
	v_mul_lo_u16 v6, s5, v12
	s_wait_loadcnt 0x0
	v_lshrrev_b32_e32 v11, 16, v16
	v_mul_lo_u16 v12, s5, v13
	v_lshrrev_b32_e32 v13, 16, v13
	v_mul_lo_u16 v7, s5, v7
	v_dual_lshrrev_b32 v18, 16, v15 :: v_dual_lshrrev_b32 v19, 16, v17
	v_mad_u16 v14, v6, v16, v14
	s_delay_alu instid0(VALU_DEP_4) | instskip(NEXT) | instid1(VALU_DEP_4)
	v_mul_lo_u16 v13, s5, v13
	v_mad_u16 v10, v7, v11, v10
	v_lshlrev_b64_e32 v[6:7], 2, v[0:1]
	v_mad_u16 v11, v12, v17, v15
	v_and_b32_e32 v12, 0xffff, v14
	v_mad_u16 v13, v13, v19, v18
	v_lshlrev_b32_e32 v10, 16, v10
	s_delay_alu instid0(VALU_DEP_4) | instskip(SKIP_1) | instid1(VALU_DEP_3)
	v_and_b32_e32 v11, 0xffff, v11
	v_cmp_ge_i64_e32 vcc_lo, v[6:7], v[2:3]
	v_dual_lshlrev_b32 v13, 16, v13 :: v_dual_bitop2_b32 v10, v10, v12 bitop3:0x54
	s_delay_alu instid0(VALU_DEP_1) | instskip(NEXT) | instid1(VALU_DEP_2)
	v_or3_b32 v7, 0, v11, v13
	v_or3_b32 v6, v10, 0, 0
	s_or_b32 s4, vcc_lo, s4
	global_store_b64 v[8:9], v[6:7], off
	s_wait_xcnt 0x0
	s_and_not1_b32 exec_lo, exec_lo, s4
	s_cbranch_execnz .LBB26_32
.LBB26_33:
	s_endpgm
	.section	.rodata,"a",@progbits
	.p2align	6, 0x0
	.amdhsa_kernel _ZN2at6native12_GLOBAL__N_125multi_tensor_apply_kernelINS1_18TensorListMetadataILi3EEENS1_24PointwiseOpScalarFunctorIsLi3ELi3ELi0EEEJSt10multipliesIsEsEEEvT_T0_DpT1_
		.amdhsa_group_segment_fixed_size 0
		.amdhsa_private_segment_fixed_size 0
		.amdhsa_kernarg_size 3408
		.amdhsa_user_sgpr_count 2
		.amdhsa_user_sgpr_dispatch_ptr 0
		.amdhsa_user_sgpr_queue_ptr 0
		.amdhsa_user_sgpr_kernarg_segment_ptr 1
		.amdhsa_user_sgpr_dispatch_id 0
		.amdhsa_user_sgpr_kernarg_preload_length 0
		.amdhsa_user_sgpr_kernarg_preload_offset 0
		.amdhsa_user_sgpr_private_segment_size 0
		.amdhsa_wavefront_size32 1
		.amdhsa_uses_dynamic_stack 0
		.amdhsa_enable_private_segment 0
		.amdhsa_system_sgpr_workgroup_id_x 1
		.amdhsa_system_sgpr_workgroup_id_y 0
		.amdhsa_system_sgpr_workgroup_id_z 0
		.amdhsa_system_sgpr_workgroup_info 0
		.amdhsa_system_vgpr_workitem_id 0
		.amdhsa_next_free_vgpr 52
		.amdhsa_next_free_sgpr 23
		.amdhsa_named_barrier_count 0
		.amdhsa_reserve_vcc 1
		.amdhsa_float_round_mode_32 0
		.amdhsa_float_round_mode_16_64 0
		.amdhsa_float_denorm_mode_32 3
		.amdhsa_float_denorm_mode_16_64 3
		.amdhsa_fp16_overflow 0
		.amdhsa_memory_ordered 1
		.amdhsa_forward_progress 1
		.amdhsa_inst_pref_size 13
		.amdhsa_round_robin_scheduling 0
		.amdhsa_exception_fp_ieee_invalid_op 0
		.amdhsa_exception_fp_denorm_src 0
		.amdhsa_exception_fp_ieee_div_zero 0
		.amdhsa_exception_fp_ieee_overflow 0
		.amdhsa_exception_fp_ieee_underflow 0
		.amdhsa_exception_fp_ieee_inexact 0
		.amdhsa_exception_int_div_zero 0
	.end_amdhsa_kernel
	.section	.text._ZN2at6native12_GLOBAL__N_125multi_tensor_apply_kernelINS1_18TensorListMetadataILi3EEENS1_24PointwiseOpScalarFunctorIsLi3ELi3ELi0EEEJSt10multipliesIsEsEEEvT_T0_DpT1_,"axG",@progbits,_ZN2at6native12_GLOBAL__N_125multi_tensor_apply_kernelINS1_18TensorListMetadataILi3EEENS1_24PointwiseOpScalarFunctorIsLi3ELi3ELi0EEEJSt10multipliesIsEsEEEvT_T0_DpT1_,comdat
.Lfunc_end26:
	.size	_ZN2at6native12_GLOBAL__N_125multi_tensor_apply_kernelINS1_18TensorListMetadataILi3EEENS1_24PointwiseOpScalarFunctorIsLi3ELi3ELi0EEEJSt10multipliesIsEsEEEvT_T0_DpT1_, .Lfunc_end26-_ZN2at6native12_GLOBAL__N_125multi_tensor_apply_kernelINS1_18TensorListMetadataILi3EEENS1_24PointwiseOpScalarFunctorIsLi3ELi3ELi0EEEJSt10multipliesIsEsEEEvT_T0_DpT1_
                                        ; -- End function
	.set _ZN2at6native12_GLOBAL__N_125multi_tensor_apply_kernelINS1_18TensorListMetadataILi3EEENS1_24PointwiseOpScalarFunctorIsLi3ELi3ELi0EEEJSt10multipliesIsEsEEEvT_T0_DpT1_.num_vgpr, 52
	.set _ZN2at6native12_GLOBAL__N_125multi_tensor_apply_kernelINS1_18TensorListMetadataILi3EEENS1_24PointwiseOpScalarFunctorIsLi3ELi3ELi0EEEJSt10multipliesIsEsEEEvT_T0_DpT1_.num_agpr, 0
	.set _ZN2at6native12_GLOBAL__N_125multi_tensor_apply_kernelINS1_18TensorListMetadataILi3EEENS1_24PointwiseOpScalarFunctorIsLi3ELi3ELi0EEEJSt10multipliesIsEsEEEvT_T0_DpT1_.numbered_sgpr, 23
	.set _ZN2at6native12_GLOBAL__N_125multi_tensor_apply_kernelINS1_18TensorListMetadataILi3EEENS1_24PointwiseOpScalarFunctorIsLi3ELi3ELi0EEEJSt10multipliesIsEsEEEvT_T0_DpT1_.num_named_barrier, 0
	.set _ZN2at6native12_GLOBAL__N_125multi_tensor_apply_kernelINS1_18TensorListMetadataILi3EEENS1_24PointwiseOpScalarFunctorIsLi3ELi3ELi0EEEJSt10multipliesIsEsEEEvT_T0_DpT1_.private_seg_size, 0
	.set _ZN2at6native12_GLOBAL__N_125multi_tensor_apply_kernelINS1_18TensorListMetadataILi3EEENS1_24PointwiseOpScalarFunctorIsLi3ELi3ELi0EEEJSt10multipliesIsEsEEEvT_T0_DpT1_.uses_vcc, 1
	.set _ZN2at6native12_GLOBAL__N_125multi_tensor_apply_kernelINS1_18TensorListMetadataILi3EEENS1_24PointwiseOpScalarFunctorIsLi3ELi3ELi0EEEJSt10multipliesIsEsEEEvT_T0_DpT1_.uses_flat_scratch, 0
	.set _ZN2at6native12_GLOBAL__N_125multi_tensor_apply_kernelINS1_18TensorListMetadataILi3EEENS1_24PointwiseOpScalarFunctorIsLi3ELi3ELi0EEEJSt10multipliesIsEsEEEvT_T0_DpT1_.has_dyn_sized_stack, 0
	.set _ZN2at6native12_GLOBAL__N_125multi_tensor_apply_kernelINS1_18TensorListMetadataILi3EEENS1_24PointwiseOpScalarFunctorIsLi3ELi3ELi0EEEJSt10multipliesIsEsEEEvT_T0_DpT1_.has_recursion, 0
	.set _ZN2at6native12_GLOBAL__N_125multi_tensor_apply_kernelINS1_18TensorListMetadataILi3EEENS1_24PointwiseOpScalarFunctorIsLi3ELi3ELi0EEEJSt10multipliesIsEsEEEvT_T0_DpT1_.has_indirect_call, 0
	.section	.AMDGPU.csdata,"",@progbits
; Kernel info:
; codeLenInByte = 1596
; TotalNumSgprs: 25
; NumVgprs: 52
; ScratchSize: 0
; MemoryBound: 0
; FloatMode: 240
; IeeeMode: 1
; LDSByteSize: 0 bytes/workgroup (compile time only)
; SGPRBlocks: 0
; VGPRBlocks: 3
; NumSGPRsForWavesPerEU: 25
; NumVGPRsForWavesPerEU: 52
; NamedBarCnt: 0
; Occupancy: 16
; WaveLimiterHint : 0
; COMPUTE_PGM_RSRC2:SCRATCH_EN: 0
; COMPUTE_PGM_RSRC2:USER_SGPR: 2
; COMPUTE_PGM_RSRC2:TRAP_HANDLER: 0
; COMPUTE_PGM_RSRC2:TGID_X_EN: 1
; COMPUTE_PGM_RSRC2:TGID_Y_EN: 0
; COMPUTE_PGM_RSRC2:TGID_Z_EN: 0
; COMPUTE_PGM_RSRC2:TIDIG_COMP_CNT: 0
	.section	.text._ZN2at6native12_GLOBAL__N_125multi_tensor_apply_kernelINS1_18TensorListMetadataILi3EEENS1_24PointwiseOpScalarFunctorIdLi3ELi3ELi0EEEJSt10multipliesIdEdEEEvT_T0_DpT1_,"axG",@progbits,_ZN2at6native12_GLOBAL__N_125multi_tensor_apply_kernelINS1_18TensorListMetadataILi3EEENS1_24PointwiseOpScalarFunctorIdLi3ELi3ELi0EEEJSt10multipliesIdEdEEEvT_T0_DpT1_,comdat
	.globl	_ZN2at6native12_GLOBAL__N_125multi_tensor_apply_kernelINS1_18TensorListMetadataILi3EEENS1_24PointwiseOpScalarFunctorIdLi3ELi3ELi0EEEJSt10multipliesIdEdEEEvT_T0_DpT1_ ; -- Begin function _ZN2at6native12_GLOBAL__N_125multi_tensor_apply_kernelINS1_18TensorListMetadataILi3EEENS1_24PointwiseOpScalarFunctorIdLi3ELi3ELi0EEEJSt10multipliesIdEdEEEvT_T0_DpT1_
	.p2align	8
	.type	_ZN2at6native12_GLOBAL__N_125multi_tensor_apply_kernelINS1_18TensorListMetadataILi3EEENS1_24PointwiseOpScalarFunctorIdLi3ELi3ELi0EEEJSt10multipliesIdEdEEEvT_T0_DpT1_,@function
_ZN2at6native12_GLOBAL__N_125multi_tensor_apply_kernelINS1_18TensorListMetadataILi3EEENS1_24PointwiseOpScalarFunctorIdLi3ELi3ELi0EEEJSt10multipliesIdEdEEEvT_T0_DpT1_: ; @_ZN2at6native12_GLOBAL__N_125multi_tensor_apply_kernelINS1_18TensorListMetadataILi3EEENS1_24PointwiseOpScalarFunctorIdLi3ELi3ELi0EEEJSt10multipliesIdEdEEEvT_T0_DpT1_
; %bb.0:
	s_bfe_u32 s2, ttmp6, 0x4000c
	s_and_b32 s3, ttmp6, 15
	s_add_co_i32 s2, s2, 1
	s_getreg_b32 s4, hwreg(HW_REG_IB_STS2, 6, 4)
	s_mul_i32 s2, ttmp9, s2
	s_mov_b32 s17, 0
	s_add_co_i32 s3, s3, s2
	s_cmp_eq_u32 s4, 0
	s_load_b64 s[10:11], s[0:1], 0xc50
	s_cselect_b32 s16, ttmp9, s3
	s_delay_alu instid0(SALU_CYCLE_1) | instskip(SKIP_1) | instid1(SALU_CYCLE_1)
	s_add_nc_u64 s[2:3], s[0:1], s[16:17]
	s_mul_u64 s[4:5], s[16:17], 3
	s_add_nc_u64 s[2:3], s[2:3], s[4:5]
	s_clause 0x1
	s_load_b32 s20, s[2:3], 0x740
	s_load_u8 s6, s[0:1], s16 offset:0x600
	s_wait_kmcnt 0x0
	s_clause 0x3
	s_load_b64 s[2:3], s[0:1], s6 offset:0x180 scale_offset
	s_load_b64 s[4:5], s[0:1], s6 offset:0x300 scale_offset
	;; [unrolled: 1-line block ×4, first 2 shown]
	s_ashr_i32 s21, s20, 31
	s_delay_alu instid0(SALU_CYCLE_1)
	s_lshl_b64 s[14:15], s[20:21], 19
	s_wait_kmcnt 0x0
	s_add_nc_u64 s[6:7], s[2:3], s[14:15]
	s_add_nc_u64 s[8:9], s[4:5], s[14:15]
	;; [unrolled: 1-line block ×3, first 2 shown]
	s_or_b32 s16, s8, s6
	s_and_b64 s[24:25], s[12:13], 31
	s_and_b32 s16, s16, 31
	s_delay_alu instid0(SALU_CYCLE_1) | instskip(SKIP_4) | instid1(SALU_CYCLE_1)
	s_cmp_eq_u32 s16, 0
	s_cselect_b32 s26, -1, 0
	s_and_b32 s16, s22, 3
	s_lshl_b64 s[20:21], s[20:21], 16
	s_or_b64 s[16:17], s[24:25], s[16:17]
	s_cmp_eq_u64 s[16:17], 0
	s_cselect_b32 s16, -1, 0
	s_delay_alu instid0(SALU_CYCLE_1)
	s_and_b32 s24, s26, s16
	s_sub_nc_u64 s[16:17], s[22:23], s[20:21]
	s_and_b32 vcc_lo, exec_lo, s24
	s_mov_b32 s20, -1
	s_cbranch_vccnz .LBB27_45
; %bb.1:
	v_cmp_lt_i64_e64 s20, s[16:17], 1
	s_and_b32 vcc_lo, exec_lo, s20
	s_cbranch_vccnz .LBB27_44
; %bb.2:
	s_load_b32 s20, s[0:1], 0xc64
	v_min_i64 v[2:3], 0x10000, s[16:17]
	v_min_u64 v[4:5], 0x10000, s[16:17]
	v_cmp_neq_f64_e64 s24, s[10:11], 1.0
	v_dual_mov_b32 v1, 0 :: v_dual_lshlrev_b32 v12, 3, v0
	s_mov_b32 s21, 0
	s_delay_alu instid0(SALU_CYCLE_1) | instskip(NEXT) | instid1(VALU_DEP_1)
	s_mov_b32 s29, s21
	v_dual_mov_b32 v13, v1 :: v_dual_mov_b32 v35, v1
	s_mov_b32 s23, s21
	s_mov_b32 s27, s21
	s_delay_alu instid0(VALU_DEP_1) | instskip(SKIP_3) | instid1(SALU_CYCLE_1)
	v_add_nc_u64_e32 v[6:7], s[18:19], v[12:13]
	v_add_nc_u64_e32 v[8:9], s[2:3], v[12:13]
	s_wait_kmcnt 0x0
	s_and_b32 s20, s20, 0xffff
	v_add_nc_u64_e32 v[10:11], s[20:21], v[0:1]
	v_mad_nc_u64_u32 v[28:29], s20, 24, v[12:13]
	s_lshl_b32 s28, s20, 4
	s_mul_i32 s26, s20, 3
	v_add_nc_u64_e32 v[22:23], s[28:29], v[12:13]
	s_lshl_b32 s22, s20, 1
	v_add_nc_u64_e32 v[12:13], s[4:5], v[12:13]
	v_lshlrev_b32_e32 v34, 3, v10
	v_add_nc_u64_e32 v[14:15], s[26:27], v[0:1]
	v_add_nc_u64_e32 v[16:17], s[22:23], v[0:1]
	s_mov_b64 s[22:23], 0
	v_add_nc_u64_e32 v[18:19], s[18:19], v[22:23]
	v_add_nc_u64_e32 v[20:21], s[2:3], v[22:23]
	v_add_nc_u64_e32 v[22:23], s[4:5], v[22:23]
	v_add_nc_u64_e32 v[24:25], s[18:19], v[28:29]
	v_add_nc_u64_e32 v[26:27], s[2:3], v[28:29]
	v_add_nc_u64_e32 v[28:29], s[4:5], v[28:29]
	v_add_nc_u64_e32 v[30:31], s[18:19], v[34:35]
	v_add_nc_u64_e32 v[32:33], s[2:3], v[34:35]
	v_add_nc_u64_e32 v[34:35], s[4:5], v[34:35]
	s_lshl_b32 s18, s20, 2
	s_mov_b32 s19, s21
	s_lshl_b32 s20, s20, 5
	s_branch .LBB27_4
.LBB27_3:                               ;   in Loop: Header=BB27_4 Depth=1
	s_wait_xcnt 0x0
	s_or_b32 exec_lo, exec_lo, s2
	s_add_nc_u64 s[22:23], s[22:23], s[18:19]
	v_add_nc_u64_e32 v[6:7], s[20:21], v[6:7]
	v_cmp_ge_i64_e32 vcc_lo, s[22:23], v[2:3]
	v_add_nc_u64_e32 v[8:9], s[20:21], v[8:9]
	v_add_nc_u64_e32 v[12:13], s[20:21], v[12:13]
	;; [unrolled: 1-line block ×11, first 2 shown]
	s_cbranch_vccnz .LBB27_44
.LBB27_4:                               ; =>This Inner Loop Header: Depth=1
	s_wait_loadcnt 0x1
	v_add_nc_u64_e32 v[40:41], s[22:23], v[0:1]
	s_wait_loadcnt 0x0
	v_mov_b64_e32 v[36:37], 0
	v_mov_b64_e32 v[38:39], 0
	s_delay_alu instid0(VALU_DEP_3)
	v_cmp_lt_u64_e64 s2, v[40:41], v[4:5]
	v_mov_b64_e32 v[40:41], 0
	s_and_saveexec_b32 s3, s2
	s_cbranch_execz .LBB27_6
; %bb.5:                                ;   in Loop: Header=BB27_4 Depth=1
	v_add_nc_u64_e32 v[42:43], s[14:15], v[6:7]
	v_add_nc_u64_e32 v[44:45], s[14:15], v[8:9]
	global_load_b64 v[40:41], v[42:43], off
	global_load_b64 v[38:39], v[44:45], off
.LBB27_6:                               ;   in Loop: Header=BB27_4 Depth=1
	s_wait_xcnt 0x0
	s_or_b32 exec_lo, exec_lo, s3
	s_and_saveexec_b32 s3, s2
	s_cbranch_execz .LBB27_8
; %bb.7:                                ;   in Loop: Header=BB27_4 Depth=1
	v_add_nc_u64_e32 v[36:37], s[14:15], v[12:13]
	global_load_b64 v[36:37], v[36:37], off
.LBB27_8:                               ;   in Loop: Header=BB27_4 Depth=1
	s_wait_xcnt 0x0
	s_or_b32 exec_lo, exec_lo, s3
	v_add_nc_u64_e32 v[46:47], s[22:23], v[10:11]
	v_mov_b64_e32 v[42:43], 0
	v_mov_b64_e32 v[44:45], 0
	s_delay_alu instid0(VALU_DEP_3)
	v_cmp_lt_u64_e64 s3, v[46:47], v[4:5]
	v_mov_b64_e32 v[46:47], 0
	s_and_saveexec_b32 s4, s3
	s_cbranch_execz .LBB27_10
; %bb.9:                                ;   in Loop: Header=BB27_4 Depth=1
	v_add_nc_u64_e32 v[48:49], s[14:15], v[30:31]
	v_add_nc_u64_e32 v[50:51], s[14:15], v[32:33]
	global_load_b64 v[46:47], v[48:49], off
	global_load_b64 v[44:45], v[50:51], off
.LBB27_10:                              ;   in Loop: Header=BB27_4 Depth=1
	s_wait_xcnt 0x0
	s_or_b32 exec_lo, exec_lo, s4
	s_and_saveexec_b32 s4, s3
	s_cbranch_execz .LBB27_12
; %bb.11:                               ;   in Loop: Header=BB27_4 Depth=1
	v_add_nc_u64_e32 v[42:43], s[14:15], v[34:35]
	global_load_b64 v[42:43], v[42:43], off
.LBB27_12:                              ;   in Loop: Header=BB27_4 Depth=1
	s_wait_xcnt 0x0
	s_or_b32 exec_lo, exec_lo, s4
	v_add_nc_u64_e32 v[52:53], s[22:23], v[16:17]
	v_mov_b64_e32 v[48:49], 0
	v_mov_b64_e32 v[50:51], 0
	s_delay_alu instid0(VALU_DEP_3)
	v_cmp_lt_u64_e64 s4, v[52:53], v[4:5]
	v_mov_b64_e32 v[52:53], 0
	s_and_saveexec_b32 s5, s4
	s_cbranch_execz .LBB27_14
; %bb.13:                               ;   in Loop: Header=BB27_4 Depth=1
	v_add_nc_u64_e32 v[54:55], s[14:15], v[18:19]
	v_add_nc_u64_e32 v[56:57], s[14:15], v[20:21]
	global_load_b64 v[52:53], v[54:55], off
	global_load_b64 v[50:51], v[56:57], off
.LBB27_14:                              ;   in Loop: Header=BB27_4 Depth=1
	s_wait_xcnt 0x0
	s_or_b32 exec_lo, exec_lo, s5
	s_and_saveexec_b32 s5, s4
	s_cbranch_execz .LBB27_16
; %bb.15:                               ;   in Loop: Header=BB27_4 Depth=1
	v_add_nc_u64_e32 v[48:49], s[14:15], v[22:23]
	global_load_b64 v[48:49], v[48:49], off
.LBB27_16:                              ;   in Loop: Header=BB27_4 Depth=1
	s_wait_xcnt 0x0
	s_or_b32 exec_lo, exec_lo, s5
	v_add_nc_u64_e32 v[58:59], s[22:23], v[14:15]
	v_mov_b64_e32 v[54:55], 0
	v_mov_b64_e32 v[56:57], 0
	s_delay_alu instid0(VALU_DEP_3)
	v_cmp_lt_u64_e64 s5, v[58:59], v[4:5]
	v_mov_b64_e32 v[58:59], 0
	s_and_saveexec_b32 s25, s5
	s_cbranch_execnz .LBB27_34
; %bb.17:                               ;   in Loop: Header=BB27_4 Depth=1
	s_or_b32 exec_lo, exec_lo, s25
	s_and_saveexec_b32 s25, s5
	s_cbranch_execnz .LBB27_35
.LBB27_18:                              ;   in Loop: Header=BB27_4 Depth=1
	s_or_b32 exec_lo, exec_lo, s25
	s_delay_alu instid0(SALU_CYCLE_1)
	s_and_b32 vcc_lo, exec_lo, s24
	s_cbranch_vccz .LBB27_36
.LBB27_19:                              ;   in Loop: Header=BB27_4 Depth=1
	s_wait_loadcnt 0x0
	v_mul_f64_e32 v[60:61], v[38:39], v[36:37]
	s_delay_alu instid0(VALU_DEP_1)
	v_fma_f64 v[60:61], s[10:11], v[60:61], v[40:41]
	s_cbranch_execnz .LBB27_21
.LBB27_20:                              ;   in Loop: Header=BB27_4 Depth=1
	s_wait_loadcnt 0x0
	v_fmac_f64_e32 v[40:41], v[38:39], v[36:37]
	s_delay_alu instid0(VALU_DEP_1)
	v_mov_b64_e32 v[60:61], v[40:41]
.LBB27_21:                              ;   in Loop: Header=BB27_4 Depth=1
	s_and_not1_b32 vcc_lo, exec_lo, s24
	s_cbranch_vccnz .LBB27_41
; %bb.22:                               ;   in Loop: Header=BB27_4 Depth=1
	s_wait_loadcnt 0x0
	v_mul_f64_e32 v[36:37], v[44:45], v[42:43]
	s_delay_alu instid0(VALU_DEP_1)
	v_fma_f64 v[36:37], s[10:11], v[36:37], v[46:47]
	s_cbranch_execnz .LBB27_24
.LBB27_23:                              ;   in Loop: Header=BB27_4 Depth=1
	s_wait_loadcnt 0x0
	v_fmac_f64_e32 v[46:47], v[44:45], v[42:43]
	s_delay_alu instid0(VALU_DEP_1)
	v_mov_b64_e32 v[36:37], v[46:47]
.LBB27_24:                              ;   in Loop: Header=BB27_4 Depth=1
	s_and_not1_b32 vcc_lo, exec_lo, s24
	s_cbranch_vccnz .LBB27_42
; %bb.25:                               ;   in Loop: Header=BB27_4 Depth=1
	s_wait_loadcnt 0x0
	v_mul_f64_e32 v[38:39], v[50:51], v[48:49]
	s_delay_alu instid0(VALU_DEP_1)
	v_fma_f64 v[38:39], s[10:11], v[38:39], v[52:53]
	s_cbranch_execnz .LBB27_27
.LBB27_26:                              ;   in Loop: Header=BB27_4 Depth=1
	s_wait_loadcnt 0x0
	v_fmac_f64_e32 v[52:53], v[50:51], v[48:49]
	s_delay_alu instid0(VALU_DEP_1)
	v_mov_b64_e32 v[38:39], v[52:53]
.LBB27_27:                              ;   in Loop: Header=BB27_4 Depth=1
	s_and_not1_b32 vcc_lo, exec_lo, s24
	s_cbranch_vccnz .LBB27_43
; %bb.28:                               ;   in Loop: Header=BB27_4 Depth=1
	s_wait_loadcnt 0x0
	v_mul_f64_e32 v[40:41], v[56:57], v[54:55]
	s_delay_alu instid0(VALU_DEP_1)
	v_fma_f64 v[40:41], s[10:11], v[40:41], v[58:59]
	s_cbranch_execnz .LBB27_30
.LBB27_29:                              ;   in Loop: Header=BB27_4 Depth=1
	s_wait_loadcnt 0x0
	v_fmac_f64_e32 v[58:59], v[56:57], v[54:55]
	s_delay_alu instid0(VALU_DEP_1)
	v_mov_b64_e32 v[40:41], v[58:59]
.LBB27_30:                              ;   in Loop: Header=BB27_4 Depth=1
	s_and_saveexec_b32 s25, s2
	s_delay_alu instid0(SALU_CYCLE_1)
	s_xor_b32 s2, exec_lo, s25
	s_cbranch_execnz .LBB27_37
; %bb.31:                               ;   in Loop: Header=BB27_4 Depth=1
	s_or_b32 exec_lo, exec_lo, s2
	s_and_saveexec_b32 s2, s3
	s_cbranch_execnz .LBB27_38
.LBB27_32:                              ;   in Loop: Header=BB27_4 Depth=1
	s_or_b32 exec_lo, exec_lo, s2
	s_and_saveexec_b32 s2, s4
	s_cbranch_execnz .LBB27_39
.LBB27_33:                              ;   in Loop: Header=BB27_4 Depth=1
	s_or_b32 exec_lo, exec_lo, s2
	s_and_saveexec_b32 s2, s5
	s_cbranch_execz .LBB27_3
	s_branch .LBB27_40
.LBB27_34:                              ;   in Loop: Header=BB27_4 Depth=1
	v_add_nc_u64_e32 v[60:61], s[14:15], v[24:25]
	v_add_nc_u64_e32 v[62:63], s[14:15], v[26:27]
	global_load_b64 v[58:59], v[60:61], off
	global_load_b64 v[56:57], v[62:63], off
	s_wait_xcnt 0x0
	s_or_b32 exec_lo, exec_lo, s25
	s_and_saveexec_b32 s25, s5
	s_cbranch_execz .LBB27_18
.LBB27_35:                              ;   in Loop: Header=BB27_4 Depth=1
	v_add_nc_u64_e32 v[54:55], s[14:15], v[28:29]
	global_load_b64 v[54:55], v[54:55], off
	s_wait_xcnt 0x0
	s_or_b32 exec_lo, exec_lo, s25
	s_delay_alu instid0(SALU_CYCLE_1)
	s_and_b32 vcc_lo, exec_lo, s24
	s_cbranch_vccnz .LBB27_19
.LBB27_36:                              ;   in Loop: Header=BB27_4 Depth=1
                                        ; implicit-def: $vgpr60_vgpr61
	s_branch .LBB27_20
.LBB27_37:                              ;   in Loop: Header=BB27_4 Depth=1
	s_wait_loadcnt 0x0
	v_add_nc_u64_e32 v[42:43], s[14:15], v[6:7]
	global_store_b64 v[42:43], v[60:61], off
	s_wait_xcnt 0x0
	s_or_b32 exec_lo, exec_lo, s2
	s_and_saveexec_b32 s2, s3
	s_cbranch_execz .LBB27_32
.LBB27_38:                              ;   in Loop: Header=BB27_4 Depth=1
	s_wait_loadcnt 0x0
	v_add_nc_u64_e32 v[42:43], s[14:15], v[30:31]
	global_store_b64 v[42:43], v[36:37], off
	s_wait_xcnt 0x0
	s_or_b32 exec_lo, exec_lo, s2
	s_and_saveexec_b32 s2, s4
	s_cbranch_execz .LBB27_33
.LBB27_39:                              ;   in Loop: Header=BB27_4 Depth=1
	s_wait_loadcnt 0x0
	v_add_nc_u64_e32 v[36:37], s[14:15], v[18:19]
	global_store_b64 v[36:37], v[38:39], off
	s_wait_xcnt 0x0
	s_or_b32 exec_lo, exec_lo, s2
	s_and_saveexec_b32 s2, s5
	s_cbranch_execz .LBB27_3
.LBB27_40:                              ;   in Loop: Header=BB27_4 Depth=1
	s_wait_loadcnt 0x0
	v_add_nc_u64_e32 v[36:37], s[14:15], v[24:25]
	global_store_b64 v[36:37], v[40:41], off
	s_branch .LBB27_3
.LBB27_41:                              ;   in Loop: Header=BB27_4 Depth=1
                                        ; implicit-def: $vgpr36_vgpr37
	s_branch .LBB27_23
.LBB27_42:                              ;   in Loop: Header=BB27_4 Depth=1
                                        ; implicit-def: $vgpr38_vgpr39
	s_branch .LBB27_26
.LBB27_43:                              ;   in Loop: Header=BB27_4 Depth=1
                                        ; implicit-def: $vgpr40_vgpr41
	s_branch .LBB27_29
.LBB27_44:
	s_mov_b32 s20, 0
.LBB27_45:
	s_delay_alu instid0(SALU_CYCLE_1)
	s_and_not1_b32 vcc_lo, exec_lo, s20
	s_cbranch_vccnz .LBB27_65
; %bb.46:
	v_min_i64 v[30:31], 0x10000, s[16:17]
	v_dual_mov_b32 v33, 0 :: v_dual_lshlrev_b32 v32, 2, v0
	s_mov_b32 s2, exec_lo
	s_delay_alu instid0(VALU_DEP_1)
	v_cmpx_lt_i64_e64 v[32:33], v[30:31]
	s_cbranch_execz .LBB27_65
; %bb.47:
	v_cmp_neq_f64_e64 s4, s[10:11], 1.0
	s_load_b32 s0, s[0:1], 0xc64
	v_dual_mov_b32 v1, v33 :: v_dual_lshlrev_b32 v32, 5, v0
	s_wait_xcnt 0x0
	s_mov_b32 s1, 0
	s_delay_alu instid0(SALU_CYCLE_1) | instskip(SKIP_3) | instid1(SALU_CYCLE_1)
	s_mov_b32 s3, s1
	s_mov_b32 s5, s1
	s_wait_kmcnt 0x0
	s_and_b32 s0, s0, 0xffff
	s_lshl_b32 s2, s0, 5
	s_branch .LBB27_49
.LBB27_48:                              ;   in Loop: Header=BB27_49 Depth=1
	v_add_nc_u64_e32 v[0:1], s[0:1], v[0:1]
	s_add_nc_u64 s[8:9], s[8:9], s[2:3]
	s_add_nc_u64 s[12:13], s[12:13], s[2:3]
	;; [unrolled: 1-line block ×3, first 2 shown]
	global_store_b128 v[34:35], v[2:5], off
	s_wait_loadcnt 0x4
	global_store_b128 v[34:35], v[18:21], off offset:16
	v_lshlrev_b64_e32 v[6:7], 2, v[0:1]
	s_delay_alu instid0(VALU_DEP_1)
	v_cmp_ge_i64_e32 vcc_lo, v[6:7], v[30:31]
	s_or_b32 s5, vcc_lo, s5
	s_wait_xcnt 0x0
	s_and_not1_b32 exec_lo, exec_lo, s5
	s_cbranch_execz .LBB27_65
.LBB27_49:                              ; =>This Inner Loop Header: Depth=1
	v_add_nc_u64_e32 v[34:35], s[12:13], v[32:33]
	v_add_nc_u64_e32 v[2:3], s[6:7], v[32:33]
	;; [unrolled: 1-line block ×3, first 2 shown]
	s_and_b32 vcc_lo, exec_lo, s4
	s_clause 0x1
	global_load_b128 v[6:9], v[34:35], off offset:16
	global_load_b128 v[18:21], v[34:35], off
	s_wait_loadcnt 0x5
	global_load_b128 v[10:13], v[2:3], off offset:16
	s_wait_loadcnt 0x5
	global_load_b128 v[22:25], v[2:3], off
	s_wait_loadcnt 0x5
	global_load_b128 v[14:17], v[4:5], off offset:16
	s_wait_loadcnt 0x5
	global_load_b128 v[26:29], v[4:5], off
	s_cbranch_vccz .LBB27_60
; %bb.50:                               ;   in Loop: Header=BB27_49 Depth=1
	s_wait_loadcnt 0x0
	s_wait_xcnt 0x2
	v_mul_f64_e32 v[2:3], v[22:23], v[26:27]
	s_delay_alu instid0(VALU_DEP_1)
	v_fma_f64 v[2:3], s[10:11], v[2:3], v[18:19]
	s_cbranch_execnz .LBB27_52
.LBB27_51:                              ;   in Loop: Header=BB27_49 Depth=1
	s_wait_loadcnt 0x0
	v_fmac_f64_e32 v[18:19], v[22:23], v[26:27]
	s_wait_xcnt 0x2
	s_delay_alu instid0(VALU_DEP_1)
	v_mov_b64_e32 v[2:3], v[18:19]
.LBB27_52:                              ;   in Loop: Header=BB27_49 Depth=1
	s_and_not1_b32 vcc_lo, exec_lo, s4
	s_cbranch_vccnz .LBB27_61
; %bb.53:                               ;   in Loop: Header=BB27_49 Depth=1
	s_wait_loadcnt 0x0
	v_mul_f64_e32 v[4:5], v[24:25], v[28:29]
	s_delay_alu instid0(VALU_DEP_1)
	v_fma_f64 v[4:5], s[10:11], v[4:5], v[20:21]
	s_cbranch_execnz .LBB27_55
.LBB27_54:                              ;   in Loop: Header=BB27_49 Depth=1
	s_wait_loadcnt 0x0
	v_fmac_f64_e32 v[20:21], v[24:25], v[28:29]
	s_wait_xcnt 0x0
	s_delay_alu instid0(VALU_DEP_1)
	v_mov_b64_e32 v[4:5], v[20:21]
.LBB27_55:                              ;   in Loop: Header=BB27_49 Depth=1
	s_and_not1_b32 vcc_lo, exec_lo, s4
	s_cbranch_vccnz .LBB27_62
; %bb.56:                               ;   in Loop: Header=BB27_49 Depth=1
	s_wait_loadcnt 0x1
	v_mul_f64_e32 v[18:19], v[10:11], v[14:15]
	s_delay_alu instid0(VALU_DEP_1)
	v_fma_f64 v[18:19], s[10:11], v[18:19], v[6:7]
	s_cbranch_execnz .LBB27_58
.LBB27_57:                              ;   in Loop: Header=BB27_49 Depth=1
	s_wait_loadcnt 0x1
	v_fmac_f64_e32 v[6:7], v[10:11], v[14:15]
	s_delay_alu instid0(VALU_DEP_1)
	v_mov_b64_e32 v[18:19], v[6:7]
.LBB27_58:                              ;   in Loop: Header=BB27_49 Depth=1
	s_and_not1_b32 vcc_lo, exec_lo, s4
	s_cbranch_vccnz .LBB27_63
; %bb.59:                               ;   in Loop: Header=BB27_49 Depth=1
	s_wait_loadcnt 0x1
	v_mul_f64_e32 v[6:7], v[12:13], v[16:17]
	s_delay_alu instid0(VALU_DEP_1)
	v_fma_f64 v[20:21], s[10:11], v[6:7], v[8:9]
	s_cbranch_execnz .LBB27_48
	s_branch .LBB27_64
.LBB27_60:                              ;   in Loop: Header=BB27_49 Depth=1
                                        ; implicit-def: $vgpr2_vgpr3
	s_branch .LBB27_51
.LBB27_61:                              ;   in Loop: Header=BB27_49 Depth=1
	s_branch .LBB27_54
.LBB27_62:                              ;   in Loop: Header=BB27_49 Depth=1
                                        ; implicit-def: $vgpr18_vgpr19
	s_branch .LBB27_57
.LBB27_63:                              ;   in Loop: Header=BB27_49 Depth=1
.LBB27_64:                              ;   in Loop: Header=BB27_49 Depth=1
	s_wait_loadcnt 0x1
	v_fmac_f64_e32 v[8:9], v[12:13], v[16:17]
	s_delay_alu instid0(VALU_DEP_1)
	v_mov_b64_e32 v[20:21], v[8:9]
	s_branch .LBB27_48
.LBB27_65:
	s_endpgm
	.section	.rodata,"a",@progbits
	.p2align	6, 0x0
	.amdhsa_kernel _ZN2at6native12_GLOBAL__N_125multi_tensor_apply_kernelINS1_18TensorListMetadataILi3EEENS1_24PointwiseOpScalarFunctorIdLi3ELi3ELi0EEEJSt10multipliesIdEdEEEvT_T0_DpT1_
		.amdhsa_group_segment_fixed_size 0
		.amdhsa_private_segment_fixed_size 0
		.amdhsa_kernarg_size 3416
		.amdhsa_user_sgpr_count 2
		.amdhsa_user_sgpr_dispatch_ptr 0
		.amdhsa_user_sgpr_queue_ptr 0
		.amdhsa_user_sgpr_kernarg_segment_ptr 1
		.amdhsa_user_sgpr_dispatch_id 0
		.amdhsa_user_sgpr_kernarg_preload_length 0
		.amdhsa_user_sgpr_kernarg_preload_offset 0
		.amdhsa_user_sgpr_private_segment_size 0
		.amdhsa_wavefront_size32 1
		.amdhsa_uses_dynamic_stack 0
		.amdhsa_enable_private_segment 0
		.amdhsa_system_sgpr_workgroup_id_x 1
		.amdhsa_system_sgpr_workgroup_id_y 0
		.amdhsa_system_sgpr_workgroup_id_z 0
		.amdhsa_system_sgpr_workgroup_info 0
		.amdhsa_system_vgpr_workitem_id 0
		.amdhsa_next_free_vgpr 64
		.amdhsa_next_free_sgpr 30
		.amdhsa_named_barrier_count 0
		.amdhsa_reserve_vcc 1
		.amdhsa_float_round_mode_32 0
		.amdhsa_float_round_mode_16_64 0
		.amdhsa_float_denorm_mode_32 3
		.amdhsa_float_denorm_mode_16_64 3
		.amdhsa_fp16_overflow 0
		.amdhsa_memory_ordered 1
		.amdhsa_forward_progress 1
		.amdhsa_inst_pref_size 15
		.amdhsa_round_robin_scheduling 0
		.amdhsa_exception_fp_ieee_invalid_op 0
		.amdhsa_exception_fp_denorm_src 0
		.amdhsa_exception_fp_ieee_div_zero 0
		.amdhsa_exception_fp_ieee_overflow 0
		.amdhsa_exception_fp_ieee_underflow 0
		.amdhsa_exception_fp_ieee_inexact 0
		.amdhsa_exception_int_div_zero 0
	.end_amdhsa_kernel
	.section	.text._ZN2at6native12_GLOBAL__N_125multi_tensor_apply_kernelINS1_18TensorListMetadataILi3EEENS1_24PointwiseOpScalarFunctorIdLi3ELi3ELi0EEEJSt10multipliesIdEdEEEvT_T0_DpT1_,"axG",@progbits,_ZN2at6native12_GLOBAL__N_125multi_tensor_apply_kernelINS1_18TensorListMetadataILi3EEENS1_24PointwiseOpScalarFunctorIdLi3ELi3ELi0EEEJSt10multipliesIdEdEEEvT_T0_DpT1_,comdat
.Lfunc_end27:
	.size	_ZN2at6native12_GLOBAL__N_125multi_tensor_apply_kernelINS1_18TensorListMetadataILi3EEENS1_24PointwiseOpScalarFunctorIdLi3ELi3ELi0EEEJSt10multipliesIdEdEEEvT_T0_DpT1_, .Lfunc_end27-_ZN2at6native12_GLOBAL__N_125multi_tensor_apply_kernelINS1_18TensorListMetadataILi3EEENS1_24PointwiseOpScalarFunctorIdLi3ELi3ELi0EEEJSt10multipliesIdEdEEEvT_T0_DpT1_
                                        ; -- End function
	.set _ZN2at6native12_GLOBAL__N_125multi_tensor_apply_kernelINS1_18TensorListMetadataILi3EEENS1_24PointwiseOpScalarFunctorIdLi3ELi3ELi0EEEJSt10multipliesIdEdEEEvT_T0_DpT1_.num_vgpr, 64
	.set _ZN2at6native12_GLOBAL__N_125multi_tensor_apply_kernelINS1_18TensorListMetadataILi3EEENS1_24PointwiseOpScalarFunctorIdLi3ELi3ELi0EEEJSt10multipliesIdEdEEEvT_T0_DpT1_.num_agpr, 0
	.set _ZN2at6native12_GLOBAL__N_125multi_tensor_apply_kernelINS1_18TensorListMetadataILi3EEENS1_24PointwiseOpScalarFunctorIdLi3ELi3ELi0EEEJSt10multipliesIdEdEEEvT_T0_DpT1_.numbered_sgpr, 30
	.set _ZN2at6native12_GLOBAL__N_125multi_tensor_apply_kernelINS1_18TensorListMetadataILi3EEENS1_24PointwiseOpScalarFunctorIdLi3ELi3ELi0EEEJSt10multipliesIdEdEEEvT_T0_DpT1_.num_named_barrier, 0
	.set _ZN2at6native12_GLOBAL__N_125multi_tensor_apply_kernelINS1_18TensorListMetadataILi3EEENS1_24PointwiseOpScalarFunctorIdLi3ELi3ELi0EEEJSt10multipliesIdEdEEEvT_T0_DpT1_.private_seg_size, 0
	.set _ZN2at6native12_GLOBAL__N_125multi_tensor_apply_kernelINS1_18TensorListMetadataILi3EEENS1_24PointwiseOpScalarFunctorIdLi3ELi3ELi0EEEJSt10multipliesIdEdEEEvT_T0_DpT1_.uses_vcc, 1
	.set _ZN2at6native12_GLOBAL__N_125multi_tensor_apply_kernelINS1_18TensorListMetadataILi3EEENS1_24PointwiseOpScalarFunctorIdLi3ELi3ELi0EEEJSt10multipliesIdEdEEEvT_T0_DpT1_.uses_flat_scratch, 0
	.set _ZN2at6native12_GLOBAL__N_125multi_tensor_apply_kernelINS1_18TensorListMetadataILi3EEENS1_24PointwiseOpScalarFunctorIdLi3ELi3ELi0EEEJSt10multipliesIdEdEEEvT_T0_DpT1_.has_dyn_sized_stack, 0
	.set _ZN2at6native12_GLOBAL__N_125multi_tensor_apply_kernelINS1_18TensorListMetadataILi3EEENS1_24PointwiseOpScalarFunctorIdLi3ELi3ELi0EEEJSt10multipliesIdEdEEEvT_T0_DpT1_.has_recursion, 0
	.set _ZN2at6native12_GLOBAL__N_125multi_tensor_apply_kernelINS1_18TensorListMetadataILi3EEENS1_24PointwiseOpScalarFunctorIdLi3ELi3ELi0EEEJSt10multipliesIdEdEEEvT_T0_DpT1_.has_indirect_call, 0
	.section	.AMDGPU.csdata,"",@progbits
; Kernel info:
; codeLenInByte = 1900
; TotalNumSgprs: 32
; NumVgprs: 64
; ScratchSize: 0
; MemoryBound: 1
; FloatMode: 240
; IeeeMode: 1
; LDSByteSize: 0 bytes/workgroup (compile time only)
; SGPRBlocks: 0
; VGPRBlocks: 3
; NumSGPRsForWavesPerEU: 32
; NumVGPRsForWavesPerEU: 64
; NamedBarCnt: 0
; Occupancy: 16
; WaveLimiterHint : 0
; COMPUTE_PGM_RSRC2:SCRATCH_EN: 0
; COMPUTE_PGM_RSRC2:USER_SGPR: 2
; COMPUTE_PGM_RSRC2:TRAP_HANDLER: 0
; COMPUTE_PGM_RSRC2:TGID_X_EN: 1
; COMPUTE_PGM_RSRC2:TGID_Y_EN: 0
; COMPUTE_PGM_RSRC2:TGID_Z_EN: 0
; COMPUTE_PGM_RSRC2:TIDIG_COMP_CNT: 0
	.section	.text._ZN2at6native12_GLOBAL__N_125multi_tensor_apply_kernelINS1_18TensorListMetadataILi3EEENS1_24PointwiseOpScalarFunctorIfLi3ELi3ELi0EEEJSt10multipliesIfEfEEEvT_T0_DpT1_,"axG",@progbits,_ZN2at6native12_GLOBAL__N_125multi_tensor_apply_kernelINS1_18TensorListMetadataILi3EEENS1_24PointwiseOpScalarFunctorIfLi3ELi3ELi0EEEJSt10multipliesIfEfEEEvT_T0_DpT1_,comdat
	.globl	_ZN2at6native12_GLOBAL__N_125multi_tensor_apply_kernelINS1_18TensorListMetadataILi3EEENS1_24PointwiseOpScalarFunctorIfLi3ELi3ELi0EEEJSt10multipliesIfEfEEEvT_T0_DpT1_ ; -- Begin function _ZN2at6native12_GLOBAL__N_125multi_tensor_apply_kernelINS1_18TensorListMetadataILi3EEENS1_24PointwiseOpScalarFunctorIfLi3ELi3ELi0EEEJSt10multipliesIfEfEEEvT_T0_DpT1_
	.p2align	8
	.type	_ZN2at6native12_GLOBAL__N_125multi_tensor_apply_kernelINS1_18TensorListMetadataILi3EEENS1_24PointwiseOpScalarFunctorIfLi3ELi3ELi0EEEJSt10multipliesIfEfEEEvT_T0_DpT1_,@function
_ZN2at6native12_GLOBAL__N_125multi_tensor_apply_kernelINS1_18TensorListMetadataILi3EEENS1_24PointwiseOpScalarFunctorIfLi3ELi3ELi0EEEJSt10multipliesIfEfEEEvT_T0_DpT1_: ; @_ZN2at6native12_GLOBAL__N_125multi_tensor_apply_kernelINS1_18TensorListMetadataILi3EEENS1_24PointwiseOpScalarFunctorIfLi3ELi3ELi0EEEJSt10multipliesIfEfEEEvT_T0_DpT1_
; %bb.0:
	s_bfe_u32 s2, ttmp6, 0x4000c
	s_and_b32 s3, ttmp6, 15
	s_add_co_i32 s2, s2, 1
	s_getreg_b32 s4, hwreg(HW_REG_IB_STS2, 6, 4)
	s_mul_i32 s2, ttmp9, s2
	s_delay_alu instid0(SALU_CYCLE_1) | instskip(SKIP_3) | instid1(SALU_CYCLE_1)
	s_add_co_i32 s2, s3, s2
	s_cmp_eq_u32 s4, 0
	s_mov_b32 s3, 0
	s_cselect_b32 s2, ttmp9, s2
	s_add_nc_u64 s[4:5], s[0:1], s[2:3]
	s_mul_u64 s[6:7], s[2:3], 3
	s_delay_alu instid0(SALU_CYCLE_1)
	s_add_nc_u64 s[4:5], s[4:5], s[6:7]
	s_clause 0x1
	s_load_b32 s16, s[4:5], 0x740
	s_load_u8 s12, s[0:1], s2 offset:0x600
	s_wait_kmcnt 0x0
	s_clause 0x3
	s_load_b64 s[8:9], s[0:1], s12 offset:0x180 scale_offset
	s_load_b64 s[6:7], s[0:1], s12 offset:0x300 scale_offset
	s_load_b64 s[10:11], s[0:1], s12 offset:0x0 scale_offset
	s_load_b64 s[4:5], s[0:1], s12 offset:0x480 scale_offset
	s_ashr_i32 s17, s16, 31
	s_wait_xcnt 0x0
	s_lshl_b64 s[12:13], s[16:17], 18
	s_wait_kmcnt 0x0
	s_add_nc_u64 s[14:15], s[8:9], s[12:13]
	s_delay_alu instid0(SALU_CYCLE_1)
	s_or_b32 s2, s6, s14
	s_load_b32 s14, s[0:1], 0xc4c
	s_and_b32 s2, s2, 15
	s_and_b64 s[18:19], s[10:11], 15
	s_cmp_eq_u32 s2, 0
	s_cselect_b32 s15, -1, 0
	s_and_b32 s2, s4, 3
	s_lshl_b64 s[16:17], s[16:17], 16
	s_or_b64 s[2:3], s[18:19], s[2:3]
	s_sub_nc_u64 s[16:17], s[4:5], s[16:17]
	s_cmp_eq_u64 s[2:3], 0
	s_cselect_b32 s2, -1, 0
	s_delay_alu instid0(SALU_CYCLE_1) | instskip(NEXT) | instid1(SALU_CYCLE_1)
	s_and_b32 s2, s15, s2
	s_and_b32 vcc_lo, exec_lo, s2
	s_mov_b32 s2, -1
	s_cbranch_vccnz .LBB28_29
; %bb.1:
	v_cmp_lt_i64_e64 s2, s[16:17], 1
	s_and_b32 vcc_lo, exec_lo, s2
	s_cbranch_vccnz .LBB28_28
; %bb.2:
	s_load_b32 s2, s[0:1], 0xc5c
	v_min_i64 v[2:3], 0x10000, s[16:17]
	v_min_u64 v[4:5], 0x10000, s[16:17]
	v_dual_mov_b32 v1, 0 :: v_dual_lshlrev_b32 v16, 2, v0
	s_mov_b32 s21, 0
	s_delay_alu instid0(SALU_CYCLE_1) | instskip(NEXT) | instid1(VALU_DEP_1)
	s_mov_b32 s23, s21
	v_dual_mov_b32 v17, v1 :: v_dual_mov_b32 v35, v1
	s_mov_b32 s5, s21
	s_mov_b32 s19, s21
	s_delay_alu instid0(VALU_DEP_1) | instskip(SKIP_4) | instid1(SALU_CYCLE_1)
	v_add_nc_u64_e32 v[6:7], s[10:11], v[16:17]
	v_add_nc_u64_e32 v[8:9], s[8:9], v[16:17]
	;; [unrolled: 1-line block ×3, first 2 shown]
	s_wait_kmcnt 0x0
	s_and_b32 s20, s2, 0xffff
	s_lshl_b32 s4, s20, 1
	s_cmp_eq_f32 s14, 1.0
	v_add_nc_u64_e32 v[10:11], s[20:21], v[0:1]
	v_mad_nc_u64_u32 v[22:23], s20, 12, v[16:17]
	s_mul_i32 s18, s20, 3
	s_cselect_b32 s2, -1, 0
	s_lshl_b32 s22, s20, 3
	v_add_nc_u64_e32 v[14:15], s[18:19], v[0:1]
	v_add_nc_u64_e32 v[32:33], s[22:23], v[16:17]
	v_lshlrev_b32_e32 v34, 2, v10
	v_add_nc_u64_e32 v[16:17], s[4:5], v[0:1]
	s_lshl_b32 s18, s20, 2
	s_lshl_b32 s20, s20, 4
	s_mov_b64 s[22:23], 0
	v_add_nc_u64_e32 v[18:19], s[10:11], v[22:23]
	v_add_nc_u64_e32 v[20:21], s[8:9], v[22:23]
	;; [unrolled: 1-line block ×9, first 2 shown]
	s_branch .LBB28_4
.LBB28_3:                               ;   in Loop: Header=BB28_4 Depth=1
	s_wait_xcnt 0x0
	s_or_b32 exec_lo, exec_lo, s3
	s_add_nc_u64 s[22:23], s[22:23], s[18:19]
	v_add_nc_u64_e32 v[6:7], s[20:21], v[6:7]
	v_cmp_lt_i64_e32 vcc_lo, s[22:23], v[2:3]
	v_add_nc_u64_e32 v[8:9], s[20:21], v[8:9]
	v_add_nc_u64_e32 v[12:13], s[20:21], v[12:13]
	;; [unrolled: 1-line block ×11, first 2 shown]
	s_cbranch_vccz .LBB28_28
.LBB28_4:                               ; =>This Inner Loop Header: Depth=1
	s_wait_loadcnt 0x0
	v_add_nc_u64_e32 v[36:37], s[22:23], v[0:1]
	s_delay_alu instid0(VALU_DEP_1)
	v_cmp_lt_u64_e32 vcc_lo, v[36:37], v[4:5]
	v_dual_mov_b32 v37, 0 :: v_dual_mov_b32 v36, 0
	s_and_saveexec_b32 s3, vcc_lo
	s_cbranch_execz .LBB28_6
; %bb.5:                                ;   in Loop: Header=BB28_4 Depth=1
	v_add_nc_u64_e32 v[38:39], s[12:13], v[6:7]
	v_add_nc_u64_e32 v[40:41], s[12:13], v[8:9]
	global_load_b32 v36, v[38:39], off
	global_load_b32 v37, v[40:41], off
.LBB28_6:                               ;   in Loop: Header=BB28_4 Depth=1
	s_wait_xcnt 0x0
	s_or_b32 exec_lo, exec_lo, s3
	v_dual_mov_b32 v38, 0 :: v_dual_mov_b32 v40, 0
	s_and_saveexec_b32 s3, vcc_lo
	s_cbranch_execz .LBB28_8
; %bb.7:                                ;   in Loop: Header=BB28_4 Depth=1
	v_add_nc_u64_e32 v[40:41], s[12:13], v[12:13]
	global_load_b32 v40, v[40:41], off
.LBB28_8:                               ;   in Loop: Header=BB28_4 Depth=1
	s_wait_xcnt 0x0
	s_or_b32 exec_lo, exec_lo, s3
	v_add_nc_u64_e32 v[42:43], s[22:23], v[10:11]
	v_mov_b32_e32 v39, 0
	s_delay_alu instid0(VALU_DEP_2)
	v_cmp_lt_u64_e64 s3, v[42:43], v[4:5]
	s_and_saveexec_b32 s4, s3
	s_cbranch_execz .LBB28_10
; %bb.9:                                ;   in Loop: Header=BB28_4 Depth=1
	v_add_nc_u64_e32 v[42:43], s[12:13], v[24:25]
	v_add_nc_u64_e32 v[44:45], s[12:13], v[26:27]
	global_load_b32 v39, v[42:43], off
	global_load_b32 v38, v[44:45], off
.LBB28_10:                              ;   in Loop: Header=BB28_4 Depth=1
	s_wait_xcnt 0x0
	s_or_b32 exec_lo, exec_lo, s4
	v_dual_mov_b32 v41, 0 :: v_dual_mov_b32 v43, 0
	s_and_saveexec_b32 s4, s3
	s_cbranch_execz .LBB28_12
; %bb.11:                               ;   in Loop: Header=BB28_4 Depth=1
	v_add_nc_u64_e32 v[42:43], s[12:13], v[34:35]
	global_load_b32 v43, v[42:43], off
.LBB28_12:                              ;   in Loop: Header=BB28_4 Depth=1
	s_wait_xcnt 0x0
	s_or_b32 exec_lo, exec_lo, s4
	v_add_nc_u64_e32 v[44:45], s[22:23], v[16:17]
	v_mov_b32_e32 v42, 0
	s_delay_alu instid0(VALU_DEP_2)
	v_cmp_lt_u64_e64 s4, v[44:45], v[4:5]
	s_and_saveexec_b32 s5, s4
	s_cbranch_execz .LBB28_14
; %bb.13:                               ;   in Loop: Header=BB28_4 Depth=1
	v_add_nc_u64_e32 v[44:45], s[12:13], v[28:29]
	v_add_nc_u64_e32 v[46:47], s[12:13], v[30:31]
	global_load_b32 v42, v[44:45], off
	global_load_b32 v41, v[46:47], off
.LBB28_14:                              ;   in Loop: Header=BB28_4 Depth=1
	s_wait_xcnt 0x0
	s_or_b32 exec_lo, exec_lo, s5
	v_dual_mov_b32 v44, 0 :: v_dual_mov_b32 v46, 0
	s_and_saveexec_b32 s5, s4
	s_cbranch_execz .LBB28_16
; %bb.15:                               ;   in Loop: Header=BB28_4 Depth=1
	v_add_nc_u64_e32 v[46:47], s[12:13], v[32:33]
	global_load_b32 v46, v[46:47], off
.LBB28_16:                              ;   in Loop: Header=BB28_4 Depth=1
	s_wait_xcnt 0x0
	s_or_b32 exec_lo, exec_lo, s5
	v_add_nc_u64_e32 v[48:49], s[22:23], v[14:15]
	v_mov_b32_e32 v45, 0
	s_delay_alu instid0(VALU_DEP_2)
	v_cmp_lt_u64_e64 s5, v[48:49], v[4:5]
	s_and_saveexec_b32 s15, s5
	s_cbranch_execnz .LBB28_22
; %bb.17:                               ;   in Loop: Header=BB28_4 Depth=1
	s_or_b32 exec_lo, exec_lo, s15
	v_mov_b32_e32 v47, 0
	s_and_saveexec_b32 s15, s5
	s_cbranch_execnz .LBB28_23
.LBB28_18:                              ;   in Loop: Header=BB28_4 Depth=1
	s_or_b32 exec_lo, exec_lo, s15
	s_and_saveexec_b32 s15, vcc_lo
	s_cbranch_execnz .LBB28_24
.LBB28_19:                              ;   in Loop: Header=BB28_4 Depth=1
	s_or_b32 exec_lo, exec_lo, s15
	s_and_saveexec_b32 s15, s3
	s_cbranch_execnz .LBB28_25
.LBB28_20:                              ;   in Loop: Header=BB28_4 Depth=1
	s_or_b32 exec_lo, exec_lo, s15
	s_and_saveexec_b32 s3, s4
	s_cbranch_execnz .LBB28_26
.LBB28_21:                              ;   in Loop: Header=BB28_4 Depth=1
	s_or_b32 exec_lo, exec_lo, s3
	s_and_saveexec_b32 s3, s5
	s_cbranch_execz .LBB28_3
	s_branch .LBB28_27
.LBB28_22:                              ;   in Loop: Header=BB28_4 Depth=1
	v_add_nc_u64_e32 v[48:49], s[12:13], v[18:19]
	v_add_nc_u64_e32 v[50:51], s[12:13], v[20:21]
	global_load_b32 v45, v[48:49], off
	global_load_b32 v44, v[50:51], off
	s_wait_xcnt 0x0
	s_or_b32 exec_lo, exec_lo, s15
	v_mov_b32_e32 v47, 0
	s_and_saveexec_b32 s15, s5
	s_cbranch_execz .LBB28_18
.LBB28_23:                              ;   in Loop: Header=BB28_4 Depth=1
	v_add_nc_u64_e32 v[48:49], s[12:13], v[22:23]
	global_load_b32 v47, v[48:49], off
	s_wait_xcnt 0x0
	s_or_b32 exec_lo, exec_lo, s15
	s_and_saveexec_b32 s15, vcc_lo
	s_cbranch_execz .LBB28_19
.LBB28_24:                              ;   in Loop: Header=BB28_4 Depth=1
	s_wait_loadcnt 0x0
	v_dual_mul_f32 v48, v37, v40 :: v_dual_fma_f32 v37, v37, v40, v36
	s_delay_alu instid0(VALU_DEP_1) | instskip(SKIP_1) | instid1(VALU_DEP_2)
	v_fmac_f32_e32 v36, s14, v48
	v_add_nc_u64_e32 v[48:49], s[12:13], v[6:7]
	v_cndmask_b32_e64 v36, v36, v37, s2
	global_store_b32 v[48:49], v36, off
	s_wait_xcnt 0x0
	s_or_b32 exec_lo, exec_lo, s15
	s_and_saveexec_b32 s15, s3
	s_cbranch_execz .LBB28_20
.LBB28_25:                              ;   in Loop: Header=BB28_4 Depth=1
	s_wait_loadcnt 0x0
	v_dual_mul_f32 v36, v38, v43 :: v_dual_fma_f32 v38, v38, v43, v39
	s_delay_alu instid0(VALU_DEP_1) | instskip(SKIP_1) | instid1(VALU_DEP_2)
	v_fmac_f32_e32 v39, s14, v36
	v_add_nc_u64_e32 v[36:37], s[12:13], v[24:25]
	v_cndmask_b32_e64 v38, v39, v38, s2
	global_store_b32 v[36:37], v38, off
	s_wait_xcnt 0x0
	s_or_b32 exec_lo, exec_lo, s15
	s_and_saveexec_b32 s3, s4
	s_cbranch_execz .LBB28_21
.LBB28_26:                              ;   in Loop: Header=BB28_4 Depth=1
	s_wait_loadcnt 0x0
	v_dual_mul_f32 v36, v41, v46 :: v_dual_fma_f32 v38, v41, v46, v42
	s_delay_alu instid0(VALU_DEP_1) | instskip(SKIP_1) | instid1(VALU_DEP_2)
	v_fmac_f32_e32 v42, s14, v36
	v_add_nc_u64_e32 v[36:37], s[12:13], v[28:29]
	v_cndmask_b32_e64 v38, v42, v38, s2
	global_store_b32 v[36:37], v38, off
	s_wait_xcnt 0x0
	s_or_b32 exec_lo, exec_lo, s3
	s_and_saveexec_b32 s3, s5
	s_cbranch_execz .LBB28_3
.LBB28_27:                              ;   in Loop: Header=BB28_4 Depth=1
	s_wait_loadcnt 0x0
	v_dual_mul_f32 v36, v44, v47 :: v_dual_fma_f32 v38, v44, v47, v45
	s_delay_alu instid0(VALU_DEP_1) | instskip(SKIP_1) | instid1(VALU_DEP_2)
	v_fmac_f32_e32 v45, s14, v36
	v_add_nc_u64_e32 v[36:37], s[12:13], v[18:19]
	v_cndmask_b32_e64 v38, v45, v38, s2
	global_store_b32 v[36:37], v38, off
	s_branch .LBB28_3
.LBB28_28:
	s_mov_b32 s2, 0
.LBB28_29:
	s_delay_alu instid0(SALU_CYCLE_1)
	s_and_not1_b32 vcc_lo, exec_lo, s2
	s_cbranch_vccnz .LBB28_33
; %bb.30:
	v_min_i64 v[2:3], 0x10000, s[16:17]
	v_dual_mov_b32 v7, 0 :: v_dual_lshlrev_b32 v6, 2, v0
	s_mov_b32 s2, exec_lo
	s_delay_alu instid0(VALU_DEP_1)
	v_cmpx_lt_i64_e64 v[6:7], v[2:3]
	s_cbranch_execz .LBB28_33
; %bb.31:
	s_wait_xcnt 0x0
	s_load_b32 s0, s[0:1], 0xc5c
	v_dual_mov_b32 v1, v7 :: v_dual_lshlrev_b32 v6, 4, v0
	s_wait_kmcnt 0x0
	s_mov_b32 s15, s14
	s_cmp_eq_f32 s14, 1.0
	v_mov_b64_e32 v[4:5], s[14:15]
	s_mov_b32 s3, 0
	v_add_nc_u64_e32 v[6:7], s[12:13], v[6:7]
	s_cselect_b32 vcc_lo, -1, 0
	s_add_nc_u64 s[4:5], s[10:11], 8
	s_add_nc_u64 s[8:9], s[8:9], 8
	s_mov_b32 s11, s3
	s_mov_b32 s1, s3
	s_and_b32 s2, s0, 0xffff
	s_delay_alu instid0(SALU_CYCLE_1)
	s_lshl_b32 s10, s2, 4
.LBB28_32:                              ; =>This Inner Loop Header: Depth=1
	v_add_nc_u64_e32 v[20:21], s[8:9], v[6:7]
	v_add_nc_u64_e32 v[22:23], s[6:7], v[6:7]
	;; [unrolled: 1-line block ×5, first 2 shown]
	global_load_b128 v[8:11], v[20:21], off offset:-8
	global_load_b128 v[12:15], v[22:23], off
	global_load_b128 v[16:19], v[24:25], off offset:-8
	s_wait_xcnt 0x2
	v_lshlrev_b64_e32 v[20:21], 2, v[0:1]
	s_delay_alu instid0(VALU_DEP_1)
	v_cmp_ge_i64_e64 s0, v[20:21], v[2:3]
	s_or_b32 s1, s0, s1
	s_wait_loadcnt 0x1
	s_wait_xcnt 0x1
	v_pk_mul_f32 v[22:23], v[8:9], v[12:13]
	v_pk_mul_f32 v[26:27], v[10:11], v[14:15]
	s_wait_loadcnt 0x0
	v_pk_fma_f32 v[8:9], v[8:9], v[12:13], v[16:17]
	v_pk_fma_f32 v[10:11], v[10:11], v[14:15], v[18:19]
	;; [unrolled: 1-line block ×4, first 2 shown]
	s_delay_alu instid0(VALU_DEP_2) | instskip(NEXT) | instid1(VALU_DEP_2)
	v_dual_cndmask_b32 v9, v13, v9 :: v_dual_cndmask_b32 v8, v12, v8
	v_dual_cndmask_b32 v11, v15, v11 :: v_dual_cndmask_b32 v10, v14, v10
	global_store_b128 v[24:25], v[8:11], off offset:-8
	s_wait_xcnt 0x0
	s_and_not1_b32 exec_lo, exec_lo, s1
	s_cbranch_execnz .LBB28_32
.LBB28_33:
	s_endpgm
	.section	.rodata,"a",@progbits
	.p2align	6, 0x0
	.amdhsa_kernel _ZN2at6native12_GLOBAL__N_125multi_tensor_apply_kernelINS1_18TensorListMetadataILi3EEENS1_24PointwiseOpScalarFunctorIfLi3ELi3ELi0EEEJSt10multipliesIfEfEEEvT_T0_DpT1_
		.amdhsa_group_segment_fixed_size 0
		.amdhsa_private_segment_fixed_size 0
		.amdhsa_kernarg_size 3408
		.amdhsa_user_sgpr_count 2
		.amdhsa_user_sgpr_dispatch_ptr 0
		.amdhsa_user_sgpr_queue_ptr 0
		.amdhsa_user_sgpr_kernarg_segment_ptr 1
		.amdhsa_user_sgpr_dispatch_id 0
		.amdhsa_user_sgpr_kernarg_preload_length 0
		.amdhsa_user_sgpr_kernarg_preload_offset 0
		.amdhsa_user_sgpr_private_segment_size 0
		.amdhsa_wavefront_size32 1
		.amdhsa_uses_dynamic_stack 0
		.amdhsa_enable_private_segment 0
		.amdhsa_system_sgpr_workgroup_id_x 1
		.amdhsa_system_sgpr_workgroup_id_y 0
		.amdhsa_system_sgpr_workgroup_id_z 0
		.amdhsa_system_sgpr_workgroup_info 0
		.amdhsa_system_vgpr_workitem_id 0
		.amdhsa_next_free_vgpr 52
		.amdhsa_next_free_sgpr 24
		.amdhsa_named_barrier_count 0
		.amdhsa_reserve_vcc 1
		.amdhsa_float_round_mode_32 0
		.amdhsa_float_round_mode_16_64 0
		.amdhsa_float_denorm_mode_32 3
		.amdhsa_float_denorm_mode_16_64 3
		.amdhsa_fp16_overflow 0
		.amdhsa_memory_ordered 1
		.amdhsa_forward_progress 1
		.amdhsa_inst_pref_size 13
		.amdhsa_round_robin_scheduling 0
		.amdhsa_exception_fp_ieee_invalid_op 0
		.amdhsa_exception_fp_denorm_src 0
		.amdhsa_exception_fp_ieee_div_zero 0
		.amdhsa_exception_fp_ieee_overflow 0
		.amdhsa_exception_fp_ieee_underflow 0
		.amdhsa_exception_fp_ieee_inexact 0
		.amdhsa_exception_int_div_zero 0
	.end_amdhsa_kernel
	.section	.text._ZN2at6native12_GLOBAL__N_125multi_tensor_apply_kernelINS1_18TensorListMetadataILi3EEENS1_24PointwiseOpScalarFunctorIfLi3ELi3ELi0EEEJSt10multipliesIfEfEEEvT_T0_DpT1_,"axG",@progbits,_ZN2at6native12_GLOBAL__N_125multi_tensor_apply_kernelINS1_18TensorListMetadataILi3EEENS1_24PointwiseOpScalarFunctorIfLi3ELi3ELi0EEEJSt10multipliesIfEfEEEvT_T0_DpT1_,comdat
.Lfunc_end28:
	.size	_ZN2at6native12_GLOBAL__N_125multi_tensor_apply_kernelINS1_18TensorListMetadataILi3EEENS1_24PointwiseOpScalarFunctorIfLi3ELi3ELi0EEEJSt10multipliesIfEfEEEvT_T0_DpT1_, .Lfunc_end28-_ZN2at6native12_GLOBAL__N_125multi_tensor_apply_kernelINS1_18TensorListMetadataILi3EEENS1_24PointwiseOpScalarFunctorIfLi3ELi3ELi0EEEJSt10multipliesIfEfEEEvT_T0_DpT1_
                                        ; -- End function
	.set _ZN2at6native12_GLOBAL__N_125multi_tensor_apply_kernelINS1_18TensorListMetadataILi3EEENS1_24PointwiseOpScalarFunctorIfLi3ELi3ELi0EEEJSt10multipliesIfEfEEEvT_T0_DpT1_.num_vgpr, 52
	.set _ZN2at6native12_GLOBAL__N_125multi_tensor_apply_kernelINS1_18TensorListMetadataILi3EEENS1_24PointwiseOpScalarFunctorIfLi3ELi3ELi0EEEJSt10multipliesIfEfEEEvT_T0_DpT1_.num_agpr, 0
	.set _ZN2at6native12_GLOBAL__N_125multi_tensor_apply_kernelINS1_18TensorListMetadataILi3EEENS1_24PointwiseOpScalarFunctorIfLi3ELi3ELi0EEEJSt10multipliesIfEfEEEvT_T0_DpT1_.numbered_sgpr, 24
	.set _ZN2at6native12_GLOBAL__N_125multi_tensor_apply_kernelINS1_18TensorListMetadataILi3EEENS1_24PointwiseOpScalarFunctorIfLi3ELi3ELi0EEEJSt10multipliesIfEfEEEvT_T0_DpT1_.num_named_barrier, 0
	.set _ZN2at6native12_GLOBAL__N_125multi_tensor_apply_kernelINS1_18TensorListMetadataILi3EEENS1_24PointwiseOpScalarFunctorIfLi3ELi3ELi0EEEJSt10multipliesIfEfEEEvT_T0_DpT1_.private_seg_size, 0
	.set _ZN2at6native12_GLOBAL__N_125multi_tensor_apply_kernelINS1_18TensorListMetadataILi3EEENS1_24PointwiseOpScalarFunctorIfLi3ELi3ELi0EEEJSt10multipliesIfEfEEEvT_T0_DpT1_.uses_vcc, 1
	.set _ZN2at6native12_GLOBAL__N_125multi_tensor_apply_kernelINS1_18TensorListMetadataILi3EEENS1_24PointwiseOpScalarFunctorIfLi3ELi3ELi0EEEJSt10multipliesIfEfEEEvT_T0_DpT1_.uses_flat_scratch, 0
	.set _ZN2at6native12_GLOBAL__N_125multi_tensor_apply_kernelINS1_18TensorListMetadataILi3EEENS1_24PointwiseOpScalarFunctorIfLi3ELi3ELi0EEEJSt10multipliesIfEfEEEvT_T0_DpT1_.has_dyn_sized_stack, 0
	.set _ZN2at6native12_GLOBAL__N_125multi_tensor_apply_kernelINS1_18TensorListMetadataILi3EEENS1_24PointwiseOpScalarFunctorIfLi3ELi3ELi0EEEJSt10multipliesIfEfEEEvT_T0_DpT1_.has_recursion, 0
	.set _ZN2at6native12_GLOBAL__N_125multi_tensor_apply_kernelINS1_18TensorListMetadataILi3EEENS1_24PointwiseOpScalarFunctorIfLi3ELi3ELi0EEEJSt10multipliesIfEfEEEvT_T0_DpT1_.has_indirect_call, 0
	.section	.AMDGPU.csdata,"",@progbits
; Kernel info:
; codeLenInByte = 1588
; TotalNumSgprs: 26
; NumVgprs: 52
; ScratchSize: 0
; MemoryBound: 0
; FloatMode: 240
; IeeeMode: 1
; LDSByteSize: 0 bytes/workgroup (compile time only)
; SGPRBlocks: 0
; VGPRBlocks: 3
; NumSGPRsForWavesPerEU: 26
; NumVGPRsForWavesPerEU: 52
; NamedBarCnt: 0
; Occupancy: 16
; WaveLimiterHint : 0
; COMPUTE_PGM_RSRC2:SCRATCH_EN: 0
; COMPUTE_PGM_RSRC2:USER_SGPR: 2
; COMPUTE_PGM_RSRC2:TRAP_HANDLER: 0
; COMPUTE_PGM_RSRC2:TGID_X_EN: 1
; COMPUTE_PGM_RSRC2:TGID_Y_EN: 0
; COMPUTE_PGM_RSRC2:TGID_Z_EN: 0
; COMPUTE_PGM_RSRC2:TIDIG_COMP_CNT: 0
	.section	.text._ZN2at6native12_GLOBAL__N_125multi_tensor_apply_kernelINS1_18TensorListMetadataILi3EEENS1_24PointwiseOpScalarFunctorIN3c107complexIdEELi3ELi3ELi0EEEJSt10multipliesIS8_ES8_EEEvT_T0_DpT1_,"axG",@progbits,_ZN2at6native12_GLOBAL__N_125multi_tensor_apply_kernelINS1_18TensorListMetadataILi3EEENS1_24PointwiseOpScalarFunctorIN3c107complexIdEELi3ELi3ELi0EEEJSt10multipliesIS8_ES8_EEEvT_T0_DpT1_,comdat
	.globl	_ZN2at6native12_GLOBAL__N_125multi_tensor_apply_kernelINS1_18TensorListMetadataILi3EEENS1_24PointwiseOpScalarFunctorIN3c107complexIdEELi3ELi3ELi0EEEJSt10multipliesIS8_ES8_EEEvT_T0_DpT1_ ; -- Begin function _ZN2at6native12_GLOBAL__N_125multi_tensor_apply_kernelINS1_18TensorListMetadataILi3EEENS1_24PointwiseOpScalarFunctorIN3c107complexIdEELi3ELi3ELi0EEEJSt10multipliesIS8_ES8_EEEvT_T0_DpT1_
	.p2align	8
	.type	_ZN2at6native12_GLOBAL__N_125multi_tensor_apply_kernelINS1_18TensorListMetadataILi3EEENS1_24PointwiseOpScalarFunctorIN3c107complexIdEELi3ELi3ELi0EEEJSt10multipliesIS8_ES8_EEEvT_T0_DpT1_,@function
_ZN2at6native12_GLOBAL__N_125multi_tensor_apply_kernelINS1_18TensorListMetadataILi3EEENS1_24PointwiseOpScalarFunctorIN3c107complexIdEELi3ELi3ELi0EEEJSt10multipliesIS8_ES8_EEEvT_T0_DpT1_: ; @_ZN2at6native12_GLOBAL__N_125multi_tensor_apply_kernelINS1_18TensorListMetadataILi3EEENS1_24PointwiseOpScalarFunctorIN3c107complexIdEELi3ELi3ELi0EEEJSt10multipliesIS8_ES8_EEEvT_T0_DpT1_
; %bb.0:
	s_bfe_u32 s2, ttmp6, 0x4000c
	s_and_b32 s3, ttmp6, 15
	s_add_co_i32 s2, s2, 1
	s_getreg_b32 s4, hwreg(HW_REG_IB_STS2, 6, 4)
	s_mul_i32 s2, ttmp9, s2
	s_delay_alu instid0(SALU_CYCLE_1) | instskip(SKIP_3) | instid1(SALU_CYCLE_1)
	s_add_co_i32 s2, s3, s2
	s_cmp_eq_u32 s4, 0
	s_mov_b32 s3, 0
	s_cselect_b32 s2, ttmp9, s2
	s_add_nc_u64 s[4:5], s[0:1], s[2:3]
	s_mul_u64 s[6:7], s[2:3], 3
	s_delay_alu instid0(SALU_CYCLE_1)
	s_add_nc_u64 s[4:5], s[4:5], s[6:7]
	s_clause 0x1
	s_load_b32 s16, s[4:5], 0x740
	s_load_u8 s6, s[0:1], s2 offset:0x600
	s_wait_kmcnt 0x0
	s_clause 0x3
	s_load_b64 s[4:5], s[0:1], s6 offset:0x180 scale_offset
	s_load_b64 s[8:9], s[0:1], s6 offset:0x300 scale_offset
	;; [unrolled: 1-line block ×4, first 2 shown]
	s_ashr_i32 s17, s16, 31
	s_delay_alu instid0(SALU_CYCLE_1)
	s_lshl_b64 s[20:21], s[16:17], 20
	s_wait_kmcnt 0x0
	s_add_nc_u64 s[6:7], s[4:5], s[20:21]
	s_add_nc_u64 s[12:13], s[8:9], s[20:21]
	s_load_b128 s[8:11], s[0:1], 0xc50
	s_or_b32 s2, s12, s6
	s_add_nc_u64 s[14:15], s[14:15], s[20:21]
	s_and_b32 s2, s2, 63
	s_and_b64 s[4:5], s[14:15], 63
	s_cmp_eq_u32 s2, 0
	s_cselect_b32 s20, -1, 0
	s_and_b32 s2, s18, 3
	s_delay_alu instid0(SALU_CYCLE_1) | instskip(SKIP_4) | instid1(SALU_CYCLE_1)
	s_or_b64 s[2:3], s[4:5], s[2:3]
	s_lshl_b64 s[4:5], s[16:17], 16
	s_cmp_eq_u64 s[2:3], 0
	s_sub_nc_u64 s[16:17], s[18:19], s[4:5]
	s_cselect_b32 s2, -1, 0
	s_and_b32 s2, s20, s2
	s_delay_alu instid0(SALU_CYCLE_1)
	s_and_b32 vcc_lo, exec_lo, s2
	s_mov_b32 s2, -1
	s_cbranch_vccnz .LBB29_37
; %bb.1:
	v_cmp_lt_i64_e64 s2, s[16:17], 1
	s_and_b32 vcc_lo, exec_lo, s2
	s_cbranch_vccnz .LBB29_36
; %bb.2:
	s_wait_kmcnt 0x0
	v_cmp_neq_f64_e64 s2, s[8:9], 1.0
	v_cmp_neq_f64_e64 s3, s[10:11], 0
	v_min_u64 v[50:51], 0x10000, s[16:17]
	s_load_b32 s4, s[0:1], 0xc6c
	v_mov_b32_e32 v1, 0
	s_mov_b32 s19, 0
	s_mov_b64 s[20:21], 0
	s_mov_b32 s23, s19
	s_mov_b32 s25, s19
	;; [unrolled: 1-line block ×3, first 2 shown]
	s_wait_kmcnt 0x0
	s_and_b32 s18, s4, 0xffff
	s_delay_alu instid0(SALU_CYCLE_1)
	s_lshl_b32 s22, s18, 1
	s_mul_i32 s24, s18, 3
	s_lshl_b32 s26, s18, 2
	s_or_b32 s28, s2, s3
	s_branch .LBB29_4
.LBB29_3:                               ;   in Loop: Header=BB29_4 Depth=1
	s_wait_xcnt 0x0
	s_or_b32 exec_lo, exec_lo, s2
	v_min_i64 v[2:3], 0x10000, s[16:17]
	s_add_nc_u64 s[20:21], s[20:21], s[26:27]
	s_delay_alu instid0(VALU_DEP_1) | instid1(SALU_CYCLE_1)
	v_cmp_ge_i64_e32 vcc_lo, s[20:21], v[2:3]
	s_cbranch_vccnz .LBB29_36
.LBB29_4:                               ; =>This Inner Loop Header: Depth=1
	v_add_nc_u64_e32 v[52:53], s[20:21], v[0:1]
	v_mov_b64_e32 v[12:13], 0
	v_mov_b64_e32 v[20:21], 0
	;; [unrolled: 1-line block ×5, first 2 shown]
	v_cmp_lt_u64_e64 s2, v[52:53], v[50:51]
	s_and_saveexec_b32 s3, s2
	s_cbranch_execz .LBB29_6
; %bb.5:                                ;   in Loop: Header=BB29_4 Depth=1
	v_lshlrev_b64_e32 v[2:3], 4, v[52:53]
	s_delay_alu instid0(VALU_DEP_1)
	v_add_nc_u64_e32 v[6:7], s[14:15], v[2:3]
	v_add_nc_u64_e32 v[8:9], s[6:7], v[2:3]
	global_load_b128 v[2:5], v[6:7], off
	global_load_b128 v[18:21], v[8:9], off
.LBB29_6:                               ;   in Loop: Header=BB29_4 Depth=1
	s_wait_xcnt 0x0
	s_or_b32 exec_lo, exec_lo, s3
	v_mov_b64_e32 v[10:11], 0
	s_and_saveexec_b32 s3, s2
	s_cbranch_execz .LBB29_8
; %bb.7:                                ;   in Loop: Header=BB29_4 Depth=1
	v_lshl_add_u64 v[6:7], v[52:53], 4, s[12:13]
	global_load_b128 v[10:13], v[6:7], off
.LBB29_8:                               ;   in Loop: Header=BB29_4 Depth=1
	s_wait_xcnt 0x0
	s_or_b32 exec_lo, exec_lo, s3
	v_add_nc_u64_e32 v[54:55], s[18:19], v[52:53]
	v_mov_b64_e32 v[24:25], 0
	v_mov_b64_e32 v[28:29], 0
	;; [unrolled: 1-line block ×5, first 2 shown]
	v_cmp_lt_u64_e64 s3, v[54:55], v[50:51]
	s_and_saveexec_b32 s4, s3
	s_cbranch_execz .LBB29_10
; %bb.9:                                ;   in Loop: Header=BB29_4 Depth=1
	v_lshlrev_b64_e32 v[6:7], 4, v[54:55]
	s_delay_alu instid0(VALU_DEP_1)
	v_add_nc_u64_e32 v[14:15], s[14:15], v[6:7]
	v_add_nc_u64_e32 v[16:17], s[6:7], v[6:7]
	global_load_b128 v[6:9], v[14:15], off
	global_load_b128 v[26:29], v[16:17], off
.LBB29_10:                              ;   in Loop: Header=BB29_4 Depth=1
	s_wait_xcnt 0x0
	s_or_b32 exec_lo, exec_lo, s4
	v_mov_b64_e32 v[22:23], 0
	s_and_saveexec_b32 s4, s3
	s_cbranch_execz .LBB29_12
; %bb.11:                               ;   in Loop: Header=BB29_4 Depth=1
	v_lshl_add_u64 v[14:15], v[54:55], 4, s[12:13]
	global_load_b128 v[22:25], v[14:15], off
.LBB29_12:                              ;   in Loop: Header=BB29_4 Depth=1
	s_wait_xcnt 0x0
	s_or_b32 exec_lo, exec_lo, s4
	v_add_nc_u64_e32 v[56:57], s[22:23], v[52:53]
	v_mov_b64_e32 v[36:37], 0
	v_mov_b64_e32 v[40:41], 0
	;; [unrolled: 1-line block ×5, first 2 shown]
	v_cmp_lt_u64_e64 s4, v[56:57], v[50:51]
	s_and_saveexec_b32 s5, s4
	s_cbranch_execz .LBB29_14
; %bb.13:                               ;   in Loop: Header=BB29_4 Depth=1
	v_lshlrev_b64_e32 v[14:15], 4, v[56:57]
	s_delay_alu instid0(VALU_DEP_1)
	v_add_nc_u64_e32 v[30:31], s[14:15], v[14:15]
	v_add_nc_u64_e32 v[32:33], s[6:7], v[14:15]
	global_load_b128 v[14:17], v[30:31], off
	global_load_b128 v[38:41], v[32:33], off
.LBB29_14:                              ;   in Loop: Header=BB29_4 Depth=1
	s_wait_xcnt 0x0
	s_or_b32 exec_lo, exec_lo, s5
	v_mov_b64_e32 v[34:35], 0
	s_and_saveexec_b32 s5, s4
	s_cbranch_execz .LBB29_16
; %bb.15:                               ;   in Loop: Header=BB29_4 Depth=1
	v_lshl_add_u64 v[30:31], v[56:57], 4, s[12:13]
	global_load_b128 v[34:37], v[30:31], off
.LBB29_16:                              ;   in Loop: Header=BB29_4 Depth=1
	s_wait_xcnt 0x0
	s_or_b32 exec_lo, exec_lo, s5
	v_add_nc_u64_e32 v[58:59], s[24:25], v[52:53]
	v_mov_b64_e32 v[44:45], 0
	v_mov_b64_e32 v[48:49], 0
	;; [unrolled: 1-line block ×5, first 2 shown]
	v_cmp_lt_u64_e64 s5, v[58:59], v[50:51]
	s_and_saveexec_b32 s29, s5
	s_cbranch_execz .LBB29_18
; %bb.17:                               ;   in Loop: Header=BB29_4 Depth=1
	v_lshlrev_b64_e32 v[30:31], 4, v[58:59]
	s_delay_alu instid0(VALU_DEP_1)
	v_add_nc_u64_e32 v[42:43], s[14:15], v[30:31]
	v_add_nc_u64_e32 v[60:61], s[6:7], v[30:31]
	global_load_b128 v[30:33], v[42:43], off
	global_load_b128 v[46:49], v[60:61], off
.LBB29_18:                              ;   in Loop: Header=BB29_4 Depth=1
	s_wait_xcnt 0x0
	s_or_b32 exec_lo, exec_lo, s29
	v_mov_b64_e32 v[42:43], 0
	s_and_saveexec_b32 s29, s5
	s_cbranch_execz .LBB29_20
; %bb.19:                               ;   in Loop: Header=BB29_4 Depth=1
	v_lshl_add_u64 v[42:43], v[58:59], 4, s[12:13]
	global_load_b128 v[42:45], v[42:43], off
.LBB29_20:                              ;   in Loop: Header=BB29_4 Depth=1
	s_wait_xcnt 0x0
	s_or_b32 exec_lo, exec_lo, s29
	s_wait_loadcnt 0x0
	v_mul_f64_e32 v[60:61], v[20:21], v[12:13]
	v_mul_f64_e32 v[20:21], v[20:21], v[10:11]
	s_and_b32 vcc_lo, exec_lo, s28
	s_delay_alu instid0(VALU_DEP_2) | instskip(NEXT) | instid1(VALU_DEP_2)
	v_fma_f64 v[10:11], v[18:19], v[10:11], -v[60:61]
	v_fmac_f64_e32 v[20:21], v[18:19], v[12:13]
	s_cbranch_vccz .LBB29_22
; %bb.21:                               ;   in Loop: Header=BB29_4 Depth=1
	s_delay_alu instid0(VALU_DEP_2) | instskip(NEXT) | instid1(VALU_DEP_2)
	v_mul_f64_e32 v[18:19], s[10:11], v[10:11]
	v_mul_f64_e32 v[12:13], s[10:11], v[20:21]
	s_delay_alu instid0(VALU_DEP_2) | instskip(NEXT) | instid1(VALU_DEP_2)
	v_fmac_f64_e32 v[18:19], s[8:9], v[20:21]
	v_fma_f64 v[10:11], s[8:9], v[10:11], -v[12:13]
	s_delay_alu instid0(VALU_DEP_2)
	v_mov_b64_e32 v[20:21], v[18:19]
.LBB29_22:                              ;   in Loop: Header=BB29_4 Depth=1
	v_mul_f64_e32 v[18:19], v[28:29], v[24:25]
	v_mul_f64_e32 v[12:13], v[28:29], v[22:23]
	s_and_not1_b32 vcc_lo, exec_lo, s28
	s_delay_alu instid0(VALU_DEP_2) | instskip(NEXT) | instid1(VALU_DEP_2)
	v_fma_f64 v[18:19], v[26:27], v[22:23], -v[18:19]
	v_fmac_f64_e32 v[12:13], v[26:27], v[24:25]
	s_cbranch_vccnz .LBB29_24
; %bb.23:                               ;   in Loop: Header=BB29_4 Depth=1
	s_delay_alu instid0(VALU_DEP_2) | instskip(NEXT) | instid1(VALU_DEP_2)
	v_mul_f64_e32 v[24:25], s[10:11], v[18:19]
	v_mul_f64_e32 v[22:23], s[10:11], v[12:13]
	s_delay_alu instid0(VALU_DEP_2) | instskip(NEXT) | instid1(VALU_DEP_2)
	v_fmac_f64_e32 v[24:25], s[8:9], v[12:13]
	v_fma_f64 v[18:19], s[8:9], v[18:19], -v[22:23]
	s_delay_alu instid0(VALU_DEP_2)
	v_mov_b64_e32 v[12:13], v[24:25]
.LBB29_24:                              ;   in Loop: Header=BB29_4 Depth=1
	v_mul_f64_e32 v[24:25], v[40:41], v[36:37]
	v_mul_f64_e32 v[22:23], v[40:41], v[34:35]
	s_and_not1_b32 vcc_lo, exec_lo, s28
	s_delay_alu instid0(VALU_DEP_2) | instskip(NEXT) | instid1(VALU_DEP_2)
	v_fma_f64 v[24:25], v[38:39], v[34:35], -v[24:25]
	v_fmac_f64_e32 v[22:23], v[38:39], v[36:37]
	s_cbranch_vccnz .LBB29_26
; %bb.25:                               ;   in Loop: Header=BB29_4 Depth=1
	s_delay_alu instid0(VALU_DEP_2) | instskip(NEXT) | instid1(VALU_DEP_2)
	v_mul_f64_e32 v[28:29], s[10:11], v[24:25]
	v_mul_f64_e32 v[26:27], s[10:11], v[22:23]
	s_delay_alu instid0(VALU_DEP_2) | instskip(NEXT) | instid1(VALU_DEP_2)
	v_fmac_f64_e32 v[28:29], s[8:9], v[22:23]
	v_fma_f64 v[24:25], s[8:9], v[24:25], -v[26:27]
	s_delay_alu instid0(VALU_DEP_2)
	v_mov_b64_e32 v[22:23], v[28:29]
.LBB29_26:                              ;   in Loop: Header=BB29_4 Depth=1
	v_mul_f64_e32 v[28:29], v[48:49], v[44:45]
	v_mul_f64_e32 v[26:27], v[48:49], v[42:43]
	s_and_not1_b32 vcc_lo, exec_lo, s28
	s_delay_alu instid0(VALU_DEP_2) | instskip(NEXT) | instid1(VALU_DEP_2)
	v_fma_f64 v[28:29], v[46:47], v[42:43], -v[28:29]
	v_fmac_f64_e32 v[26:27], v[46:47], v[44:45]
	s_cbranch_vccz .LBB29_31
; %bb.27:                               ;   in Loop: Header=BB29_4 Depth=1
	s_and_saveexec_b32 s29, s2
	s_delay_alu instid0(SALU_CYCLE_1)
	s_xor_b32 s2, exec_lo, s29
	s_cbranch_execnz .LBB29_32
.LBB29_28:                              ;   in Loop: Header=BB29_4 Depth=1
	s_or_b32 exec_lo, exec_lo, s2
	s_and_saveexec_b32 s2, s3
	s_cbranch_execnz .LBB29_33
.LBB29_29:                              ;   in Loop: Header=BB29_4 Depth=1
	s_or_b32 exec_lo, exec_lo, s2
	s_and_saveexec_b32 s2, s4
	s_cbranch_execnz .LBB29_34
.LBB29_30:                              ;   in Loop: Header=BB29_4 Depth=1
	s_or_b32 exec_lo, exec_lo, s2
	s_and_saveexec_b32 s2, s5
	s_cbranch_execz .LBB29_3
	s_branch .LBB29_35
.LBB29_31:                              ;   in Loop: Header=BB29_4 Depth=1
	s_delay_alu instid0(VALU_DEP_2) | instskip(NEXT) | instid1(VALU_DEP_2)
	v_mul_f64_e32 v[36:37], s[10:11], v[28:29]
	v_mul_f64_e32 v[34:35], s[10:11], v[26:27]
	s_delay_alu instid0(VALU_DEP_2) | instskip(NEXT) | instid1(VALU_DEP_2)
	v_fmac_f64_e32 v[36:37], s[8:9], v[26:27]
	v_fma_f64 v[28:29], s[8:9], v[28:29], -v[34:35]
	s_delay_alu instid0(VALU_DEP_2) | instskip(SKIP_1) | instid1(SALU_CYCLE_1)
	v_mov_b64_e32 v[26:27], v[36:37]
	s_and_saveexec_b32 s29, s2
	s_xor_b32 s2, exec_lo, s29
	s_cbranch_execz .LBB29_28
.LBB29_32:                              ;   in Loop: Header=BB29_4 Depth=1
	v_add_f64_e32 v[4:5], v[4:5], v[20:21]
	v_add_f64_e32 v[2:3], v[2:3], v[10:11]
	v_lshl_add_u64 v[10:11], v[52:53], 4, s[14:15]
	global_store_b128 v[10:11], v[2:5], off
	s_wait_xcnt 0x0
	s_or_b32 exec_lo, exec_lo, s2
	s_and_saveexec_b32 s2, s3
	s_cbranch_execz .LBB29_29
.LBB29_33:                              ;   in Loop: Header=BB29_4 Depth=1
	v_add_f64_e32 v[4:5], v[8:9], v[12:13]
	v_add_f64_e32 v[2:3], v[6:7], v[18:19]
	v_lshl_add_u64 v[6:7], v[54:55], 4, s[14:15]
	global_store_b128 v[6:7], v[2:5], off
	s_wait_xcnt 0x0
	s_or_b32 exec_lo, exec_lo, s2
	s_and_saveexec_b32 s2, s4
	s_cbranch_execz .LBB29_30
.LBB29_34:                              ;   in Loop: Header=BB29_4 Depth=1
	v_add_f64_e32 v[4:5], v[16:17], v[22:23]
	v_add_f64_e32 v[2:3], v[14:15], v[24:25]
	v_lshl_add_u64 v[6:7], v[56:57], 4, s[14:15]
	global_store_b128 v[6:7], v[2:5], off
	s_wait_xcnt 0x0
	s_or_b32 exec_lo, exec_lo, s2
	s_and_saveexec_b32 s2, s5
	s_cbranch_execz .LBB29_3
.LBB29_35:                              ;   in Loop: Header=BB29_4 Depth=1
	s_delay_alu instid0(VALU_DEP_1) | instskip(NEXT) | instid1(VALU_DEP_3)
	v_add_f64_e32 v[4:5], v[32:33], v[26:27]
	v_add_f64_e32 v[2:3], v[30:31], v[28:29]
	v_lshl_add_u64 v[6:7], v[58:59], 4, s[14:15]
	global_store_b128 v[6:7], v[2:5], off
	s_branch .LBB29_3
.LBB29_36:
	s_mov_b32 s2, 0
.LBB29_37:
	s_delay_alu instid0(SALU_CYCLE_1)
	s_and_not1_b32 vcc_lo, exec_lo, s2
	s_cbranch_vccnz .LBB29_49
; %bb.38:
	v_min_i64 v[42:43], 0x10000, s[16:17]
	v_dual_mov_b32 v45, 0 :: v_dual_lshlrev_b32 v44, 2, v0
	s_mov_b32 s2, exec_lo
	s_delay_alu instid0(VALU_DEP_1)
	v_cmpx_lt_i64_e64 v[44:45], v[42:43]
	s_cbranch_execz .LBB29_49
; %bb.39:
	s_wait_kmcnt 0x0
	v_cmp_neq_f64_e64 s2, s[8:9], 1.0
	v_cmp_neq_f64_e64 s3, s[10:11], 0
	s_wait_xcnt 0x0
	s_load_b32 s0, s[0:1], 0xc6c
	v_dual_mov_b32 v1, v45 :: v_dual_lshlrev_b32 v44, 6, v0
	s_wait_xcnt 0x0
	s_mov_b32 s1, 0
	s_delay_alu instid0(SALU_CYCLE_1)
	s_mov_b32 s5, s1
	s_wait_kmcnt 0x0
	s_and_b32 s0, s0, 0xffff
	s_or_b32 s4, s2, s3
	s_lshl_b32 s2, s0, 6
	s_mov_b32 s3, s1
	s_branch .LBB29_41
.LBB29_40:                              ;   in Loop: Header=BB29_41 Depth=1
	v_add_f64_e32 v[12:13], v[12:13], v[48:49]
	v_add_f64_e32 v[10:11], v[10:11], v[50:51]
	v_add_f64_e32 v[8:9], v[8:9], v[40:41]
	v_add_f64_e32 v[6:7], v[6:7], v[34:35]
	v_add_f64_e32 v[16:17], v[16:17], v[32:33]
	v_add_f64_e32 v[14:15], v[14:15], v[26:27]
	v_add_f64_e32 v[4:5], v[4:5], v[24:25]
	v_add_f64_e32 v[2:3], v[2:3], v[18:19]
	v_add_nc_u64_e32 v[0:1], s[0:1], v[0:1]
	s_add_nc_u64 s[12:13], s[12:13], s[2:3]
	s_add_nc_u64 s[14:15], s[14:15], s[2:3]
	s_add_nc_u64 s[6:7], s[6:7], s[2:3]
	s_clause 0x3
	global_store_b128 v[46:47], v[10:13], off
	global_store_b128 v[46:47], v[6:9], off offset:16
	global_store_b128 v[46:47], v[14:17], off offset:32
	;; [unrolled: 1-line block ×3, first 2 shown]
	v_lshlrev_b64_e32 v[18:19], 2, v[0:1]
	s_delay_alu instid0(VALU_DEP_1)
	v_cmp_ge_i64_e32 vcc_lo, v[18:19], v[42:43]
	s_or_b32 s5, vcc_lo, s5
	s_wait_xcnt 0x0
	s_and_not1_b32 exec_lo, exec_lo, s5
	s_cbranch_execz .LBB29_49
.LBB29_41:                              ; =>This Inner Loop Header: Depth=1
	v_add_nc_u64_e32 v[48:49], s[6:7], v[44:45]
	v_add_nc_u64_e32 v[58:59], s[12:13], v[44:45]
	;; [unrolled: 1-line block ×3, first 2 shown]
	s_and_not1_b32 vcc_lo, exec_lo, s4
	global_load_b128 v[50:53], v[48:49], off
	global_load_b128 v[54:57], v[58:59], off
	global_load_b128 v[34:37], v[48:49], off offset:16
	global_load_b128 v[38:41], v[58:59], off offset:16
	s_clause 0x3
	global_load_b128 v[2:5], v[46:47], off offset:48
	global_load_b128 v[14:17], v[46:47], off offset:32
	;; [unrolled: 1-line block ×3, first 2 shown]
	global_load_b128 v[10:13], v[46:47], off
	s_clause 0x1
	global_load_b128 v[18:21], v[48:49], off offset:48
	global_load_b128 v[26:29], v[48:49], off offset:32
	s_clause 0x1
	global_load_b128 v[22:25], v[58:59], off offset:48
	global_load_b128 v[30:33], v[58:59], off offset:32
	s_wait_loadcnt 0xa
	s_wait_xcnt 0x0
	v_mul_f64_e32 v[58:59], v[52:53], v[56:57]
	v_mul_f64_e32 v[48:49], v[50:51], v[56:57]
	s_delay_alu instid0(VALU_DEP_2) | instskip(NEXT) | instid1(VALU_DEP_2)
	v_fma_f64 v[50:51], v[50:51], v[54:55], -v[58:59]
	v_fmac_f64_e32 v[48:49], v[52:53], v[54:55]
	s_cbranch_vccnz .LBB29_43
; %bb.42:                               ;   in Loop: Header=BB29_41 Depth=1
	s_delay_alu instid0(VALU_DEP_2) | instskip(NEXT) | instid1(VALU_DEP_2)
	v_mul_f64_e32 v[54:55], s[10:11], v[50:51]
	v_mul_f64_e32 v[52:53], s[10:11], v[48:49]
	s_delay_alu instid0(VALU_DEP_2) | instskip(NEXT) | instid1(VALU_DEP_2)
	v_fmac_f64_e32 v[54:55], s[8:9], v[48:49]
	v_fma_f64 v[50:51], s[8:9], v[50:51], -v[52:53]
	s_delay_alu instid0(VALU_DEP_2)
	v_mov_b64_e32 v[48:49], v[54:55]
.LBB29_43:                              ;   in Loop: Header=BB29_41 Depth=1
	s_wait_loadcnt 0x8
	v_mul_f64_e32 v[52:53], v[36:37], v[40:41]
	v_mul_f64_e32 v[40:41], v[34:35], v[40:41]
	s_and_not1_b32 vcc_lo, exec_lo, s4
	s_delay_alu instid0(VALU_DEP_2) | instskip(NEXT) | instid1(VALU_DEP_2)
	v_fma_f64 v[34:35], v[34:35], v[38:39], -v[52:53]
	v_fmac_f64_e32 v[40:41], v[36:37], v[38:39]
	s_cbranch_vccnz .LBB29_45
; %bb.44:                               ;   in Loop: Header=BB29_41 Depth=1
	s_delay_alu instid0(VALU_DEP_2) | instskip(NEXT) | instid1(VALU_DEP_2)
	v_mul_f64_e32 v[38:39], s[10:11], v[34:35]
	v_mul_f64_e32 v[36:37], s[10:11], v[40:41]
	s_delay_alu instid0(VALU_DEP_2) | instskip(NEXT) | instid1(VALU_DEP_2)
	v_fmac_f64_e32 v[38:39], s[8:9], v[40:41]
	v_fma_f64 v[34:35], s[8:9], v[34:35], -v[36:37]
	s_delay_alu instid0(VALU_DEP_2)
	v_mov_b64_e32 v[40:41], v[38:39]
.LBB29_45:                              ;   in Loop: Header=BB29_41 Depth=1
	s_wait_loadcnt 0x0
	v_mul_f64_e32 v[36:37], v[28:29], v[32:33]
	v_mul_f64_e32 v[32:33], v[26:27], v[32:33]
	s_and_not1_b32 vcc_lo, exec_lo, s4
	s_delay_alu instid0(VALU_DEP_2) | instskip(NEXT) | instid1(VALU_DEP_2)
	v_fma_f64 v[26:27], v[26:27], v[30:31], -v[36:37]
	v_fmac_f64_e32 v[32:33], v[28:29], v[30:31]
	s_cbranch_vccnz .LBB29_47
; %bb.46:                               ;   in Loop: Header=BB29_41 Depth=1
	s_delay_alu instid0(VALU_DEP_2) | instskip(NEXT) | instid1(VALU_DEP_2)
	v_mul_f64_e32 v[30:31], s[10:11], v[26:27]
	v_mul_f64_e32 v[28:29], s[10:11], v[32:33]
	s_delay_alu instid0(VALU_DEP_2) | instskip(NEXT) | instid1(VALU_DEP_2)
	v_fmac_f64_e32 v[30:31], s[8:9], v[32:33]
	v_fma_f64 v[26:27], s[8:9], v[26:27], -v[28:29]
	s_delay_alu instid0(VALU_DEP_2)
	v_mov_b64_e32 v[32:33], v[30:31]
.LBB29_47:                              ;   in Loop: Header=BB29_41 Depth=1
	v_mul_f64_e32 v[28:29], v[20:21], v[24:25]
	v_mul_f64_e32 v[24:25], v[18:19], v[24:25]
	s_and_not1_b32 vcc_lo, exec_lo, s4
	s_delay_alu instid0(VALU_DEP_2) | instskip(NEXT) | instid1(VALU_DEP_2)
	v_fma_f64 v[18:19], v[18:19], v[22:23], -v[28:29]
	v_fmac_f64_e32 v[24:25], v[20:21], v[22:23]
	s_cbranch_vccnz .LBB29_40
; %bb.48:                               ;   in Loop: Header=BB29_41 Depth=1
	s_delay_alu instid0(VALU_DEP_2) | instskip(NEXT) | instid1(VALU_DEP_2)
	v_mul_f64_e32 v[22:23], s[10:11], v[18:19]
	v_mul_f64_e32 v[20:21], s[10:11], v[24:25]
	s_delay_alu instid0(VALU_DEP_2) | instskip(NEXT) | instid1(VALU_DEP_2)
	v_fmac_f64_e32 v[22:23], s[8:9], v[24:25]
	v_fma_f64 v[18:19], s[8:9], v[18:19], -v[20:21]
	s_delay_alu instid0(VALU_DEP_2)
	v_mov_b64_e32 v[24:25], v[22:23]
	s_branch .LBB29_40
.LBB29_49:
	s_endpgm
	.section	.rodata,"a",@progbits
	.p2align	6, 0x0
	.amdhsa_kernel _ZN2at6native12_GLOBAL__N_125multi_tensor_apply_kernelINS1_18TensorListMetadataILi3EEENS1_24PointwiseOpScalarFunctorIN3c107complexIdEELi3ELi3ELi0EEEJSt10multipliesIS8_ES8_EEEvT_T0_DpT1_
		.amdhsa_group_segment_fixed_size 0
		.amdhsa_private_segment_fixed_size 0
		.amdhsa_kernarg_size 3424
		.amdhsa_user_sgpr_count 2
		.amdhsa_user_sgpr_dispatch_ptr 0
		.amdhsa_user_sgpr_queue_ptr 0
		.amdhsa_user_sgpr_kernarg_segment_ptr 1
		.amdhsa_user_sgpr_dispatch_id 0
		.amdhsa_user_sgpr_kernarg_preload_length 0
		.amdhsa_user_sgpr_kernarg_preload_offset 0
		.amdhsa_user_sgpr_private_segment_size 0
		.amdhsa_wavefront_size32 1
		.amdhsa_uses_dynamic_stack 0
		.amdhsa_enable_private_segment 0
		.amdhsa_system_sgpr_workgroup_id_x 1
		.amdhsa_system_sgpr_workgroup_id_y 0
		.amdhsa_system_sgpr_workgroup_id_z 0
		.amdhsa_system_sgpr_workgroup_info 0
		.amdhsa_system_vgpr_workitem_id 0
		.amdhsa_next_free_vgpr 62
		.amdhsa_next_free_sgpr 30
		.amdhsa_named_barrier_count 0
		.amdhsa_reserve_vcc 1
		.amdhsa_float_round_mode_32 0
		.amdhsa_float_round_mode_16_64 0
		.amdhsa_float_denorm_mode_32 3
		.amdhsa_float_denorm_mode_16_64 3
		.amdhsa_fp16_overflow 0
		.amdhsa_memory_ordered 1
		.amdhsa_forward_progress 1
		.amdhsa_inst_pref_size 17
		.amdhsa_round_robin_scheduling 0
		.amdhsa_exception_fp_ieee_invalid_op 0
		.amdhsa_exception_fp_denorm_src 0
		.amdhsa_exception_fp_ieee_div_zero 0
		.amdhsa_exception_fp_ieee_overflow 0
		.amdhsa_exception_fp_ieee_underflow 0
		.amdhsa_exception_fp_ieee_inexact 0
		.amdhsa_exception_int_div_zero 0
	.end_amdhsa_kernel
	.section	.text._ZN2at6native12_GLOBAL__N_125multi_tensor_apply_kernelINS1_18TensorListMetadataILi3EEENS1_24PointwiseOpScalarFunctorIN3c107complexIdEELi3ELi3ELi0EEEJSt10multipliesIS8_ES8_EEEvT_T0_DpT1_,"axG",@progbits,_ZN2at6native12_GLOBAL__N_125multi_tensor_apply_kernelINS1_18TensorListMetadataILi3EEENS1_24PointwiseOpScalarFunctorIN3c107complexIdEELi3ELi3ELi0EEEJSt10multipliesIS8_ES8_EEEvT_T0_DpT1_,comdat
.Lfunc_end29:
	.size	_ZN2at6native12_GLOBAL__N_125multi_tensor_apply_kernelINS1_18TensorListMetadataILi3EEENS1_24PointwiseOpScalarFunctorIN3c107complexIdEELi3ELi3ELi0EEEJSt10multipliesIS8_ES8_EEEvT_T0_DpT1_, .Lfunc_end29-_ZN2at6native12_GLOBAL__N_125multi_tensor_apply_kernelINS1_18TensorListMetadataILi3EEENS1_24PointwiseOpScalarFunctorIN3c107complexIdEELi3ELi3ELi0EEEJSt10multipliesIS8_ES8_EEEvT_T0_DpT1_
                                        ; -- End function
	.set _ZN2at6native12_GLOBAL__N_125multi_tensor_apply_kernelINS1_18TensorListMetadataILi3EEENS1_24PointwiseOpScalarFunctorIN3c107complexIdEELi3ELi3ELi0EEEJSt10multipliesIS8_ES8_EEEvT_T0_DpT1_.num_vgpr, 62
	.set _ZN2at6native12_GLOBAL__N_125multi_tensor_apply_kernelINS1_18TensorListMetadataILi3EEENS1_24PointwiseOpScalarFunctorIN3c107complexIdEELi3ELi3ELi0EEEJSt10multipliesIS8_ES8_EEEvT_T0_DpT1_.num_agpr, 0
	.set _ZN2at6native12_GLOBAL__N_125multi_tensor_apply_kernelINS1_18TensorListMetadataILi3EEENS1_24PointwiseOpScalarFunctorIN3c107complexIdEELi3ELi3ELi0EEEJSt10multipliesIS8_ES8_EEEvT_T0_DpT1_.numbered_sgpr, 30
	.set _ZN2at6native12_GLOBAL__N_125multi_tensor_apply_kernelINS1_18TensorListMetadataILi3EEENS1_24PointwiseOpScalarFunctorIN3c107complexIdEELi3ELi3ELi0EEEJSt10multipliesIS8_ES8_EEEvT_T0_DpT1_.num_named_barrier, 0
	.set _ZN2at6native12_GLOBAL__N_125multi_tensor_apply_kernelINS1_18TensorListMetadataILi3EEENS1_24PointwiseOpScalarFunctorIN3c107complexIdEELi3ELi3ELi0EEEJSt10multipliesIS8_ES8_EEEvT_T0_DpT1_.private_seg_size, 0
	.set _ZN2at6native12_GLOBAL__N_125multi_tensor_apply_kernelINS1_18TensorListMetadataILi3EEENS1_24PointwiseOpScalarFunctorIN3c107complexIdEELi3ELi3ELi0EEEJSt10multipliesIS8_ES8_EEEvT_T0_DpT1_.uses_vcc, 1
	.set _ZN2at6native12_GLOBAL__N_125multi_tensor_apply_kernelINS1_18TensorListMetadataILi3EEENS1_24PointwiseOpScalarFunctorIN3c107complexIdEELi3ELi3ELi0EEEJSt10multipliesIS8_ES8_EEEvT_T0_DpT1_.uses_flat_scratch, 0
	.set _ZN2at6native12_GLOBAL__N_125multi_tensor_apply_kernelINS1_18TensorListMetadataILi3EEENS1_24PointwiseOpScalarFunctorIN3c107complexIdEELi3ELi3ELi0EEEJSt10multipliesIS8_ES8_EEEvT_T0_DpT1_.has_dyn_sized_stack, 0
	.set _ZN2at6native12_GLOBAL__N_125multi_tensor_apply_kernelINS1_18TensorListMetadataILi3EEENS1_24PointwiseOpScalarFunctorIN3c107complexIdEELi3ELi3ELi0EEEJSt10multipliesIS8_ES8_EEEvT_T0_DpT1_.has_recursion, 0
	.set _ZN2at6native12_GLOBAL__N_125multi_tensor_apply_kernelINS1_18TensorListMetadataILi3EEENS1_24PointwiseOpScalarFunctorIN3c107complexIdEELi3ELi3ELi0EEEJSt10multipliesIS8_ES8_EEEvT_T0_DpT1_.has_indirect_call, 0
	.section	.AMDGPU.csdata,"",@progbits
; Kernel info:
; codeLenInByte = 2132
; TotalNumSgprs: 32
; NumVgprs: 62
; ScratchSize: 0
; MemoryBound: 1
; FloatMode: 240
; IeeeMode: 1
; LDSByteSize: 0 bytes/workgroup (compile time only)
; SGPRBlocks: 0
; VGPRBlocks: 3
; NumSGPRsForWavesPerEU: 32
; NumVGPRsForWavesPerEU: 62
; NamedBarCnt: 0
; Occupancy: 16
; WaveLimiterHint : 0
; COMPUTE_PGM_RSRC2:SCRATCH_EN: 0
; COMPUTE_PGM_RSRC2:USER_SGPR: 2
; COMPUTE_PGM_RSRC2:TRAP_HANDLER: 0
; COMPUTE_PGM_RSRC2:TGID_X_EN: 1
; COMPUTE_PGM_RSRC2:TGID_Y_EN: 0
; COMPUTE_PGM_RSRC2:TGID_Z_EN: 0
; COMPUTE_PGM_RSRC2:TIDIG_COMP_CNT: 0
	.section	.text._ZN2at6native12_GLOBAL__N_125multi_tensor_apply_kernelINS1_18TensorListMetadataILi3EEENS1_24PointwiseOpScalarFunctorIN3c107complexIfEELi3ELi3ELi0EEEJSt10multipliesIS8_ES8_EEEvT_T0_DpT1_,"axG",@progbits,_ZN2at6native12_GLOBAL__N_125multi_tensor_apply_kernelINS1_18TensorListMetadataILi3EEENS1_24PointwiseOpScalarFunctorIN3c107complexIfEELi3ELi3ELi0EEEJSt10multipliesIS8_ES8_EEEvT_T0_DpT1_,comdat
	.globl	_ZN2at6native12_GLOBAL__N_125multi_tensor_apply_kernelINS1_18TensorListMetadataILi3EEENS1_24PointwiseOpScalarFunctorIN3c107complexIfEELi3ELi3ELi0EEEJSt10multipliesIS8_ES8_EEEvT_T0_DpT1_ ; -- Begin function _ZN2at6native12_GLOBAL__N_125multi_tensor_apply_kernelINS1_18TensorListMetadataILi3EEENS1_24PointwiseOpScalarFunctorIN3c107complexIfEELi3ELi3ELi0EEEJSt10multipliesIS8_ES8_EEEvT_T0_DpT1_
	.p2align	8
	.type	_ZN2at6native12_GLOBAL__N_125multi_tensor_apply_kernelINS1_18TensorListMetadataILi3EEENS1_24PointwiseOpScalarFunctorIN3c107complexIfEELi3ELi3ELi0EEEJSt10multipliesIS8_ES8_EEEvT_T0_DpT1_,@function
_ZN2at6native12_GLOBAL__N_125multi_tensor_apply_kernelINS1_18TensorListMetadataILi3EEENS1_24PointwiseOpScalarFunctorIN3c107complexIfEELi3ELi3ELi0EEEJSt10multipliesIS8_ES8_EEEvT_T0_DpT1_: ; @_ZN2at6native12_GLOBAL__N_125multi_tensor_apply_kernelINS1_18TensorListMetadataILi3EEENS1_24PointwiseOpScalarFunctorIN3c107complexIfEELi3ELi3ELi0EEEJSt10multipliesIS8_ES8_EEEvT_T0_DpT1_
; %bb.0:
	s_bfe_u32 s2, ttmp6, 0x4000c
	s_and_b32 s3, ttmp6, 15
	s_add_co_i32 s2, s2, 1
	s_getreg_b32 s4, hwreg(HW_REG_IB_STS2, 6, 4)
	s_mul_i32 s2, ttmp9, s2
	s_load_b64 s[12:13], s[0:1], 0xc50
	s_add_co_i32 s2, s3, s2
	s_cmp_eq_u32 s4, 0
	s_mov_b32 s3, 0
	s_cselect_b32 s2, ttmp9, s2
	s_delay_alu instid0(SALU_CYCLE_1) | instskip(SKIP_1) | instid1(SALU_CYCLE_1)
	s_add_nc_u64 s[4:5], s[0:1], s[2:3]
	s_mul_u64 s[6:7], s[2:3], 3
	s_add_nc_u64 s[4:5], s[4:5], s[6:7]
	s_clause 0x1
	s_load_b32 s16, s[4:5], 0x740
	s_load_u8 s6, s[0:1], s2 offset:0x600
	s_wait_kmcnt 0x0
	s_clause 0x3
	s_load_b64 s[4:5], s[0:1], s6 offset:0x180 scale_offset
	s_load_b64 s[20:21], s[0:1], s6 offset:0x300 scale_offset
	;; [unrolled: 1-line block ×4, first 2 shown]
	s_ashr_i32 s17, s16, 31
	s_delay_alu instid0(SALU_CYCLE_1)
	s_lshl_b64 s[14:15], s[16:17], 19
	s_wait_kmcnt 0x0
	s_add_nc_u64 s[6:7], s[4:5], s[14:15]
	s_add_nc_u64 s[8:9], s[20:21], s[14:15]
	s_add_nc_u64 s[10:11], s[22:23], s[14:15]
	s_or_b32 s2, s8, s6
	s_and_b64 s[24:25], s[10:11], 31
	s_and_b32 s2, s2, 31
	s_delay_alu instid0(SALU_CYCLE_1)
	s_cmp_eq_u32 s2, 0
	s_cselect_b32 s26, -1, 0
	s_and_b32 s2, s18, 3
	s_lshl_b64 s[16:17], s[16:17], 16
	s_or_b64 s[2:3], s[24:25], s[2:3]
	s_sub_nc_u64 s[16:17], s[18:19], s[16:17]
	s_cmp_eq_u64 s[2:3], 0
	s_cselect_b32 s2, -1, 0
	s_delay_alu instid0(SALU_CYCLE_1) | instskip(NEXT) | instid1(SALU_CYCLE_1)
	s_and_b32 s2, s26, s2
	s_and_b32 vcc_lo, exec_lo, s2
	s_mov_b32 s2, -1
	s_cbranch_vccnz .LBB30_29
; %bb.1:
	v_cmp_lt_i64_e64 s2, s[16:17], 1
	s_and_b32 vcc_lo, exec_lo, s2
	s_cbranch_vccnz .LBB30_28
; %bb.2:
	s_load_b32 s2, s[0:1], 0xc64
	v_min_i64 v[2:3], 0x10000, s[16:17]
	v_min_u64 v[4:5], 0x10000, s[16:17]
	v_dual_mov_b32 v1, 0 :: v_dual_lshlrev_b32 v18, 3, v0
	s_and_b32 s18, s13, 0x7fffffff
	s_mov_b32 s25, 0
	s_delay_alu instid0(VALU_DEP_1) | instskip(SKIP_3) | instid1(VALU_DEP_1)
	v_dual_mov_b32 v19, v1 :: v_dual_mov_b32 v35, v1
	s_mov_b32 s3, s25
	s_mov_b32 s29, s25
	;; [unrolled: 1-line block ×3, first 2 shown]
	v_add_nc_u64_e32 v[6:7], s[22:23], v[18:19]
	v_add_nc_u64_e32 v[8:9], s[4:5], v[18:19]
	;; [unrolled: 1-line block ×3, first 2 shown]
	s_mov_b32 s19, s25
	s_wait_kmcnt 0x0
	s_and_b32 s24, s2, 0xffff
	s_delay_alu instid0(SALU_CYCLE_1)
	s_lshl_b32 s2, s24, 1
	s_cmp_eq_u32 s18, 0
	v_add_nc_u64_e32 v[12:13], s[24:25], v[0:1]
	s_cselect_b32 s30, -1, 0
	s_cmp_eq_f32 s12, 1.0
	v_mad_nc_u64_u32 v[22:23], s24, 24, v[18:19]
	v_add_nc_u64_e32 v[16:17], s[2:3], v[0:1]
	s_mul_i32 s26, s24, 3
	s_cselect_b32 s2, -1, 0
	s_lshl_b32 s28, s24, 4
	v_lshlrev_b32_e32 v34, 3, v12
	v_add_nc_u64_e32 v[30:31], s[28:29], v[18:19]
	v_add_nc_u64_e32 v[14:15], s[26:27], v[0:1]
	s_lshl_b32 s18, s24, 2
	s_and_b32 s2, s2, s30
	v_add_nc_u64_e32 v[24:25], s[22:23], v[34:35]
	v_add_nc_u64_e32 v[18:19], s[22:23], v[22:23]
	;; [unrolled: 1-line block ×9, first 2 shown]
	s_mov_b32 s20, s13
	s_mov_b32 s21, s12
	s_lshl_b32 s22, s24, 5
	s_mov_b32 s23, s25
	s_mov_b64 s[24:25], 0
	s_branch .LBB30_4
.LBB30_3:                               ;   in Loop: Header=BB30_4 Depth=1
	s_wait_xcnt 0x0
	s_or_b32 exec_lo, exec_lo, s3
	s_add_nc_u64 s[24:25], s[24:25], s[18:19]
	v_add_nc_u64_e32 v[6:7], s[22:23], v[6:7]
	v_cmp_lt_i64_e32 vcc_lo, s[24:25], v[2:3]
	v_add_nc_u64_e32 v[8:9], s[22:23], v[8:9]
	v_add_nc_u64_e32 v[10:11], s[22:23], v[10:11]
	;; [unrolled: 1-line block ×11, first 2 shown]
	s_cbranch_vccz .LBB30_28
.LBB30_4:                               ; =>This Inner Loop Header: Depth=1
	s_wait_loadcnt 0x1
	v_add_nc_u64_e32 v[36:37], s[24:25], v[0:1]
	s_wait_loadcnt 0x0
	v_dual_mov_b32 v41, 0 :: v_dual_mov_b32 v40, 0
	s_delay_alu instid0(VALU_DEP_2)
	v_cmp_lt_u64_e32 vcc_lo, v[36:37], v[4:5]
	v_dual_mov_b32 v36, 0 :: v_dual_mov_b32 v37, 0
	s_and_saveexec_b32 s3, vcc_lo
	s_cbranch_execz .LBB30_6
; %bb.5:                                ;   in Loop: Header=BB30_4 Depth=1
	v_add_nc_u64_e32 v[38:39], s[14:15], v[6:7]
	v_add_nc_u64_e32 v[42:43], s[14:15], v[8:9]
	global_load_b64 v[36:37], v[38:39], off
	global_load_b64 v[40:41], v[42:43], off
.LBB30_6:                               ;   in Loop: Header=BB30_4 Depth=1
	s_wait_xcnt 0x0
	s_or_b32 exec_lo, exec_lo, s3
	v_dual_mov_b32 v39, 0 :: v_dual_mov_b32 v50, 0
	v_mov_b32_e32 v51, 0
	s_and_saveexec_b32 s3, vcc_lo
	s_cbranch_execz .LBB30_8
; %bb.7:                                ;   in Loop: Header=BB30_4 Depth=1
	v_add_nc_u64_e32 v[42:43], s[14:15], v[10:11]
	global_load_b64 v[50:51], v[42:43], off
.LBB30_8:                               ;   in Loop: Header=BB30_4 Depth=1
	s_wait_xcnt 0x0
	s_or_b32 exec_lo, exec_lo, s3
	v_add_nc_u64_e32 v[42:43], s[24:25], v[12:13]
	v_mov_b32_e32 v38, 0
	s_delay_alu instid0(VALU_DEP_2)
	v_cmp_lt_u64_e64 s3, v[42:43], v[4:5]
	v_dual_mov_b32 v42, 0 :: v_dual_mov_b32 v43, 0
	s_and_saveexec_b32 s4, s3
	s_cbranch_execz .LBB30_10
; %bb.9:                                ;   in Loop: Header=BB30_4 Depth=1
	v_add_nc_u64_e32 v[44:45], s[14:15], v[24:25]
	v_add_nc_u64_e32 v[46:47], s[14:15], v[32:33]
	global_load_b64 v[42:43], v[44:45], off
	global_load_b64 v[38:39], v[46:47], off
.LBB30_10:                              ;   in Loop: Header=BB30_4 Depth=1
	s_wait_xcnt 0x0
	s_or_b32 exec_lo, exec_lo, s4
	v_dual_mov_b32 v45, 0 :: v_dual_mov_b32 v54, 0
	v_mov_b32_e32 v55, 0
	s_and_saveexec_b32 s4, s3
	s_cbranch_execz .LBB30_12
; %bb.11:                               ;   in Loop: Header=BB30_4 Depth=1
	v_add_nc_u64_e32 v[46:47], s[14:15], v[34:35]
	global_load_b64 v[54:55], v[46:47], off
.LBB30_12:                              ;   in Loop: Header=BB30_4 Depth=1
	s_wait_xcnt 0x0
	s_or_b32 exec_lo, exec_lo, s4
	v_add_nc_u64_e32 v[46:47], s[24:25], v[16:17]
	v_mov_b32_e32 v44, 0
	s_delay_alu instid0(VALU_DEP_2)
	v_cmp_lt_u64_e64 s4, v[46:47], v[4:5]
	v_dual_mov_b32 v46, 0 :: v_dual_mov_b32 v47, 0
	s_and_saveexec_b32 s5, s4
	s_cbranch_execz .LBB30_14
; %bb.13:                               ;   in Loop: Header=BB30_4 Depth=1
	v_add_nc_u64_e32 v[48:49], s[14:15], v[26:27]
	v_add_nc_u64_e32 v[52:53], s[14:15], v[28:29]
	global_load_b64 v[46:47], v[48:49], off
	global_load_b64 v[44:45], v[52:53], off
.LBB30_14:                              ;   in Loop: Header=BB30_4 Depth=1
	s_wait_xcnt 0x0
	s_or_b32 exec_lo, exec_lo, s5
	v_dual_mov_b32 v49, 0 :: v_dual_mov_b32 v56, 0
	v_mov_b32_e32 v57, 0
	s_and_saveexec_b32 s5, s4
	s_cbranch_execz .LBB30_16
; %bb.15:                               ;   in Loop: Header=BB30_4 Depth=1
	v_add_nc_u64_e32 v[52:53], s[14:15], v[30:31]
	global_load_b64 v[56:57], v[52:53], off
.LBB30_16:                              ;   in Loop: Header=BB30_4 Depth=1
	s_wait_xcnt 0x0
	s_or_b32 exec_lo, exec_lo, s5
	v_add_nc_u64_e32 v[52:53], s[24:25], v[14:15]
	v_mov_b32_e32 v48, 0
	s_delay_alu instid0(VALU_DEP_2)
	v_cmp_lt_u64_e64 s5, v[52:53], v[4:5]
	v_dual_mov_b32 v52, 0 :: v_dual_mov_b32 v53, 0
	s_and_saveexec_b32 s26, s5
	s_cbranch_execz .LBB30_18
; %bb.17:                               ;   in Loop: Header=BB30_4 Depth=1
	v_add_nc_u64_e32 v[58:59], s[14:15], v[18:19]
	v_add_nc_u64_e32 v[60:61], s[14:15], v[20:21]
	global_load_b64 v[52:53], v[58:59], off
	global_load_b64 v[48:49], v[60:61], off
.LBB30_18:                              ;   in Loop: Header=BB30_4 Depth=1
	s_wait_xcnt 0x0
	s_or_b32 exec_lo, exec_lo, s26
	v_dual_mov_b32 v58, 0 :: v_dual_mov_b32 v59, 0
	s_and_saveexec_b32 s26, s5
	s_cbranch_execnz .LBB30_23
; %bb.19:                               ;   in Loop: Header=BB30_4 Depth=1
	s_or_b32 exec_lo, exec_lo, s26
	s_and_saveexec_b32 s26, vcc_lo
	s_cbranch_execnz .LBB30_24
.LBB30_20:                              ;   in Loop: Header=BB30_4 Depth=1
	s_or_b32 exec_lo, exec_lo, s26
	s_and_saveexec_b32 s26, s3
	s_cbranch_execnz .LBB30_25
.LBB30_21:                              ;   in Loop: Header=BB30_4 Depth=1
	s_or_b32 exec_lo, exec_lo, s26
	s_and_saveexec_b32 s3, s4
	s_cbranch_execnz .LBB30_26
.LBB30_22:                              ;   in Loop: Header=BB30_4 Depth=1
	s_or_b32 exec_lo, exec_lo, s3
	s_and_saveexec_b32 s3, s5
	s_cbranch_execz .LBB30_3
	s_branch .LBB30_27
.LBB30_23:                              ;   in Loop: Header=BB30_4 Depth=1
	v_add_nc_u64_e32 v[58:59], s[14:15], v[22:23]
	global_load_b64 v[58:59], v[58:59], off
	s_wait_xcnt 0x0
	s_or_b32 exec_lo, exec_lo, s26
	s_and_saveexec_b32 s26, vcc_lo
	s_cbranch_execz .LBB30_20
.LBB30_24:                              ;   in Loop: Header=BB30_4 Depth=1
	s_wait_loadcnt 0x0
	v_dual_mov_b32 v60, v41 :: v_dual_mov_b32 v62, v51
	v_mov_b32_e32 v63, v50
	v_mov_b64_e32 v[66:67], s[12:13]
	s_delay_alu instid0(VALU_DEP_2) | instskip(SKIP_1) | instid1(VALU_DEP_2)
	v_pk_mul_f32 v[60:61], v[60:61], v[62:63] op_sel_hi:[0,1]
	v_mov_b64_e32 v[62:63], s[20:21]
	v_pk_fma_f32 v[64:65], v[40:41], v[50:51], v[60:61] op_sel_hi:[0,1,1]
	v_pk_fma_f32 v[40:41], v[40:41], v[50:51], v[60:61] op_sel_hi:[0,1,1] neg_lo:[0,0,1] neg_hi:[0,0,1]
	s_delay_alu instid0(VALU_DEP_2) | instskip(NEXT) | instid1(VALU_DEP_1)
	v_pk_mul_f32 v[50:51], v[64:65], v[62:63] op_sel:[1,0]
	v_pk_fma_f32 v[60:61], v[40:41], v[66:67], v[50:51] op_sel_hi:[0,1,1]
	v_pk_fma_f32 v[50:51], v[40:41], v[66:67], v[50:51] neg_lo:[0,0,1] neg_hi:[0,0,1]
	s_delay_alu instid0(VALU_DEP_1) | instskip(SKIP_1) | instid1(VALU_DEP_2)
	v_dual_cndmask_b32 v41, v61, v65, s2 :: v_dual_cndmask_b32 v40, v50, v40, s2
	v_add_nc_u64_e32 v[50:51], s[14:15], v[6:7]
	v_pk_add_f32 v[36:37], v[36:37], v[40:41]
	global_store_b64 v[50:51], v[36:37], off
	s_wait_xcnt 0x0
	s_or_b32 exec_lo, exec_lo, s26
	s_and_saveexec_b32 s26, s3
	s_cbranch_execz .LBB30_21
.LBB30_25:                              ;   in Loop: Header=BB30_4 Depth=1
	s_wait_loadcnt 0x0
	v_dual_mov_b32 v36, v39 :: v_dual_mov_b32 v40, v55
	v_mov_b32_e32 v41, v54
	v_mov_b64_e32 v[60:61], s[12:13]
	s_delay_alu instid0(VALU_DEP_2) | instskip(SKIP_1) | instid1(VALU_DEP_2)
	v_pk_mul_f32 v[36:37], v[36:37], v[40:41] op_sel_hi:[0,1]
	v_mov_b64_e32 v[40:41], s[20:21]
	v_pk_fma_f32 v[50:51], v[38:39], v[54:55], v[36:37] op_sel_hi:[0,1,1]
	v_pk_fma_f32 v[36:37], v[38:39], v[54:55], v[36:37] op_sel_hi:[0,1,1] neg_lo:[0,0,1] neg_hi:[0,0,1]
	s_delay_alu instid0(VALU_DEP_2) | instskip(NEXT) | instid1(VALU_DEP_1)
	v_pk_mul_f32 v[38:39], v[50:51], v[40:41] op_sel:[1,0]
	v_pk_fma_f32 v[40:41], v[36:37], v[60:61], v[38:39] op_sel_hi:[0,1,1]
	v_pk_fma_f32 v[38:39], v[36:37], v[60:61], v[38:39] neg_lo:[0,0,1] neg_hi:[0,0,1]
	s_delay_alu instid0(VALU_DEP_1) | instskip(SKIP_1) | instid1(VALU_DEP_2)
	v_dual_cndmask_b32 v37, v41, v51, s2 :: v_dual_cndmask_b32 v36, v38, v36, s2
	v_add_nc_u64_e32 v[38:39], s[14:15], v[24:25]
	v_pk_add_f32 v[36:37], v[42:43], v[36:37]
	global_store_b64 v[38:39], v[36:37], off
	s_wait_xcnt 0x0
	s_or_b32 exec_lo, exec_lo, s26
	s_and_saveexec_b32 s3, s4
	s_cbranch_execz .LBB30_22
.LBB30_26:                              ;   in Loop: Header=BB30_4 Depth=1
	s_wait_loadcnt 0x0
	v_dual_mov_b32 v36, v45 :: v_dual_mov_b32 v38, v57
	v_mov_b32_e32 v39, v56
	v_mov_b64_e32 v[42:43], s[12:13]
	s_delay_alu instid0(VALU_DEP_2) | instskip(SKIP_1) | instid1(VALU_DEP_2)
	v_pk_mul_f32 v[36:37], v[36:37], v[38:39] op_sel_hi:[0,1]
	v_mov_b64_e32 v[38:39], s[20:21]
	v_pk_fma_f32 v[40:41], v[44:45], v[56:57], v[36:37] op_sel_hi:[0,1,1]
	v_pk_fma_f32 v[36:37], v[44:45], v[56:57], v[36:37] op_sel_hi:[0,1,1] neg_lo:[0,0,1] neg_hi:[0,0,1]
	s_delay_alu instid0(VALU_DEP_2) | instskip(NEXT) | instid1(VALU_DEP_1)
	v_pk_mul_f32 v[38:39], v[40:41], v[38:39] op_sel:[1,0]
	v_pk_fma_f32 v[44:45], v[36:37], v[42:43], v[38:39] op_sel_hi:[0,1,1]
	v_pk_fma_f32 v[38:39], v[36:37], v[42:43], v[38:39] neg_lo:[0,0,1] neg_hi:[0,0,1]
	s_delay_alu instid0(VALU_DEP_1) | instskip(SKIP_1) | instid1(VALU_DEP_2)
	v_dual_cndmask_b32 v37, v45, v41, s2 :: v_dual_cndmask_b32 v36, v38, v36, s2
	v_add_nc_u64_e32 v[38:39], s[14:15], v[26:27]
	v_pk_add_f32 v[36:37], v[46:47], v[36:37]
	global_store_b64 v[38:39], v[36:37], off
	s_wait_xcnt 0x0
	s_or_b32 exec_lo, exec_lo, s3
	s_and_saveexec_b32 s3, s5
	s_cbranch_execz .LBB30_3
.LBB30_27:                              ;   in Loop: Header=BB30_4 Depth=1
	s_wait_loadcnt 0x0
	v_dual_mov_b32 v36, v49 :: v_dual_mov_b32 v38, v59
	v_mov_b32_e32 v39, v58
	v_mov_b64_e32 v[42:43], s[12:13]
	s_delay_alu instid0(VALU_DEP_2) | instskip(SKIP_1) | instid1(VALU_DEP_2)
	v_pk_mul_f32 v[36:37], v[36:37], v[38:39] op_sel_hi:[0,1]
	v_mov_b64_e32 v[38:39], s[20:21]
	v_pk_fma_f32 v[40:41], v[48:49], v[58:59], v[36:37] op_sel_hi:[0,1,1]
	v_pk_fma_f32 v[36:37], v[48:49], v[58:59], v[36:37] op_sel_hi:[0,1,1] neg_lo:[0,0,1] neg_hi:[0,0,1]
	s_delay_alu instid0(VALU_DEP_2) | instskip(NEXT) | instid1(VALU_DEP_1)
	v_pk_mul_f32 v[38:39], v[40:41], v[38:39] op_sel:[1,0]
	v_pk_fma_f32 v[44:45], v[36:37], v[42:43], v[38:39] op_sel_hi:[0,1,1]
	v_pk_fma_f32 v[38:39], v[36:37], v[42:43], v[38:39] neg_lo:[0,0,1] neg_hi:[0,0,1]
	s_delay_alu instid0(VALU_DEP_1) | instskip(SKIP_1) | instid1(VALU_DEP_2)
	v_dual_cndmask_b32 v37, v45, v41, s2 :: v_dual_cndmask_b32 v36, v38, v36, s2
	v_add_nc_u64_e32 v[38:39], s[14:15], v[18:19]
	v_pk_add_f32 v[36:37], v[52:53], v[36:37]
	global_store_b64 v[38:39], v[36:37], off
	s_branch .LBB30_3
.LBB30_28:
	s_mov_b32 s2, 0
.LBB30_29:
	s_delay_alu instid0(SALU_CYCLE_1)
	s_and_not1_b32 vcc_lo, exec_lo, s2
	s_cbranch_vccnz .LBB30_33
; %bb.30:
	v_min_i64 v[2:3], 0x10000, s[16:17]
	v_dual_mov_b32 v5, 0 :: v_dual_lshlrev_b32 v4, 2, v0
	s_mov_b32 s2, exec_lo
	s_delay_alu instid0(VALU_DEP_1)
	v_cmpx_lt_i64_e64 v[4:5], v[2:3]
	s_cbranch_execz .LBB30_33
; %bb.31:
	s_load_b32 s2, s[0:1], 0xc64
	s_cmp_eq_f32 s12, 1.0
	s_wait_xcnt 0x0
	s_mov_b32 s0, s13
	s_mov_b32 s1, s12
	v_mov_b64_e32 v[6:7], s[12:13]
	s_cselect_b32 s4, -1, 0
	s_and_b32 s12, s13, 0x7fffffff
	v_mov_b64_e32 v[8:9], s[0:1]
	s_cmp_eq_u32 s12, 0
	v_dual_mov_b32 v1, v5 :: v_dual_lshlrev_b32 v4, 5, v0
	s_mov_b32 s3, 0
	s_cselect_b32 s0, -1, 0
	s_mov_b32 s5, s3
	s_and_b32 vcc_lo, s4, s0
	s_mov_b32 s1, s3
	s_wait_kmcnt 0x0
	s_and_b32 s2, s2, 0xffff
	s_delay_alu instid0(SALU_CYCLE_1)
	s_lshl_b32 s4, s2, 5
.LBB30_32:                              ; =>This Inner Loop Header: Depth=1
	v_add_nc_u64_e32 v[26:27], s[6:7], v[4:5]
	v_add_nc_u64_e32 v[28:29], s[8:9], v[4:5]
	v_add_nc_u64_e32 v[34:35], s[10:11], v[4:5]
	v_add_nc_u64_e32 v[0:1], s[2:3], v[0:1]
	s_add_nc_u64 s[8:9], s[8:9], s[4:5]
	s_add_nc_u64 s[10:11], s[10:11], s[4:5]
	;; [unrolled: 1-line block ×3, first 2 shown]
	global_load_b128 v[10:13], v[26:27], off
	s_clause 0x1
	global_load_b128 v[14:17], v[28:29], off
	global_load_b128 v[18:21], v[28:29], off offset:16
	global_load_b128 v[22:25], v[26:27], off offset:16
	s_clause 0x1
	global_load_b128 v[26:29], v[34:35], off
	global_load_b128 v[30:33], v[34:35], off offset:16
	s_wait_loadcnt 0x7
	v_lshlrev_b64_e32 v[36:37], 2, v[0:1]
	s_delay_alu instid0(VALU_DEP_1)
	v_cmp_ge_i64_e64 s0, v[36:37], v[2:3]
	s_or_b32 s1, s0, s1
	s_wait_loadcnt 0x5
	v_dual_mov_b32 v40, v13 :: v_dual_mov_b32 v41, v12
	s_wait_loadcnt 0x4
	v_pk_mul_f32 v[38:39], v[10:11], v[14:15] op_sel:[1,1] op_sel_hi:[0,1]
	s_wait_loadcnt 0x2
	v_dual_mov_b32 v42, v17 :: v_dual_mov_b32 v46, v25
	v_pk_mul_f32 v[44:45], v[22:23], v[18:19] op_sel:[1,1] op_sel_hi:[0,1]
	v_dual_mov_b32 v47, v24 :: v_dual_mov_b32 v48, v21
	v_pk_fma_f32 v[50:51], v[10:11], v[14:15], v[38:39] op_sel_hi:[1,0,1] neg_lo:[0,0,1] neg_hi:[0,0,1]
	v_pk_fma_f32 v[10:11], v[10:11], v[14:15], v[38:39] op_sel_hi:[1,0,1]
	v_pk_mul_f32 v[14:15], v[40:41], v[42:43] op_sel_hi:[1,0]
	v_pk_fma_f32 v[38:39], v[22:23], v[18:19], v[44:45] op_sel_hi:[1,0,1] neg_lo:[0,0,1] neg_hi:[0,0,1]
	v_pk_fma_f32 v[18:19], v[22:23], v[18:19], v[44:45] op_sel_hi:[1,0,1]
	v_pk_mul_f32 v[22:23], v[46:47], v[48:49] op_sel_hi:[1,0]
	v_pk_mul_f32 v[40:41], v[10:11], v[8:9] op_sel:[1,0]
	v_pk_fma_f32 v[42:43], v[12:13], v[16:17], v[14:15] op_sel_hi:[1,0,1] neg_lo:[0,0,1] neg_hi:[0,0,1]
	v_pk_fma_f32 v[12:13], v[12:13], v[16:17], v[14:15] op_sel_hi:[1,0,1]
	v_pk_mul_f32 v[14:15], v[18:19], v[8:9] op_sel:[1,0]
	v_pk_fma_f32 v[16:17], v[24:25], v[20:21], v[22:23] op_sel_hi:[1,0,1] neg_lo:[0,0,1] neg_hi:[0,0,1]
	v_pk_fma_f32 v[20:21], v[24:25], v[20:21], v[22:23] op_sel_hi:[1,0,1]
	v_pk_fma_f32 v[22:23], v[50:51], v[6:7], v[40:41] neg_lo:[0,0,1] neg_hi:[0,0,1]
	v_pk_fma_f32 v[24:25], v[50:51], v[6:7], v[40:41] op_sel_hi:[0,1,1]
	v_pk_mul_f32 v[40:41], v[12:13], v[8:9] op_sel:[1,0]
	v_pk_fma_f32 v[44:45], v[38:39], v[6:7], v[14:15] neg_lo:[0,0,1] neg_hi:[0,0,1]
	v_pk_fma_f32 v[14:15], v[38:39], v[6:7], v[14:15] op_sel_hi:[0,1,1]
	v_pk_mul_f32 v[46:47], v[20:21], v[8:9] op_sel:[1,0]
	v_dual_cndmask_b32 v11, v25, v11 :: v_dual_cndmask_b32 v10, v22, v50
	v_pk_fma_f32 v[22:23], v[42:43], v[6:7], v[40:41] neg_lo:[0,0,1] neg_hi:[0,0,1]
	v_pk_fma_f32 v[24:25], v[42:43], v[6:7], v[40:41] op_sel_hi:[0,1,1]
	v_dual_cndmask_b32 v15, v15, v19 :: v_dual_cndmask_b32 v14, v44, v38
	v_pk_fma_f32 v[18:19], v[16:17], v[6:7], v[46:47] op_sel_hi:[0,1,1]
	v_pk_fma_f32 v[40:41], v[16:17], v[6:7], v[46:47] neg_lo:[0,0,1] neg_hi:[0,0,1]
	s_delay_alu instid0(VALU_DEP_4) | instskip(SKIP_2) | instid1(VALU_DEP_3)
	v_dual_cndmask_b32 v13, v25, v13 :: v_dual_cndmask_b32 v12, v22, v42
	s_wait_loadcnt 0x1
	v_pk_add_f32 v[10:11], v[26:27], v[10:11]
	v_dual_cndmask_b32 v17, v19, v21 :: v_dual_cndmask_b32 v16, v40, v16
	s_wait_loadcnt 0x0
	v_pk_add_f32 v[14:15], v[30:31], v[14:15]
	v_pk_add_f32 v[12:13], v[28:29], v[12:13]
	s_delay_alu instid0(VALU_DEP_3)
	v_pk_add_f32 v[16:17], v[32:33], v[16:17]
	s_clause 0x1
	global_store_b128 v[34:35], v[10:13], off
	global_store_b128 v[34:35], v[14:17], off offset:16
	s_wait_xcnt 0x0
	s_and_not1_b32 exec_lo, exec_lo, s1
	s_cbranch_execnz .LBB30_32
.LBB30_33:
	s_sendmsg sendmsg(MSG_DEALLOC_VGPRS)
	s_endpgm
	.section	.rodata,"a",@progbits
	.p2align	6, 0x0
	.amdhsa_kernel _ZN2at6native12_GLOBAL__N_125multi_tensor_apply_kernelINS1_18TensorListMetadataILi3EEENS1_24PointwiseOpScalarFunctorIN3c107complexIfEELi3ELi3ELi0EEEJSt10multipliesIS8_ES8_EEEvT_T0_DpT1_
		.amdhsa_group_segment_fixed_size 0
		.amdhsa_private_segment_fixed_size 0
		.amdhsa_kernarg_size 3416
		.amdhsa_user_sgpr_count 2
		.amdhsa_user_sgpr_dispatch_ptr 0
		.amdhsa_user_sgpr_queue_ptr 0
		.amdhsa_user_sgpr_kernarg_segment_ptr 1
		.amdhsa_user_sgpr_dispatch_id 0
		.amdhsa_user_sgpr_kernarg_preload_length 0
		.amdhsa_user_sgpr_kernarg_preload_offset 0
		.amdhsa_user_sgpr_private_segment_size 0
		.amdhsa_wavefront_size32 1
		.amdhsa_uses_dynamic_stack 0
		.amdhsa_enable_private_segment 0
		.amdhsa_system_sgpr_workgroup_id_x 1
		.amdhsa_system_sgpr_workgroup_id_y 0
		.amdhsa_system_sgpr_workgroup_id_z 0
		.amdhsa_system_sgpr_workgroup_info 0
		.amdhsa_system_vgpr_workitem_id 0
		.amdhsa_next_free_vgpr 68
		.amdhsa_next_free_sgpr 31
		.amdhsa_named_barrier_count 0
		.amdhsa_reserve_vcc 1
		.amdhsa_float_round_mode_32 0
		.amdhsa_float_round_mode_16_64 0
		.amdhsa_float_denorm_mode_32 3
		.amdhsa_float_denorm_mode_16_64 3
		.amdhsa_fp16_overflow 0
		.amdhsa_memory_ordered 1
		.amdhsa_forward_progress 1
		.amdhsa_inst_pref_size 18
		.amdhsa_round_robin_scheduling 0
		.amdhsa_exception_fp_ieee_invalid_op 0
		.amdhsa_exception_fp_denorm_src 0
		.amdhsa_exception_fp_ieee_div_zero 0
		.amdhsa_exception_fp_ieee_overflow 0
		.amdhsa_exception_fp_ieee_underflow 0
		.amdhsa_exception_fp_ieee_inexact 0
		.amdhsa_exception_int_div_zero 0
	.end_amdhsa_kernel
	.section	.text._ZN2at6native12_GLOBAL__N_125multi_tensor_apply_kernelINS1_18TensorListMetadataILi3EEENS1_24PointwiseOpScalarFunctorIN3c107complexIfEELi3ELi3ELi0EEEJSt10multipliesIS8_ES8_EEEvT_T0_DpT1_,"axG",@progbits,_ZN2at6native12_GLOBAL__N_125multi_tensor_apply_kernelINS1_18TensorListMetadataILi3EEENS1_24PointwiseOpScalarFunctorIN3c107complexIfEELi3ELi3ELi0EEEJSt10multipliesIS8_ES8_EEEvT_T0_DpT1_,comdat
.Lfunc_end30:
	.size	_ZN2at6native12_GLOBAL__N_125multi_tensor_apply_kernelINS1_18TensorListMetadataILi3EEENS1_24PointwiseOpScalarFunctorIN3c107complexIfEELi3ELi3ELi0EEEJSt10multipliesIS8_ES8_EEEvT_T0_DpT1_, .Lfunc_end30-_ZN2at6native12_GLOBAL__N_125multi_tensor_apply_kernelINS1_18TensorListMetadataILi3EEENS1_24PointwiseOpScalarFunctorIN3c107complexIfEELi3ELi3ELi0EEEJSt10multipliesIS8_ES8_EEEvT_T0_DpT1_
                                        ; -- End function
	.set _ZN2at6native12_GLOBAL__N_125multi_tensor_apply_kernelINS1_18TensorListMetadataILi3EEENS1_24PointwiseOpScalarFunctorIN3c107complexIfEELi3ELi3ELi0EEEJSt10multipliesIS8_ES8_EEEvT_T0_DpT1_.num_vgpr, 68
	.set _ZN2at6native12_GLOBAL__N_125multi_tensor_apply_kernelINS1_18TensorListMetadataILi3EEENS1_24PointwiseOpScalarFunctorIN3c107complexIfEELi3ELi3ELi0EEEJSt10multipliesIS8_ES8_EEEvT_T0_DpT1_.num_agpr, 0
	.set _ZN2at6native12_GLOBAL__N_125multi_tensor_apply_kernelINS1_18TensorListMetadataILi3EEENS1_24PointwiseOpScalarFunctorIN3c107complexIfEELi3ELi3ELi0EEEJSt10multipliesIS8_ES8_EEEvT_T0_DpT1_.numbered_sgpr, 31
	.set _ZN2at6native12_GLOBAL__N_125multi_tensor_apply_kernelINS1_18TensorListMetadataILi3EEENS1_24PointwiseOpScalarFunctorIN3c107complexIfEELi3ELi3ELi0EEEJSt10multipliesIS8_ES8_EEEvT_T0_DpT1_.num_named_barrier, 0
	.set _ZN2at6native12_GLOBAL__N_125multi_tensor_apply_kernelINS1_18TensorListMetadataILi3EEENS1_24PointwiseOpScalarFunctorIN3c107complexIfEELi3ELi3ELi0EEEJSt10multipliesIS8_ES8_EEEvT_T0_DpT1_.private_seg_size, 0
	.set _ZN2at6native12_GLOBAL__N_125multi_tensor_apply_kernelINS1_18TensorListMetadataILi3EEENS1_24PointwiseOpScalarFunctorIN3c107complexIfEELi3ELi3ELi0EEEJSt10multipliesIS8_ES8_EEEvT_T0_DpT1_.uses_vcc, 1
	.set _ZN2at6native12_GLOBAL__N_125multi_tensor_apply_kernelINS1_18TensorListMetadataILi3EEENS1_24PointwiseOpScalarFunctorIN3c107complexIfEELi3ELi3ELi0EEEJSt10multipliesIS8_ES8_EEEvT_T0_DpT1_.uses_flat_scratch, 0
	.set _ZN2at6native12_GLOBAL__N_125multi_tensor_apply_kernelINS1_18TensorListMetadataILi3EEENS1_24PointwiseOpScalarFunctorIN3c107complexIfEELi3ELi3ELi0EEEJSt10multipliesIS8_ES8_EEEvT_T0_DpT1_.has_dyn_sized_stack, 0
	.set _ZN2at6native12_GLOBAL__N_125multi_tensor_apply_kernelINS1_18TensorListMetadataILi3EEENS1_24PointwiseOpScalarFunctorIN3c107complexIfEELi3ELi3ELi0EEEJSt10multipliesIS8_ES8_EEEvT_T0_DpT1_.has_recursion, 0
	.set _ZN2at6native12_GLOBAL__N_125multi_tensor_apply_kernelINS1_18TensorListMetadataILi3EEENS1_24PointwiseOpScalarFunctorIN3c107complexIfEELi3ELi3ELi0EEEJSt10multipliesIS8_ES8_EEEvT_T0_DpT1_.has_indirect_call, 0
	.section	.AMDGPU.csdata,"",@progbits
; Kernel info:
; codeLenInByte = 2276
; TotalNumSgprs: 33
; NumVgprs: 68
; ScratchSize: 0
; MemoryBound: 0
; FloatMode: 240
; IeeeMode: 1
; LDSByteSize: 0 bytes/workgroup (compile time only)
; SGPRBlocks: 0
; VGPRBlocks: 4
; NumSGPRsForWavesPerEU: 33
; NumVGPRsForWavesPerEU: 68
; NamedBarCnt: 0
; Occupancy: 12
; WaveLimiterHint : 0
; COMPUTE_PGM_RSRC2:SCRATCH_EN: 0
; COMPUTE_PGM_RSRC2:USER_SGPR: 2
; COMPUTE_PGM_RSRC2:TRAP_HANDLER: 0
; COMPUTE_PGM_RSRC2:TGID_X_EN: 1
; COMPUTE_PGM_RSRC2:TGID_Y_EN: 0
; COMPUTE_PGM_RSRC2:TGID_Z_EN: 0
; COMPUTE_PGM_RSRC2:TIDIG_COMP_CNT: 0
	.section	.text._ZN2at6native12_GLOBAL__N_125multi_tensor_apply_kernelINS1_18TensorListMetadataILi3EEENS1_24PointwiseOpScalarFunctorIN3c104HalfELi3ELi3ELi0EEEJSt10multipliesIfEfEEEvT_T0_DpT1_,"axG",@progbits,_ZN2at6native12_GLOBAL__N_125multi_tensor_apply_kernelINS1_18TensorListMetadataILi3EEENS1_24PointwiseOpScalarFunctorIN3c104HalfELi3ELi3ELi0EEEJSt10multipliesIfEfEEEvT_T0_DpT1_,comdat
	.globl	_ZN2at6native12_GLOBAL__N_125multi_tensor_apply_kernelINS1_18TensorListMetadataILi3EEENS1_24PointwiseOpScalarFunctorIN3c104HalfELi3ELi3ELi0EEEJSt10multipliesIfEfEEEvT_T0_DpT1_ ; -- Begin function _ZN2at6native12_GLOBAL__N_125multi_tensor_apply_kernelINS1_18TensorListMetadataILi3EEENS1_24PointwiseOpScalarFunctorIN3c104HalfELi3ELi3ELi0EEEJSt10multipliesIfEfEEEvT_T0_DpT1_
	.p2align	8
	.type	_ZN2at6native12_GLOBAL__N_125multi_tensor_apply_kernelINS1_18TensorListMetadataILi3EEENS1_24PointwiseOpScalarFunctorIN3c104HalfELi3ELi3ELi0EEEJSt10multipliesIfEfEEEvT_T0_DpT1_,@function
_ZN2at6native12_GLOBAL__N_125multi_tensor_apply_kernelINS1_18TensorListMetadataILi3EEENS1_24PointwiseOpScalarFunctorIN3c104HalfELi3ELi3ELi0EEEJSt10multipliesIfEfEEEvT_T0_DpT1_: ; @_ZN2at6native12_GLOBAL__N_125multi_tensor_apply_kernelINS1_18TensorListMetadataILi3EEENS1_24PointwiseOpScalarFunctorIN3c104HalfELi3ELi3ELi0EEEJSt10multipliesIfEfEEEvT_T0_DpT1_
; %bb.0:
	s_bfe_u32 s2, ttmp6, 0x4000c
	s_and_b32 s3, ttmp6, 15
	s_add_co_i32 s2, s2, 1
	s_getreg_b32 s4, hwreg(HW_REG_IB_STS2, 6, 4)
	s_mul_i32 s2, ttmp9, s2
	s_delay_alu instid0(SALU_CYCLE_1) | instskip(SKIP_3) | instid1(SALU_CYCLE_1)
	s_add_co_i32 s2, s3, s2
	s_cmp_eq_u32 s4, 0
	s_mov_b32 s3, 0
	s_cselect_b32 s2, ttmp9, s2
	s_add_nc_u64 s[4:5], s[0:1], s[2:3]
	s_mul_u64 s[6:7], s[2:3], 3
	s_delay_alu instid0(SALU_CYCLE_1)
	s_add_nc_u64 s[4:5], s[4:5], s[6:7]
	s_clause 0x1
	s_load_b32 s16, s[4:5], 0x740
	s_load_u8 s12, s[0:1], s2 offset:0x600
	s_wait_kmcnt 0x0
	s_clause 0x3
	s_load_b64 s[6:7], s[0:1], s12 offset:0x180 scale_offset
	s_load_b64 s[8:9], s[0:1], s12 offset:0x300 scale_offset
	;; [unrolled: 1-line block ×4, first 2 shown]
	s_ashr_i32 s17, s16, 31
	s_wait_xcnt 0x0
	s_lshl_b64 s[12:13], s[16:17], 17
	s_wait_kmcnt 0x0
	s_add_nc_u64 s[14:15], s[6:7], s[12:13]
	s_delay_alu instid0(SALU_CYCLE_1)
	s_or_b32 s2, s8, s14
	s_load_b32 s14, s[0:1], 0xc4c
	s_and_b32 s2, s2, 7
	s_and_b64 s[18:19], s[10:11], 7
	s_cmp_eq_u32 s2, 0
	s_cselect_b32 s15, -1, 0
	s_and_b32 s2, s4, 3
	s_lshl_b64 s[16:17], s[16:17], 16
	s_or_b64 s[2:3], s[18:19], s[2:3]
	s_sub_nc_u64 s[16:17], s[4:5], s[16:17]
	s_cmp_eq_u64 s[2:3], 0
	s_cselect_b32 s2, -1, 0
	s_delay_alu instid0(SALU_CYCLE_1) | instskip(NEXT) | instid1(SALU_CYCLE_1)
	s_and_b32 s2, s15, s2
	s_and_b32 vcc_lo, exec_lo, s2
	s_mov_b32 s2, -1
	s_cbranch_vccnz .LBB31_29
; %bb.1:
	v_cmp_lt_i64_e64 s2, s[16:17], 1
	s_and_b32 vcc_lo, exec_lo, s2
	s_cbranch_vccnz .LBB31_28
; %bb.2:
	s_load_b32 s2, s[0:1], 0xc5c
	v_min_i64 v[2:3], 0x10000, s[16:17]
	v_min_u64 v[4:5], 0x10000, s[16:17]
	v_dual_mov_b32 v1, 0 :: v_dual_lshlrev_b32 v16, 1, v0
	s_mov_b32 s21, 0
	s_delay_alu instid0(SALU_CYCLE_1) | instskip(NEXT) | instid1(VALU_DEP_1)
	s_mov_b32 s19, s21
	v_dual_mov_b32 v17, v1 :: v_dual_mov_b32 v35, v1
	s_mov_b32 s5, s21
	s_mov_b32 s23, s21
	s_delay_alu instid0(VALU_DEP_1) | instskip(SKIP_4) | instid1(SALU_CYCLE_1)
	v_add_nc_u64_e32 v[6:7], s[10:11], v[16:17]
	v_add_nc_u64_e32 v[8:9], s[6:7], v[16:17]
	v_add_nc_u64_e32 v[12:13], s[8:9], v[16:17]
	s_wait_kmcnt 0x0
	s_and_b32 s20, s2, 0xffff
	s_lshl_b32 s4, s20, 1
	s_cmp_eq_f32 s14, 1.0
	v_add_nc_u64_e32 v[10:11], s[20:21], v[0:1]
	v_mad_nc_u64_u32 v[22:23], s20, 6, v[16:17]
	s_mul_i32 s22, s20, 3
	s_cselect_b32 s2, -1, 0
	s_lshl_b32 s18, s20, 2
	v_add_nc_u64_e32 v[14:15], s[22:23], v[0:1]
	v_add_nc_u64_e32 v[32:33], s[18:19], v[16:17]
	v_lshlrev_b32_e32 v34, 1, v10
	v_add_nc_u64_e32 v[16:17], s[4:5], v[0:1]
	s_lshl_b32 s20, s20, 3
	s_mov_b64 s[22:23], 0
	v_add_nc_u64_e32 v[18:19], s[10:11], v[22:23]
	v_add_nc_u64_e32 v[20:21], s[6:7], v[22:23]
	;; [unrolled: 1-line block ×9, first 2 shown]
	s_branch .LBB31_4
.LBB31_3:                               ;   in Loop: Header=BB31_4 Depth=1
	s_wait_xcnt 0x0
	s_or_b32 exec_lo, exec_lo, s3
	s_add_nc_u64 s[22:23], s[22:23], s[18:19]
	v_add_nc_u64_e32 v[6:7], s[20:21], v[6:7]
	v_cmp_lt_i64_e32 vcc_lo, s[22:23], v[2:3]
	v_add_nc_u64_e32 v[8:9], s[20:21], v[8:9]
	v_add_nc_u64_e32 v[12:13], s[20:21], v[12:13]
	;; [unrolled: 1-line block ×11, first 2 shown]
	s_cbranch_vccz .LBB31_28
.LBB31_4:                               ; =>This Inner Loop Header: Depth=1
	v_add_nc_u64_e32 v[36:37], s[22:23], v[0:1]
	s_delay_alu instid0(VALU_DEP_1)
	v_cmp_lt_u64_e32 vcc_lo, v[36:37], v[4:5]
	v_dual_mov_b32 v37, 0 :: v_dual_mov_b32 v36, 0
	s_and_saveexec_b32 s3, vcc_lo
	s_cbranch_execz .LBB31_6
; %bb.5:                                ;   in Loop: Header=BB31_4 Depth=1
	v_add_nc_u64_e32 v[36:37], s[12:13], v[6:7]
	v_add_nc_u64_e32 v[38:39], s[12:13], v[8:9]
	global_load_u16 v40, v[36:37], off
	global_load_u16 v41, v[38:39], off
	s_wait_loadcnt 0x1
	s_wait_xcnt 0x1
	v_cvt_f32_f16_e32 v36, v40
	s_wait_loadcnt 0x0
	v_cvt_f32_f16_e32 v37, v41
.LBB31_6:                               ;   in Loop: Header=BB31_4 Depth=1
	s_wait_xcnt 0x0
	s_or_b32 exec_lo, exec_lo, s3
	v_dual_mov_b32 v38, 0 :: v_dual_mov_b32 v39, 0
	s_and_saveexec_b32 s3, vcc_lo
	s_cbranch_execz .LBB31_8
; %bb.7:                                ;   in Loop: Header=BB31_4 Depth=1
	v_add_nc_u64_e32 v[40:41], s[12:13], v[12:13]
	global_load_u16 v39, v[40:41], off
	s_wait_loadcnt 0x0
	v_cvt_f32_f16_e32 v39, v39
.LBB31_8:                               ;   in Loop: Header=BB31_4 Depth=1
	s_wait_xcnt 0x0
	s_or_b32 exec_lo, exec_lo, s3
	v_add_nc_u64_e32 v[40:41], s[22:23], v[10:11]
	s_delay_alu instid0(VALU_DEP_1)
	v_cmp_lt_u64_e64 s3, v[40:41], v[4:5]
	v_mov_b32_e32 v40, 0
	s_and_saveexec_b32 s4, s3
	s_cbranch_execz .LBB31_10
; %bb.9:                                ;   in Loop: Header=BB31_4 Depth=1
	v_add_nc_u64_e32 v[40:41], s[12:13], v[24:25]
	v_add_nc_u64_e32 v[42:43], s[12:13], v[26:27]
	global_load_u16 v38, v[40:41], off
	global_load_u16 v44, v[42:43], off
	s_wait_loadcnt 0x1
	s_wait_xcnt 0x1
	v_cvt_f32_f16_e32 v40, v38
	s_wait_loadcnt 0x0
	v_cvt_f32_f16_e32 v38, v44
.LBB31_10:                              ;   in Loop: Header=BB31_4 Depth=1
	s_wait_xcnt 0x0
	s_or_b32 exec_lo, exec_lo, s4
	v_dual_mov_b32 v41, 0 :: v_dual_mov_b32 v42, 0
	s_and_saveexec_b32 s4, s3
	s_cbranch_execz .LBB31_12
; %bb.11:                               ;   in Loop: Header=BB31_4 Depth=1
	v_add_nc_u64_e32 v[42:43], s[12:13], v[34:35]
	global_load_u16 v42, v[42:43], off
	s_wait_loadcnt 0x0
	s_wait_xcnt 0x0
	v_cvt_f32_f16_e32 v42, v42
.LBB31_12:                              ;   in Loop: Header=BB31_4 Depth=1
	s_or_b32 exec_lo, exec_lo, s4
	v_add_nc_u64_e32 v[44:45], s[22:23], v[16:17]
	v_mov_b32_e32 v43, 0
	s_delay_alu instid0(VALU_DEP_2)
	v_cmp_lt_u64_e64 s4, v[44:45], v[4:5]
	s_and_saveexec_b32 s5, s4
	s_cbranch_execz .LBB31_14
; %bb.13:                               ;   in Loop: Header=BB31_4 Depth=1
	v_add_nc_u64_e32 v[44:45], s[12:13], v[28:29]
	v_add_nc_u64_e32 v[46:47], s[12:13], v[30:31]
	global_load_u16 v41, v[44:45], off
	global_load_u16 v48, v[46:47], off
	s_wait_loadcnt 0x1
	v_cvt_f32_f16_e32 v43, v41
	s_wait_loadcnt 0x0
	v_cvt_f32_f16_e32 v41, v48
.LBB31_14:                              ;   in Loop: Header=BB31_4 Depth=1
	s_wait_xcnt 0x0
	s_or_b32 exec_lo, exec_lo, s5
	v_dual_mov_b32 v44, 0 :: v_dual_mov_b32 v45, 0
	s_and_saveexec_b32 s5, s4
	s_cbranch_execz .LBB31_16
; %bb.15:                               ;   in Loop: Header=BB31_4 Depth=1
	v_add_nc_u64_e32 v[46:47], s[12:13], v[32:33]
	global_load_u16 v45, v[46:47], off
	s_wait_loadcnt 0x0
	v_cvt_f32_f16_e32 v45, v45
.LBB31_16:                              ;   in Loop: Header=BB31_4 Depth=1
	s_wait_xcnt 0x0
	s_or_b32 exec_lo, exec_lo, s5
	v_add_nc_u64_e32 v[46:47], s[22:23], v[14:15]
	s_delay_alu instid0(VALU_DEP_1)
	v_cmp_lt_u64_e64 s5, v[46:47], v[4:5]
	v_mov_b32_e32 v46, 0
	s_and_saveexec_b32 s15, s5
	s_cbranch_execnz .LBB31_22
; %bb.17:                               ;   in Loop: Header=BB31_4 Depth=1
	s_or_b32 exec_lo, exec_lo, s15
	v_mov_b32_e32 v47, 0
	s_and_saveexec_b32 s15, s5
	s_cbranch_execnz .LBB31_23
.LBB31_18:                              ;   in Loop: Header=BB31_4 Depth=1
	s_or_b32 exec_lo, exec_lo, s15
	s_and_saveexec_b32 s15, vcc_lo
	s_cbranch_execnz .LBB31_24
.LBB31_19:                              ;   in Loop: Header=BB31_4 Depth=1
	s_or_b32 exec_lo, exec_lo, s15
	s_and_saveexec_b32 s15, s3
	s_cbranch_execnz .LBB31_25
.LBB31_20:                              ;   in Loop: Header=BB31_4 Depth=1
	s_or_b32 exec_lo, exec_lo, s15
	s_and_saveexec_b32 s3, s4
	s_cbranch_execnz .LBB31_26
.LBB31_21:                              ;   in Loop: Header=BB31_4 Depth=1
	s_or_b32 exec_lo, exec_lo, s3
	s_and_saveexec_b32 s3, s5
	s_cbranch_execz .LBB31_3
	s_branch .LBB31_27
.LBB31_22:                              ;   in Loop: Header=BB31_4 Depth=1
	v_add_nc_u64_e32 v[46:47], s[12:13], v[18:19]
	v_add_nc_u64_e32 v[48:49], s[12:13], v[20:21]
	global_load_u16 v44, v[46:47], off
	global_load_u16 v50, v[48:49], off
	s_wait_loadcnt 0x1
	s_wait_xcnt 0x1
	v_cvt_f32_f16_e32 v46, v44
	s_wait_loadcnt 0x0
	v_cvt_f32_f16_e32 v44, v50
	s_wait_xcnt 0x0
	s_or_b32 exec_lo, exec_lo, s15
	v_mov_b32_e32 v47, 0
	s_and_saveexec_b32 s15, s5
	s_cbranch_execz .LBB31_18
.LBB31_23:                              ;   in Loop: Header=BB31_4 Depth=1
	v_add_nc_u64_e32 v[48:49], s[12:13], v[22:23]
	global_load_u16 v47, v[48:49], off
	s_wait_loadcnt 0x0
	v_cvt_f32_f16_e32 v47, v47
	s_wait_xcnt 0x0
	s_or_b32 exec_lo, exec_lo, s15
	s_and_saveexec_b32 s15, vcc_lo
	s_cbranch_execz .LBB31_19
.LBB31_24:                              ;   in Loop: Header=BB31_4 Depth=1
	v_dual_mul_f32 v48, v37, v39 :: v_dual_fma_f32 v37, v37, v39, v36
	s_delay_alu instid0(VALU_DEP_1) | instskip(NEXT) | instid1(VALU_DEP_1)
	v_fmac_f32_e32 v36, s14, v48
	v_cndmask_b32_e64 v39, v36, v37, s2
	v_add_nc_u64_e32 v[36:37], s[12:13], v[6:7]
	s_delay_alu instid0(VALU_DEP_2)
	v_cvt_f16_f32_e32 v39, v39
	global_store_b16 v[36:37], v39, off
	s_wait_xcnt 0x0
	s_or_b32 exec_lo, exec_lo, s15
	s_and_saveexec_b32 s15, s3
	s_cbranch_execz .LBB31_20
.LBB31_25:                              ;   in Loop: Header=BB31_4 Depth=1
	v_dual_mul_f32 v36, v38, v42 :: v_dual_fma_f32 v37, v38, v42, v40
	s_delay_alu instid0(VALU_DEP_1) | instskip(NEXT) | instid1(VALU_DEP_1)
	v_fmac_f32_e32 v40, s14, v36
	v_cndmask_b32_e64 v38, v40, v37, s2
	v_add_nc_u64_e32 v[36:37], s[12:13], v[24:25]
	s_delay_alu instid0(VALU_DEP_2)
	v_cvt_f16_f32_e32 v38, v38
	global_store_b16 v[36:37], v38, off
	s_wait_xcnt 0x0
	s_or_b32 exec_lo, exec_lo, s15
	s_and_saveexec_b32 s3, s4
	s_cbranch_execz .LBB31_21
.LBB31_26:                              ;   in Loop: Header=BB31_4 Depth=1
	v_dual_mul_f32 v36, v41, v45 :: v_dual_fma_f32 v37, v41, v45, v43
	s_delay_alu instid0(VALU_DEP_1) | instskip(NEXT) | instid1(VALU_DEP_1)
	v_fmac_f32_e32 v43, s14, v36
	v_cndmask_b32_e64 v38, v43, v37, s2
	v_add_nc_u64_e32 v[36:37], s[12:13], v[28:29]
	s_delay_alu instid0(VALU_DEP_2)
	v_cvt_f16_f32_e32 v38, v38
	global_store_b16 v[36:37], v38, off
	s_wait_xcnt 0x0
	s_or_b32 exec_lo, exec_lo, s3
	s_and_saveexec_b32 s3, s5
	s_cbranch_execz .LBB31_3
.LBB31_27:                              ;   in Loop: Header=BB31_4 Depth=1
	v_dual_mul_f32 v36, v44, v47 :: v_dual_fma_f32 v37, v44, v47, v46
	s_delay_alu instid0(VALU_DEP_1) | instskip(NEXT) | instid1(VALU_DEP_1)
	v_fmac_f32_e32 v46, s14, v36
	v_cndmask_b32_e64 v38, v46, v37, s2
	v_add_nc_u64_e32 v[36:37], s[12:13], v[18:19]
	s_delay_alu instid0(VALU_DEP_2)
	v_cvt_f16_f32_e32 v38, v38
	global_store_b16 v[36:37], v38, off
	s_branch .LBB31_3
.LBB31_28:
	s_mov_b32 s2, 0
.LBB31_29:
	s_delay_alu instid0(SALU_CYCLE_1)
	s_and_not1_b32 vcc_lo, exec_lo, s2
	s_cbranch_vccnz .LBB31_33
; %bb.30:
	v_min_i64 v[2:3], 0x10000, s[16:17]
	v_dual_mov_b32 v9, 0 :: v_dual_lshlrev_b32 v8, 2, v0
	s_mov_b32 s2, exec_lo
	s_delay_alu instid0(VALU_DEP_1)
	v_cmpx_lt_i64_e64 v[8:9], v[2:3]
	s_cbranch_execz .LBB31_33
; %bb.31:
	s_wait_xcnt 0x0
	s_load_b32 s0, s[0:1], 0xc5c
	v_dual_mov_b32 v1, v9 :: v_dual_lshlrev_b32 v8, 3, v0
	s_wait_kmcnt 0x0
	s_mov_b32 s15, s14
	s_cmp_eq_f32 s14, 1.0
	v_mov_b64_e32 v[6:7], s[14:15]
	v_dual_mov_b32 v4, s14 :: v_dual_mov_b32 v5, s14
	v_add_nc_u64_e32 v[8:9], s[12:13], v[8:9]
	s_mov_b32 s3, 0
	s_cselect_b32 vcc_lo, -1, 0
	s_mov_b32 s5, s3
	s_mov_b32 s1, s3
	s_and_b32 s2, s0, 0xffff
	s_delay_alu instid0(SALU_CYCLE_1)
	s_lshl_b32 s4, s2, 3
.LBB31_32:                              ; =>This Inner Loop Header: Depth=1
	v_add_nc_u64_e32 v[10:11], s[6:7], v[8:9]
	v_add_nc_u64_e32 v[12:13], s[8:9], v[8:9]
	;; [unrolled: 1-line block ×5, first 2 shown]
	global_load_b64 v[16:17], v[10:11], off
	global_load_b64 v[18:19], v[12:13], off
	;; [unrolled: 1-line block ×3, first 2 shown]
	s_wait_xcnt 0x2
	v_lshlrev_b64_e32 v[10:11], 2, v[0:1]
	s_delay_alu instid0(VALU_DEP_1)
	v_cmp_ge_i64_e64 s0, v[10:11], v[2:3]
	s_or_b32 s1, s0, s1
	s_wait_loadcnt 0x2
	v_cvt_f32_f16_e32 v22, v16
	v_lshrrev_b32_e32 v23, 16, v16
	v_cvt_f32_f16_e32 v16, v17
	s_wait_loadcnt 0x1
	v_dual_lshrrev_b32 v17, 16, v17 :: v_dual_lshrrev_b32 v25, 16, v18
	v_lshrrev_b32_e32 v26, 16, v19
	s_wait_loadcnt 0x0
	s_wait_xcnt 0x1
	v_cvt_f32_f16_e32 v12, v20
	v_lshrrev_b32_e32 v13, 16, v20
	v_cvt_f32_f16_e32 v20, v21
	v_lshrrev_b32_e32 v21, 16, v21
	v_cvt_f32_f16_e32 v24, v18
	v_cvt_f32_f16_e32 v18, v19
	v_cvt_f32_f16_e32 v23, v23
	v_cvt_f32_f16_e32 v17, v17
	v_cvt_f32_f16_e32 v25, v25
	v_cvt_f32_f16_e32 v19, v26
	v_cvt_f32_f16_e32 v21, v21
	v_cvt_f32_f16_e32 v13, v13
	s_delay_alu instid0(VALU_DEP_4) | instskip(NEXT) | instid1(VALU_DEP_4)
	v_pk_mul_f32 v[26:27], v[22:23], v[24:25]
	v_pk_mul_f32 v[28:29], v[16:17], v[18:19]
	s_delay_alu instid0(VALU_DEP_4) | instskip(NEXT) | instid1(VALU_DEP_4)
	v_pk_fma_f32 v[16:17], v[16:17], v[18:19], v[20:21]
	v_pk_fma_f32 v[18:19], v[22:23], v[24:25], v[12:13]
	s_delay_alu instid0(VALU_DEP_4) | instskip(NEXT) | instid1(VALU_DEP_4)
	v_pk_fma_f32 v[12:13], v[6:7], v[26:27], v[12:13]
	v_pk_fma_f32 v[20:21], v[4:5], v[28:29], v[20:21]
	s_delay_alu instid0(VALU_DEP_1) | instskip(NEXT) | instid1(VALU_DEP_2)
	v_dual_cndmask_b32 v13, v13, v19 :: v_dual_cndmask_b32 v16, v20, v16
	v_dual_cndmask_b32 v17, v21, v17 :: v_dual_cndmask_b32 v12, v12, v18
	s_delay_alu instid0(VALU_DEP_1) | instskip(NEXT) | instid1(VALU_DEP_2)
	v_cvt_pk_f16_f32 v11, v16, v17
	v_cvt_pk_f16_f32 v10, v12, v13
	global_store_b64 v[14:15], v[10:11], off
	s_wait_xcnt 0x0
	s_and_not1_b32 exec_lo, exec_lo, s1
	s_cbranch_execnz .LBB31_32
.LBB31_33:
	s_endpgm
	.section	.rodata,"a",@progbits
	.p2align	6, 0x0
	.amdhsa_kernel _ZN2at6native12_GLOBAL__N_125multi_tensor_apply_kernelINS1_18TensorListMetadataILi3EEENS1_24PointwiseOpScalarFunctorIN3c104HalfELi3ELi3ELi0EEEJSt10multipliesIfEfEEEvT_T0_DpT1_
		.amdhsa_group_segment_fixed_size 0
		.amdhsa_private_segment_fixed_size 0
		.amdhsa_kernarg_size 3408
		.amdhsa_user_sgpr_count 2
		.amdhsa_user_sgpr_dispatch_ptr 0
		.amdhsa_user_sgpr_queue_ptr 0
		.amdhsa_user_sgpr_kernarg_segment_ptr 1
		.amdhsa_user_sgpr_dispatch_id 0
		.amdhsa_user_sgpr_kernarg_preload_length 0
		.amdhsa_user_sgpr_kernarg_preload_offset 0
		.amdhsa_user_sgpr_private_segment_size 0
		.amdhsa_wavefront_size32 1
		.amdhsa_uses_dynamic_stack 0
		.amdhsa_enable_private_segment 0
		.amdhsa_system_sgpr_workgroup_id_x 1
		.amdhsa_system_sgpr_workgroup_id_y 0
		.amdhsa_system_sgpr_workgroup_id_z 0
		.amdhsa_system_sgpr_workgroup_info 0
		.amdhsa_system_vgpr_workitem_id 0
		.amdhsa_next_free_vgpr 51
		.amdhsa_next_free_sgpr 24
		.amdhsa_named_barrier_count 0
		.amdhsa_reserve_vcc 1
		.amdhsa_float_round_mode_32 0
		.amdhsa_float_round_mode_16_64 0
		.amdhsa_float_denorm_mode_32 3
		.amdhsa_float_denorm_mode_16_64 3
		.amdhsa_fp16_overflow 0
		.amdhsa_memory_ordered 1
		.amdhsa_forward_progress 1
		.amdhsa_inst_pref_size 15
		.amdhsa_round_robin_scheduling 0
		.amdhsa_exception_fp_ieee_invalid_op 0
		.amdhsa_exception_fp_denorm_src 0
		.amdhsa_exception_fp_ieee_div_zero 0
		.amdhsa_exception_fp_ieee_overflow 0
		.amdhsa_exception_fp_ieee_underflow 0
		.amdhsa_exception_fp_ieee_inexact 0
		.amdhsa_exception_int_div_zero 0
	.end_amdhsa_kernel
	.section	.text._ZN2at6native12_GLOBAL__N_125multi_tensor_apply_kernelINS1_18TensorListMetadataILi3EEENS1_24PointwiseOpScalarFunctorIN3c104HalfELi3ELi3ELi0EEEJSt10multipliesIfEfEEEvT_T0_DpT1_,"axG",@progbits,_ZN2at6native12_GLOBAL__N_125multi_tensor_apply_kernelINS1_18TensorListMetadataILi3EEENS1_24PointwiseOpScalarFunctorIN3c104HalfELi3ELi3ELi0EEEJSt10multipliesIfEfEEEvT_T0_DpT1_,comdat
.Lfunc_end31:
	.size	_ZN2at6native12_GLOBAL__N_125multi_tensor_apply_kernelINS1_18TensorListMetadataILi3EEENS1_24PointwiseOpScalarFunctorIN3c104HalfELi3ELi3ELi0EEEJSt10multipliesIfEfEEEvT_T0_DpT1_, .Lfunc_end31-_ZN2at6native12_GLOBAL__N_125multi_tensor_apply_kernelINS1_18TensorListMetadataILi3EEENS1_24PointwiseOpScalarFunctorIN3c104HalfELi3ELi3ELi0EEEJSt10multipliesIfEfEEEvT_T0_DpT1_
                                        ; -- End function
	.set _ZN2at6native12_GLOBAL__N_125multi_tensor_apply_kernelINS1_18TensorListMetadataILi3EEENS1_24PointwiseOpScalarFunctorIN3c104HalfELi3ELi3ELi0EEEJSt10multipliesIfEfEEEvT_T0_DpT1_.num_vgpr, 51
	.set _ZN2at6native12_GLOBAL__N_125multi_tensor_apply_kernelINS1_18TensorListMetadataILi3EEENS1_24PointwiseOpScalarFunctorIN3c104HalfELi3ELi3ELi0EEEJSt10multipliesIfEfEEEvT_T0_DpT1_.num_agpr, 0
	.set _ZN2at6native12_GLOBAL__N_125multi_tensor_apply_kernelINS1_18TensorListMetadataILi3EEENS1_24PointwiseOpScalarFunctorIN3c104HalfELi3ELi3ELi0EEEJSt10multipliesIfEfEEEvT_T0_DpT1_.numbered_sgpr, 24
	.set _ZN2at6native12_GLOBAL__N_125multi_tensor_apply_kernelINS1_18TensorListMetadataILi3EEENS1_24PointwiseOpScalarFunctorIN3c104HalfELi3ELi3ELi0EEEJSt10multipliesIfEfEEEvT_T0_DpT1_.num_named_barrier, 0
	.set _ZN2at6native12_GLOBAL__N_125multi_tensor_apply_kernelINS1_18TensorListMetadataILi3EEENS1_24PointwiseOpScalarFunctorIN3c104HalfELi3ELi3ELi0EEEJSt10multipliesIfEfEEEvT_T0_DpT1_.private_seg_size, 0
	.set _ZN2at6native12_GLOBAL__N_125multi_tensor_apply_kernelINS1_18TensorListMetadataILi3EEENS1_24PointwiseOpScalarFunctorIN3c104HalfELi3ELi3ELi0EEEJSt10multipliesIfEfEEEvT_T0_DpT1_.uses_vcc, 1
	.set _ZN2at6native12_GLOBAL__N_125multi_tensor_apply_kernelINS1_18TensorListMetadataILi3EEENS1_24PointwiseOpScalarFunctorIN3c104HalfELi3ELi3ELi0EEEJSt10multipliesIfEfEEEvT_T0_DpT1_.uses_flat_scratch, 0
	.set _ZN2at6native12_GLOBAL__N_125multi_tensor_apply_kernelINS1_18TensorListMetadataILi3EEENS1_24PointwiseOpScalarFunctorIN3c104HalfELi3ELi3ELi0EEEJSt10multipliesIfEfEEEvT_T0_DpT1_.has_dyn_sized_stack, 0
	.set _ZN2at6native12_GLOBAL__N_125multi_tensor_apply_kernelINS1_18TensorListMetadataILi3EEENS1_24PointwiseOpScalarFunctorIN3c104HalfELi3ELi3ELi0EEEJSt10multipliesIfEfEEEvT_T0_DpT1_.has_recursion, 0
	.set _ZN2at6native12_GLOBAL__N_125multi_tensor_apply_kernelINS1_18TensorListMetadataILi3EEENS1_24PointwiseOpScalarFunctorIN3c104HalfELi3ELi3ELi0EEEJSt10multipliesIfEfEEEvT_T0_DpT1_.has_indirect_call, 0
	.section	.AMDGPU.csdata,"",@progbits
; Kernel info:
; codeLenInByte = 1804
; TotalNumSgprs: 26
; NumVgprs: 51
; ScratchSize: 0
; MemoryBound: 0
; FloatMode: 240
; IeeeMode: 1
; LDSByteSize: 0 bytes/workgroup (compile time only)
; SGPRBlocks: 0
; VGPRBlocks: 3
; NumSGPRsForWavesPerEU: 26
; NumVGPRsForWavesPerEU: 51
; NamedBarCnt: 0
; Occupancy: 16
; WaveLimiterHint : 0
; COMPUTE_PGM_RSRC2:SCRATCH_EN: 0
; COMPUTE_PGM_RSRC2:USER_SGPR: 2
; COMPUTE_PGM_RSRC2:TRAP_HANDLER: 0
; COMPUTE_PGM_RSRC2:TGID_X_EN: 1
; COMPUTE_PGM_RSRC2:TGID_Y_EN: 0
; COMPUTE_PGM_RSRC2:TGID_Z_EN: 0
; COMPUTE_PGM_RSRC2:TIDIG_COMP_CNT: 0
	.section	.text._ZN2at6native12_GLOBAL__N_125multi_tensor_apply_kernelINS1_18TensorListMetadataILi3EEENS1_24PointwiseOpScalarFunctorIN3c108BFloat16ELi3ELi3ELi0EEEJSt10multipliesIfEfEEEvT_T0_DpT1_,"axG",@progbits,_ZN2at6native12_GLOBAL__N_125multi_tensor_apply_kernelINS1_18TensorListMetadataILi3EEENS1_24PointwiseOpScalarFunctorIN3c108BFloat16ELi3ELi3ELi0EEEJSt10multipliesIfEfEEEvT_T0_DpT1_,comdat
	.globl	_ZN2at6native12_GLOBAL__N_125multi_tensor_apply_kernelINS1_18TensorListMetadataILi3EEENS1_24PointwiseOpScalarFunctorIN3c108BFloat16ELi3ELi3ELi0EEEJSt10multipliesIfEfEEEvT_T0_DpT1_ ; -- Begin function _ZN2at6native12_GLOBAL__N_125multi_tensor_apply_kernelINS1_18TensorListMetadataILi3EEENS1_24PointwiseOpScalarFunctorIN3c108BFloat16ELi3ELi3ELi0EEEJSt10multipliesIfEfEEEvT_T0_DpT1_
	.p2align	8
	.type	_ZN2at6native12_GLOBAL__N_125multi_tensor_apply_kernelINS1_18TensorListMetadataILi3EEENS1_24PointwiseOpScalarFunctorIN3c108BFloat16ELi3ELi3ELi0EEEJSt10multipliesIfEfEEEvT_T0_DpT1_,@function
_ZN2at6native12_GLOBAL__N_125multi_tensor_apply_kernelINS1_18TensorListMetadataILi3EEENS1_24PointwiseOpScalarFunctorIN3c108BFloat16ELi3ELi3ELi0EEEJSt10multipliesIfEfEEEvT_T0_DpT1_: ; @_ZN2at6native12_GLOBAL__N_125multi_tensor_apply_kernelINS1_18TensorListMetadataILi3EEENS1_24PointwiseOpScalarFunctorIN3c108BFloat16ELi3ELi3ELi0EEEJSt10multipliesIfEfEEEvT_T0_DpT1_
; %bb.0:
	s_bfe_u32 s2, ttmp6, 0x4000c
	s_and_b32 s3, ttmp6, 15
	s_add_co_i32 s2, s2, 1
	s_getreg_b32 s4, hwreg(HW_REG_IB_STS2, 6, 4)
	s_mul_i32 s2, ttmp9, s2
	s_delay_alu instid0(SALU_CYCLE_1) | instskip(SKIP_3) | instid1(SALU_CYCLE_1)
	s_add_co_i32 s2, s3, s2
	s_cmp_eq_u32 s4, 0
	s_mov_b32 s3, 0
	s_cselect_b32 s2, ttmp9, s2
	s_add_nc_u64 s[4:5], s[0:1], s[2:3]
	s_mul_u64 s[6:7], s[2:3], 3
	s_delay_alu instid0(SALU_CYCLE_1)
	s_add_nc_u64 s[4:5], s[4:5], s[6:7]
	s_clause 0x1
	s_load_b32 s16, s[4:5], 0x740
	s_load_u8 s12, s[0:1], s2 offset:0x600
	s_wait_kmcnt 0x0
	s_clause 0x3
	s_load_b64 s[6:7], s[0:1], s12 offset:0x180 scale_offset
	s_load_b64 s[8:9], s[0:1], s12 offset:0x300 scale_offset
	s_load_b64 s[10:11], s[0:1], s12 offset:0x0 scale_offset
	s_load_b64 s[4:5], s[0:1], s12 offset:0x480 scale_offset
	s_ashr_i32 s17, s16, 31
	s_wait_xcnt 0x0
	s_lshl_b64 s[12:13], s[16:17], 17
	s_wait_kmcnt 0x0
	s_add_nc_u64 s[14:15], s[6:7], s[12:13]
	s_delay_alu instid0(SALU_CYCLE_1)
	s_or_b32 s2, s8, s14
	s_load_b32 s14, s[0:1], 0xc4c
	s_and_b32 s2, s2, 7
	s_and_b64 s[18:19], s[10:11], 7
	s_cmp_eq_u32 s2, 0
	s_cselect_b32 s15, -1, 0
	s_and_b32 s2, s4, 3
	s_lshl_b64 s[16:17], s[16:17], 16
	s_or_b64 s[2:3], s[18:19], s[2:3]
	s_sub_nc_u64 s[16:17], s[4:5], s[16:17]
	s_cmp_eq_u64 s[2:3], 0
	s_cselect_b32 s2, -1, 0
	s_delay_alu instid0(SALU_CYCLE_1) | instskip(NEXT) | instid1(SALU_CYCLE_1)
	s_and_b32 s2, s15, s2
	s_and_b32 vcc_lo, exec_lo, s2
	s_mov_b32 s2, -1
	s_cbranch_vccnz .LBB32_29
; %bb.1:
	v_cmp_lt_i64_e64 s2, s[16:17], 1
	s_and_b32 vcc_lo, exec_lo, s2
	s_cbranch_vccnz .LBB32_28
; %bb.2:
	s_load_b32 s2, s[0:1], 0xc5c
	v_min_i64 v[2:3], 0x10000, s[16:17]
	v_min_u64 v[4:5], 0x10000, s[16:17]
	v_dual_mov_b32 v1, 0 :: v_dual_lshlrev_b32 v16, 1, v0
	s_mov_b32 s21, 0
	s_delay_alu instid0(SALU_CYCLE_1) | instskip(NEXT) | instid1(VALU_DEP_1)
	s_mov_b32 s19, s21
	v_dual_mov_b32 v17, v1 :: v_dual_mov_b32 v35, v1
	s_mov_b32 s5, s21
	s_mov_b32 s23, s21
	s_delay_alu instid0(VALU_DEP_1) | instskip(SKIP_4) | instid1(SALU_CYCLE_1)
	v_add_nc_u64_e32 v[6:7], s[10:11], v[16:17]
	v_add_nc_u64_e32 v[8:9], s[6:7], v[16:17]
	;; [unrolled: 1-line block ×3, first 2 shown]
	s_wait_kmcnt 0x0
	s_and_b32 s20, s2, 0xffff
	s_lshl_b32 s4, s20, 1
	s_cmp_eq_f32 s14, 1.0
	v_add_nc_u64_e32 v[10:11], s[20:21], v[0:1]
	v_mad_nc_u64_u32 v[22:23], s20, 6, v[16:17]
	s_mul_i32 s22, s20, 3
	s_cselect_b32 s2, -1, 0
	s_lshl_b32 s18, s20, 2
	v_add_nc_u64_e32 v[14:15], s[22:23], v[0:1]
	v_add_nc_u64_e32 v[32:33], s[18:19], v[16:17]
	v_lshlrev_b32_e32 v34, 1, v10
	v_add_nc_u64_e32 v[16:17], s[4:5], v[0:1]
	s_lshl_b32 s20, s20, 3
	s_mov_b64 s[22:23], 0
	v_add_nc_u64_e32 v[18:19], s[10:11], v[22:23]
	v_add_nc_u64_e32 v[20:21], s[6:7], v[22:23]
	;; [unrolled: 1-line block ×9, first 2 shown]
	s_branch .LBB32_4
.LBB32_3:                               ;   in Loop: Header=BB32_4 Depth=1
	s_wait_xcnt 0x0
	s_or_b32 exec_lo, exec_lo, s3
	s_add_nc_u64 s[22:23], s[22:23], s[18:19]
	v_add_nc_u64_e32 v[6:7], s[20:21], v[6:7]
	v_cmp_lt_i64_e32 vcc_lo, s[22:23], v[2:3]
	v_add_nc_u64_e32 v[8:9], s[20:21], v[8:9]
	v_add_nc_u64_e32 v[12:13], s[20:21], v[12:13]
	v_add_nc_u64_e32 v[18:19], s[20:21], v[18:19]
	v_add_nc_u64_e32 v[20:21], s[20:21], v[20:21]
	v_add_nc_u64_e32 v[22:23], s[20:21], v[22:23]
	v_add_nc_u64_e32 v[28:29], s[20:21], v[28:29]
	v_add_nc_u64_e32 v[30:31], s[20:21], v[30:31]
	v_add_nc_u64_e32 v[32:33], s[20:21], v[32:33]
	v_add_nc_u64_e32 v[24:25], s[20:21], v[24:25]
	v_add_nc_u64_e32 v[26:27], s[20:21], v[26:27]
	v_add_nc_u64_e32 v[34:35], s[20:21], v[34:35]
	s_cbranch_vccz .LBB32_28
.LBB32_4:                               ; =>This Inner Loop Header: Depth=1
	v_add_nc_u64_e32 v[36:37], s[22:23], v[0:1]
	s_delay_alu instid0(VALU_DEP_1)
	v_cmp_lt_u64_e32 vcc_lo, v[36:37], v[4:5]
	v_dual_mov_b32 v37, 0 :: v_dual_mov_b32 v36, 0
	s_and_saveexec_b32 s3, vcc_lo
	s_cbranch_execz .LBB32_6
; %bb.5:                                ;   in Loop: Header=BB32_4 Depth=1
	v_add_nc_u64_e32 v[36:37], s[12:13], v[8:9]
	v_add_nc_u64_e32 v[38:39], s[12:13], v[6:7]
	global_load_u16 v40, v[36:37], off
	global_load_u16 v41, v[38:39], off
	s_wait_loadcnt 0x0
	s_wait_xcnt 0x1
	v_dual_lshlrev_b32 v37, 16, v40 :: v_dual_lshlrev_b32 v36, 16, v41
.LBB32_6:                               ;   in Loop: Header=BB32_4 Depth=1
	s_wait_xcnt 0x0
	s_or_b32 exec_lo, exec_lo, s3
	v_dual_mov_b32 v38, 0 :: v_dual_mov_b32 v40, 0
	s_and_saveexec_b32 s3, vcc_lo
	s_cbranch_execz .LBB32_8
; %bb.7:                                ;   in Loop: Header=BB32_4 Depth=1
	v_add_nc_u64_e32 v[40:41], s[12:13], v[12:13]
	global_load_u16 v39, v[40:41], off
	s_wait_loadcnt 0x0
	s_wait_xcnt 0x0
	v_lshlrev_b32_e32 v40, 16, v39
.LBB32_8:                               ;   in Loop: Header=BB32_4 Depth=1
	s_or_b32 exec_lo, exec_lo, s3
	v_add_nc_u64_e32 v[42:43], s[22:23], v[10:11]
	v_mov_b32_e32 v39, 0
	s_delay_alu instid0(VALU_DEP_2)
	v_cmp_lt_u64_e64 s3, v[42:43], v[4:5]
	s_and_saveexec_b32 s4, s3
	s_cbranch_execz .LBB32_10
; %bb.9:                                ;   in Loop: Header=BB32_4 Depth=1
	v_add_nc_u64_e32 v[38:39], s[12:13], v[26:27]
	v_add_nc_u64_e32 v[42:43], s[12:13], v[24:25]
	global_load_u16 v41, v[38:39], off
	global_load_u16 v44, v[42:43], off
	s_wait_loadcnt 0x0
	s_wait_xcnt 0x1
	v_dual_lshlrev_b32 v38, 16, v41 :: v_dual_lshlrev_b32 v39, 16, v44
.LBB32_10:                              ;   in Loop: Header=BB32_4 Depth=1
	s_wait_xcnt 0x0
	s_or_b32 exec_lo, exec_lo, s4
	v_dual_mov_b32 v41, 0 :: v_dual_mov_b32 v43, 0
	s_and_saveexec_b32 s4, s3
	s_cbranch_execz .LBB32_12
; %bb.11:                               ;   in Loop: Header=BB32_4 Depth=1
	v_add_nc_u64_e32 v[42:43], s[12:13], v[34:35]
	global_load_u16 v42, v[42:43], off
	s_wait_loadcnt 0x0
	s_wait_xcnt 0x0
	v_lshlrev_b32_e32 v43, 16, v42
.LBB32_12:                              ;   in Loop: Header=BB32_4 Depth=1
	s_or_b32 exec_lo, exec_lo, s4
	v_add_nc_u64_e32 v[44:45], s[22:23], v[16:17]
	v_mov_b32_e32 v42, 0
	s_delay_alu instid0(VALU_DEP_2)
	v_cmp_lt_u64_e64 s4, v[44:45], v[4:5]
	s_and_saveexec_b32 s5, s4
	s_cbranch_execz .LBB32_14
; %bb.13:                               ;   in Loop: Header=BB32_4 Depth=1
	v_add_nc_u64_e32 v[44:45], s[12:13], v[30:31]
	v_add_nc_u64_e32 v[46:47], s[12:13], v[28:29]
	global_load_u16 v41, v[44:45], off
	global_load_u16 v42, v[46:47], off
	s_wait_loadcnt 0x0
	v_dual_lshlrev_b32 v41, 16, v41 :: v_dual_lshlrev_b32 v42, 16, v42
.LBB32_14:                              ;   in Loop: Header=BB32_4 Depth=1
	s_wait_xcnt 0x0
	s_or_b32 exec_lo, exec_lo, s5
	v_dual_mov_b32 v44, 0 :: v_dual_mov_b32 v45, 0
	s_and_saveexec_b32 s5, s4
	s_cbranch_execz .LBB32_16
; %bb.15:                               ;   in Loop: Header=BB32_4 Depth=1
	v_add_nc_u64_e32 v[46:47], s[12:13], v[32:33]
	global_load_u16 v45, v[46:47], off
	s_wait_loadcnt 0x0
	v_lshlrev_b32_e32 v45, 16, v45
.LBB32_16:                              ;   in Loop: Header=BB32_4 Depth=1
	s_wait_xcnt 0x0
	s_or_b32 exec_lo, exec_lo, s5
	v_add_nc_u64_e32 v[46:47], s[22:23], v[14:15]
	s_delay_alu instid0(VALU_DEP_1)
	v_cmp_lt_u64_e64 s5, v[46:47], v[4:5]
	v_mov_b32_e32 v46, 0
	s_and_saveexec_b32 s15, s5
	s_cbranch_execnz .LBB32_22
; %bb.17:                               ;   in Loop: Header=BB32_4 Depth=1
	s_or_b32 exec_lo, exec_lo, s15
	v_mov_b32_e32 v47, 0
	s_and_saveexec_b32 s15, s5
	s_cbranch_execnz .LBB32_23
.LBB32_18:                              ;   in Loop: Header=BB32_4 Depth=1
	s_or_b32 exec_lo, exec_lo, s15
	s_and_saveexec_b32 s15, vcc_lo
	s_cbranch_execnz .LBB32_24
.LBB32_19:                              ;   in Loop: Header=BB32_4 Depth=1
	s_or_b32 exec_lo, exec_lo, s15
	s_and_saveexec_b32 s15, s3
	s_cbranch_execnz .LBB32_25
.LBB32_20:                              ;   in Loop: Header=BB32_4 Depth=1
	s_or_b32 exec_lo, exec_lo, s15
	s_and_saveexec_b32 s3, s4
	s_cbranch_execnz .LBB32_26
.LBB32_21:                              ;   in Loop: Header=BB32_4 Depth=1
	s_or_b32 exec_lo, exec_lo, s3
	s_and_saveexec_b32 s3, s5
	s_cbranch_execz .LBB32_3
	s_branch .LBB32_27
.LBB32_22:                              ;   in Loop: Header=BB32_4 Depth=1
	v_add_nc_u64_e32 v[46:47], s[12:13], v[20:21]
	v_add_nc_u64_e32 v[48:49], s[12:13], v[18:19]
	global_load_u16 v44, v[46:47], off
	global_load_u16 v50, v[48:49], off
	s_wait_loadcnt 0x0
	s_wait_xcnt 0x1
	v_dual_lshlrev_b32 v44, 16, v44 :: v_dual_lshlrev_b32 v46, 16, v50
	s_wait_xcnt 0x0
	s_or_b32 exec_lo, exec_lo, s15
	v_mov_b32_e32 v47, 0
	s_and_saveexec_b32 s15, s5
	s_cbranch_execz .LBB32_18
.LBB32_23:                              ;   in Loop: Header=BB32_4 Depth=1
	v_add_nc_u64_e32 v[48:49], s[12:13], v[22:23]
	global_load_u16 v47, v[48:49], off
	s_wait_loadcnt 0x0
	v_lshlrev_b32_e32 v47, 16, v47
	s_wait_xcnt 0x0
	s_or_b32 exec_lo, exec_lo, s15
	s_and_saveexec_b32 s15, vcc_lo
	s_cbranch_execz .LBB32_19
.LBB32_24:                              ;   in Loop: Header=BB32_4 Depth=1
	v_dual_mul_f32 v48, v37, v40 :: v_dual_fma_f32 v37, v37, v40, v36
	s_delay_alu instid0(VALU_DEP_1) | instskip(NEXT) | instid1(VALU_DEP_1)
	v_fmac_f32_e32 v36, s14, v48
	v_cndmask_b32_e64 v40, v36, v37, s2
	s_delay_alu instid0(VALU_DEP_1) | instskip(NEXT) | instid1(VALU_DEP_1)
	v_bfe_u32 v36, v40, 16, 1
	v_add3_u32 v36, v40, v36, 0x7fff
	s_delay_alu instid0(VALU_DEP_1) | instskip(SKIP_2) | instid1(VALU_DEP_3)
	v_lshrrev_b32_e32 v48, 16, v36
	v_cmp_o_f32_e32 vcc_lo, v40, v40
	v_add_nc_u64_e32 v[36:37], s[12:13], v[6:7]
	v_cndmask_b32_e32 v40, 0x7fc0, v48, vcc_lo
	global_store_b16 v[36:37], v40, off
	s_wait_xcnt 0x0
	s_or_b32 exec_lo, exec_lo, s15
	s_and_saveexec_b32 s15, s3
	s_cbranch_execz .LBB32_20
.LBB32_25:                              ;   in Loop: Header=BB32_4 Depth=1
	v_dual_mul_f32 v36, v38, v43 :: v_dual_fma_f32 v37, v38, v43, v39
	s_delay_alu instid0(VALU_DEP_1) | instskip(NEXT) | instid1(VALU_DEP_1)
	v_fmac_f32_e32 v39, s14, v36
	v_cndmask_b32_e64 v38, v39, v37, s2
	s_delay_alu instid0(VALU_DEP_1) | instskip(NEXT) | instid1(VALU_DEP_1)
	v_bfe_u32 v36, v38, 16, 1
	v_add3_u32 v36, v38, v36, 0x7fff
	s_delay_alu instid0(VALU_DEP_1) | instskip(SKIP_2) | instid1(VALU_DEP_3)
	v_lshrrev_b32_e32 v39, 16, v36
	v_cmp_o_f32_e32 vcc_lo, v38, v38
	v_add_nc_u64_e32 v[36:37], s[12:13], v[24:25]
	v_cndmask_b32_e32 v38, 0x7fc0, v39, vcc_lo
	global_store_b16 v[36:37], v38, off
	s_wait_xcnt 0x0
	s_or_b32 exec_lo, exec_lo, s15
	s_and_saveexec_b32 s3, s4
	s_cbranch_execz .LBB32_21
.LBB32_26:                              ;   in Loop: Header=BB32_4 Depth=1
	v_dual_mul_f32 v36, v41, v45 :: v_dual_fma_f32 v37, v41, v45, v42
	s_delay_alu instid0(VALU_DEP_1) | instskip(NEXT) | instid1(VALU_DEP_1)
	v_fmac_f32_e32 v42, s14, v36
	v_cndmask_b32_e64 v38, v42, v37, s2
	s_delay_alu instid0(VALU_DEP_1) | instskip(SKIP_1) | instid1(VALU_DEP_2)
	v_bfe_u32 v36, v38, 16, 1
	v_cmp_o_f32_e32 vcc_lo, v38, v38
	v_add3_u32 v36, v38, v36, 0x7fff
	s_delay_alu instid0(VALU_DEP_1) | instskip(SKIP_1) | instid1(VALU_DEP_2)
	v_lshrrev_b32_e32 v39, 16, v36
	v_add_nc_u64_e32 v[36:37], s[12:13], v[28:29]
	v_cndmask_b32_e32 v38, 0x7fc0, v39, vcc_lo
	global_store_b16 v[36:37], v38, off
	s_wait_xcnt 0x0
	s_or_b32 exec_lo, exec_lo, s3
	s_and_saveexec_b32 s3, s5
	s_cbranch_execz .LBB32_3
.LBB32_27:                              ;   in Loop: Header=BB32_4 Depth=1
	v_dual_mul_f32 v36, v44, v47 :: v_dual_fma_f32 v37, v44, v47, v46
	s_delay_alu instid0(VALU_DEP_1) | instskip(NEXT) | instid1(VALU_DEP_1)
	v_fmac_f32_e32 v46, s14, v36
	v_cndmask_b32_e64 v38, v46, v37, s2
	s_delay_alu instid0(VALU_DEP_1) | instskip(SKIP_1) | instid1(VALU_DEP_2)
	v_bfe_u32 v36, v38, 16, 1
	v_cmp_o_f32_e32 vcc_lo, v38, v38
	v_add3_u32 v36, v38, v36, 0x7fff
	s_delay_alu instid0(VALU_DEP_1) | instskip(SKIP_1) | instid1(VALU_DEP_2)
	v_lshrrev_b32_e32 v39, 16, v36
	v_add_nc_u64_e32 v[36:37], s[12:13], v[18:19]
	v_cndmask_b32_e32 v38, 0x7fc0, v39, vcc_lo
	global_store_b16 v[36:37], v38, off
	s_branch .LBB32_3
.LBB32_28:
	s_mov_b32 s2, 0
.LBB32_29:
	s_delay_alu instid0(SALU_CYCLE_1)
	s_and_not1_b32 vcc_lo, exec_lo, s2
	s_cbranch_vccnz .LBB32_33
; %bb.30:
	v_min_i64 v[2:3], 0x10000, s[16:17]
	v_dual_mov_b32 v7, 0 :: v_dual_lshlrev_b32 v6, 2, v0
	s_mov_b32 s2, exec_lo
	s_delay_alu instid0(VALU_DEP_1)
	v_cmpx_lt_i64_e64 v[6:7], v[2:3]
	s_cbranch_execz .LBB32_33
; %bb.31:
	s_wait_xcnt 0x0
	s_load_b32 s0, s[0:1], 0xc5c
	v_dual_mov_b32 v1, v7 :: v_dual_lshlrev_b32 v6, 3, v0
	s_wait_kmcnt 0x0
	s_mov_b32 s15, s14
	s_cmp_eq_f32 s14, 1.0
	v_mov_b64_e32 v[4:5], s[14:15]
	s_mov_b32 s3, 0
	v_add_nc_u64_e32 v[6:7], s[12:13], v[6:7]
	s_cselect_b32 vcc_lo, -1, 0
	s_mov_b32 s5, s3
	s_mov_b32 s12, s3
	s_and_b32 s2, s0, 0xffff
	s_delay_alu instid0(SALU_CYCLE_1)
	s_lshl_b32 s4, s2, 3
.LBB32_32:                              ; =>This Inner Loop Header: Depth=1
	s_delay_alu instid0(VALU_DEP_1)
	v_add_nc_u64_e32 v[8:9], s[6:7], v[6:7]
	v_add_nc_u64_e32 v[10:11], s[8:9], v[6:7]
	;; [unrolled: 1-line block ×5, first 2 shown]
	global_load_b64 v[14:15], v[8:9], off
	global_load_b64 v[16:17], v[10:11], off
	;; [unrolled: 1-line block ×3, first 2 shown]
	s_wait_xcnt 0x2
	v_lshlrev_b64_e32 v[8:9], 2, v[0:1]
	s_wait_loadcnt 0x2
	v_lshlrev_b32_e32 v21, 16, v14
	v_and_b32_e32 v20, 0xffff0000, v14
	s_wait_loadcnt 0x0
	s_wait_xcnt 0x1
	v_dual_lshlrev_b32 v11, 16, v18 :: v_dual_lshlrev_b32 v23, 16, v16
	v_and_b32_e32 v10, 0xffff0000, v18
	v_and_b32_e32 v22, 0xffff0000, v16
	v_alignbit_b32 v26, v19, v18, 16
	v_and_b32_e32 v18, 0xffff0000, v19
	v_alignbit_b32 v19, v15, v14, 16
	v_alignbit_b32 v27, v17, v16, 16
	v_and_b32_e32 v14, 0xffff0000, v15
	v_and_b32_e32 v16, 0xffff0000, v17
	v_pk_mul_f32 v[24:25], v[20:21], v[22:23]
	v_and_b32_e32 v15, 0xffff0000, v19
	v_and_b32_e32 v17, 0xffff0000, v27
	v_pk_fma_f32 v[20:21], v[20:21], v[22:23], v[10:11]
	v_and_b32_e32 v19, 0xffff0000, v26
	v_pk_fma_f32 v[10:11], v[4:5], v[24:25], v[10:11]
	s_delay_alu instid0(VALU_DEP_4) | instskip(NEXT) | instid1(VALU_DEP_3)
	v_pk_mul_f32 v[22:23], v[14:15], v[16:17]
	v_pk_fma_f32 v[14:15], v[14:15], v[16:17], v[18:19]
	s_delay_alu instid0(VALU_DEP_3) | instskip(NEXT) | instid1(VALU_DEP_3)
	v_dual_cndmask_b32 v16, v11, v21 :: v_dual_cndmask_b32 v17, v10, v20
	v_pk_fma_f32 v[10:11], v[4:5], v[22:23], v[18:19]
	s_delay_alu instid0(VALU_DEP_2) | instskip(NEXT) | instid1(VALU_DEP_2)
	v_bfe_u32 v19, v17, 16, 1
	v_cndmask_b32_e32 v11, v11, v15, vcc_lo
	s_delay_alu instid0(VALU_DEP_4) | instskip(NEXT) | instid1(VALU_DEP_4)
	v_bfe_u32 v18, v16, 16, 1
	v_cndmask_b32_e32 v10, v10, v14, vcc_lo
	v_cmp_o_f32_e64 s0, v17, v17
	v_add3_u32 v15, v17, v19, 0x7fff
	v_cmp_o_f32_e64 s1, v16, v16
	v_add3_u32 v14, v16, v18, 0x7fff
	v_bfe_u32 v18, v11, 16, 1
	s_delay_alu instid0(VALU_DEP_4) | instskip(NEXT) | instid1(VALU_DEP_3)
	v_and_b32_e32 v15, 0xffff0000, v15
	v_lshrrev_b32_e32 v14, 16, v14
	v_bfe_u32 v19, v10, 16, 1
	s_delay_alu instid0(VALU_DEP_4) | instskip(NEXT) | instid1(VALU_DEP_4)
	v_add3_u32 v18, v11, v18, 0x7fff
	v_cndmask_b32_e64 v15, 0x7fc00000, v15, s0
	v_cmp_o_f32_e64 s0, v10, v10
	v_cndmask_b32_e64 v14, 0x7fc0, v14, s1
	v_add3_u32 v19, v10, v19, 0x7fff
	v_lshrrev_b32_e32 v16, 16, v18
	v_cmp_o_f32_e64 s1, v11, v11
	s_delay_alu instid0(VALU_DEP_4) | instskip(NEXT) | instid1(VALU_DEP_4)
	v_or_b32_e32 v14, v14, v15
	v_and_b32_e32 v17, 0xffff0000, v19
	s_delay_alu instid0(VALU_DEP_3) | instskip(NEXT) | instid1(VALU_DEP_2)
	v_cndmask_b32_e64 v10, 0x7fc0, v16, s1
	v_cndmask_b32_e64 v11, 0x7fc00000, v17, s0
	v_cmp_ge_i64_e64 s0, v[8:9], v[2:3]
	v_or3_b32 v8, v14, 0, 0
	s_delay_alu instid0(VALU_DEP_3)
	v_or3_b32 v9, 0, v10, v11
	s_or_b32 s12, s0, s12
	global_store_b64 v[12:13], v[8:9], off
	s_wait_xcnt 0x0
	s_and_not1_b32 exec_lo, exec_lo, s12
	s_cbranch_execnz .LBB32_32
.LBB32_33:
	s_endpgm
	.section	.rodata,"a",@progbits
	.p2align	6, 0x0
	.amdhsa_kernel _ZN2at6native12_GLOBAL__N_125multi_tensor_apply_kernelINS1_18TensorListMetadataILi3EEENS1_24PointwiseOpScalarFunctorIN3c108BFloat16ELi3ELi3ELi0EEEJSt10multipliesIfEfEEEvT_T0_DpT1_
		.amdhsa_group_segment_fixed_size 0
		.amdhsa_private_segment_fixed_size 0
		.amdhsa_kernarg_size 3408
		.amdhsa_user_sgpr_count 2
		.amdhsa_user_sgpr_dispatch_ptr 0
		.amdhsa_user_sgpr_queue_ptr 0
		.amdhsa_user_sgpr_kernarg_segment_ptr 1
		.amdhsa_user_sgpr_dispatch_id 0
		.amdhsa_user_sgpr_kernarg_preload_length 0
		.amdhsa_user_sgpr_kernarg_preload_offset 0
		.amdhsa_user_sgpr_private_segment_size 0
		.amdhsa_wavefront_size32 1
		.amdhsa_uses_dynamic_stack 0
		.amdhsa_enable_private_segment 0
		.amdhsa_system_sgpr_workgroup_id_x 1
		.amdhsa_system_sgpr_workgroup_id_y 0
		.amdhsa_system_sgpr_workgroup_id_z 0
		.amdhsa_system_sgpr_workgroup_info 0
		.amdhsa_system_vgpr_workitem_id 0
		.amdhsa_next_free_vgpr 51
		.amdhsa_next_free_sgpr 24
		.amdhsa_named_barrier_count 0
		.amdhsa_reserve_vcc 1
		.amdhsa_float_round_mode_32 0
		.amdhsa_float_round_mode_16_64 0
		.amdhsa_float_denorm_mode_32 3
		.amdhsa_float_denorm_mode_16_64 3
		.amdhsa_fp16_overflow 0
		.amdhsa_memory_ordered 1
		.amdhsa_forward_progress 1
		.amdhsa_inst_pref_size 18
		.amdhsa_round_robin_scheduling 0
		.amdhsa_exception_fp_ieee_invalid_op 0
		.amdhsa_exception_fp_denorm_src 0
		.amdhsa_exception_fp_ieee_div_zero 0
		.amdhsa_exception_fp_ieee_overflow 0
		.amdhsa_exception_fp_ieee_underflow 0
		.amdhsa_exception_fp_ieee_inexact 0
		.amdhsa_exception_int_div_zero 0
	.end_amdhsa_kernel
	.section	.text._ZN2at6native12_GLOBAL__N_125multi_tensor_apply_kernelINS1_18TensorListMetadataILi3EEENS1_24PointwiseOpScalarFunctorIN3c108BFloat16ELi3ELi3ELi0EEEJSt10multipliesIfEfEEEvT_T0_DpT1_,"axG",@progbits,_ZN2at6native12_GLOBAL__N_125multi_tensor_apply_kernelINS1_18TensorListMetadataILi3EEENS1_24PointwiseOpScalarFunctorIN3c108BFloat16ELi3ELi3ELi0EEEJSt10multipliesIfEfEEEvT_T0_DpT1_,comdat
.Lfunc_end32:
	.size	_ZN2at6native12_GLOBAL__N_125multi_tensor_apply_kernelINS1_18TensorListMetadataILi3EEENS1_24PointwiseOpScalarFunctorIN3c108BFloat16ELi3ELi3ELi0EEEJSt10multipliesIfEfEEEvT_T0_DpT1_, .Lfunc_end32-_ZN2at6native12_GLOBAL__N_125multi_tensor_apply_kernelINS1_18TensorListMetadataILi3EEENS1_24PointwiseOpScalarFunctorIN3c108BFloat16ELi3ELi3ELi0EEEJSt10multipliesIfEfEEEvT_T0_DpT1_
                                        ; -- End function
	.set _ZN2at6native12_GLOBAL__N_125multi_tensor_apply_kernelINS1_18TensorListMetadataILi3EEENS1_24PointwiseOpScalarFunctorIN3c108BFloat16ELi3ELi3ELi0EEEJSt10multipliesIfEfEEEvT_T0_DpT1_.num_vgpr, 51
	.set _ZN2at6native12_GLOBAL__N_125multi_tensor_apply_kernelINS1_18TensorListMetadataILi3EEENS1_24PointwiseOpScalarFunctorIN3c108BFloat16ELi3ELi3ELi0EEEJSt10multipliesIfEfEEEvT_T0_DpT1_.num_agpr, 0
	.set _ZN2at6native12_GLOBAL__N_125multi_tensor_apply_kernelINS1_18TensorListMetadataILi3EEENS1_24PointwiseOpScalarFunctorIN3c108BFloat16ELi3ELi3ELi0EEEJSt10multipliesIfEfEEEvT_T0_DpT1_.numbered_sgpr, 24
	.set _ZN2at6native12_GLOBAL__N_125multi_tensor_apply_kernelINS1_18TensorListMetadataILi3EEENS1_24PointwiseOpScalarFunctorIN3c108BFloat16ELi3ELi3ELi0EEEJSt10multipliesIfEfEEEvT_T0_DpT1_.num_named_barrier, 0
	.set _ZN2at6native12_GLOBAL__N_125multi_tensor_apply_kernelINS1_18TensorListMetadataILi3EEENS1_24PointwiseOpScalarFunctorIN3c108BFloat16ELi3ELi3ELi0EEEJSt10multipliesIfEfEEEvT_T0_DpT1_.private_seg_size, 0
	.set _ZN2at6native12_GLOBAL__N_125multi_tensor_apply_kernelINS1_18TensorListMetadataILi3EEENS1_24PointwiseOpScalarFunctorIN3c108BFloat16ELi3ELi3ELi0EEEJSt10multipliesIfEfEEEvT_T0_DpT1_.uses_vcc, 1
	.set _ZN2at6native12_GLOBAL__N_125multi_tensor_apply_kernelINS1_18TensorListMetadataILi3EEENS1_24PointwiseOpScalarFunctorIN3c108BFloat16ELi3ELi3ELi0EEEJSt10multipliesIfEfEEEvT_T0_DpT1_.uses_flat_scratch, 0
	.set _ZN2at6native12_GLOBAL__N_125multi_tensor_apply_kernelINS1_18TensorListMetadataILi3EEENS1_24PointwiseOpScalarFunctorIN3c108BFloat16ELi3ELi3ELi0EEEJSt10multipliesIfEfEEEvT_T0_DpT1_.has_dyn_sized_stack, 0
	.set _ZN2at6native12_GLOBAL__N_125multi_tensor_apply_kernelINS1_18TensorListMetadataILi3EEENS1_24PointwiseOpScalarFunctorIN3c108BFloat16ELi3ELi3ELi0EEEJSt10multipliesIfEfEEEvT_T0_DpT1_.has_recursion, 0
	.set _ZN2at6native12_GLOBAL__N_125multi_tensor_apply_kernelINS1_18TensorListMetadataILi3EEENS1_24PointwiseOpScalarFunctorIN3c108BFloat16ELi3ELi3ELi0EEEJSt10multipliesIfEfEEEvT_T0_DpT1_.has_indirect_call, 0
	.section	.AMDGPU.csdata,"",@progbits
; Kernel info:
; codeLenInByte = 2184
; TotalNumSgprs: 26
; NumVgprs: 51
; ScratchSize: 0
; MemoryBound: 0
; FloatMode: 240
; IeeeMode: 1
; LDSByteSize: 0 bytes/workgroup (compile time only)
; SGPRBlocks: 0
; VGPRBlocks: 3
; NumSGPRsForWavesPerEU: 26
; NumVGPRsForWavesPerEU: 51
; NamedBarCnt: 0
; Occupancy: 16
; WaveLimiterHint : 0
; COMPUTE_PGM_RSRC2:SCRATCH_EN: 0
; COMPUTE_PGM_RSRC2:USER_SGPR: 2
; COMPUTE_PGM_RSRC2:TRAP_HANDLER: 0
; COMPUTE_PGM_RSRC2:TGID_X_EN: 1
; COMPUTE_PGM_RSRC2:TGID_Y_EN: 0
; COMPUTE_PGM_RSRC2:TGID_Z_EN: 0
; COMPUTE_PGM_RSRC2:TIDIG_COMP_CNT: 0
	.section	.text._ZN2at6native12_GLOBAL__N_125multi_tensor_apply_kernelINS1_18TensorListMetadataILi3EEENS1_32PointwiseOpScalar0dTensorFunctorIhLi3ELi2ELi0EEEJSt10multipliesIhEhEEEvT_T0_DpT1_,"axG",@progbits,_ZN2at6native12_GLOBAL__N_125multi_tensor_apply_kernelINS1_18TensorListMetadataILi3EEENS1_32PointwiseOpScalar0dTensorFunctorIhLi3ELi2ELi0EEEJSt10multipliesIhEhEEEvT_T0_DpT1_,comdat
	.globl	_ZN2at6native12_GLOBAL__N_125multi_tensor_apply_kernelINS1_18TensorListMetadataILi3EEENS1_32PointwiseOpScalar0dTensorFunctorIhLi3ELi2ELi0EEEJSt10multipliesIhEhEEEvT_T0_DpT1_ ; -- Begin function _ZN2at6native12_GLOBAL__N_125multi_tensor_apply_kernelINS1_18TensorListMetadataILi3EEENS1_32PointwiseOpScalar0dTensorFunctorIhLi3ELi2ELi0EEEJSt10multipliesIhEhEEEvT_T0_DpT1_
	.p2align	8
	.type	_ZN2at6native12_GLOBAL__N_125multi_tensor_apply_kernelINS1_18TensorListMetadataILi3EEENS1_32PointwiseOpScalar0dTensorFunctorIhLi3ELi2ELi0EEEJSt10multipliesIhEhEEEvT_T0_DpT1_,@function
_ZN2at6native12_GLOBAL__N_125multi_tensor_apply_kernelINS1_18TensorListMetadataILi3EEENS1_32PointwiseOpScalar0dTensorFunctorIhLi3ELi2ELi0EEEJSt10multipliesIhEhEEEvT_T0_DpT1_: ; @_ZN2at6native12_GLOBAL__N_125multi_tensor_apply_kernelINS1_18TensorListMetadataILi3EEENS1_32PointwiseOpScalar0dTensorFunctorIhLi3ELi2ELi0EEEJSt10multipliesIhEhEEEvT_T0_DpT1_
; %bb.0:
	s_bfe_u32 s2, ttmp6, 0x4000c
	s_and_b32 s3, ttmp6, 15
	s_add_co_i32 s2, s2, 1
	s_getreg_b32 s4, hwreg(HW_REG_IB_STS2, 6, 4)
	s_mul_i32 s2, ttmp9, s2
	s_mov_b32 s9, 0
	s_add_co_i32 s3, s3, s2
	s_cmp_eq_u32 s4, 0
	v_mov_b32_e32 v5, 0
	s_cselect_b32 s8, ttmp9, s3
	s_load_b32 s14, s[0:1], 0xc48
	s_add_nc_u64 s[2:3], s[0:1], s[8:9]
	s_mul_u64 s[4:5], s[8:9], 3
	s_delay_alu instid0(SALU_CYCLE_1)
	s_add_nc_u64 s[2:3], s[2:3], s[4:5]
	s_clause 0x1
	s_load_b32 s6, s[2:3], 0x740
	s_load_u8 s7, s[0:1], s8 offset:0x600
	s_wait_kmcnt 0x0
	s_clause 0x1
	s_load_b64 s[10:11], s[0:1], s7 offset:0x180 scale_offset
	s_load_b64 s[2:3], s[0:1], s7 offset:0x300 scale_offset
	s_wait_kmcnt 0x0
	global_load_u8 v8, v5, s[10:11]
	s_clause 0x1
	s_load_b64 s[4:5], s[0:1], s7 offset:0x0 scale_offset
	s_load_b64 s[12:13], s[0:1], s7 offset:0x480 scale_offset
	s_wait_xcnt 0x0
	s_ashr_i32 s7, s6, 31
	s_delay_alu instid0(SALU_CYCLE_1) | instskip(NEXT) | instid1(SALU_CYCLE_1)
	s_lshl_b64 s[6:7], s[6:7], 16
	s_add_nc_u64 s[10:11], s[10:11], s[6:7]
	s_delay_alu instid0(SALU_CYCLE_1) | instskip(NEXT) | instid1(SALU_CYCLE_1)
	s_or_b32 s8, s2, s10
	s_and_b32 s8, s8, 3
	s_delay_alu instid0(SALU_CYCLE_1) | instskip(SKIP_3) | instid1(SALU_CYCLE_1)
	s_cmp_lg_u32 s8, 0
	s_cselect_b32 s15, -1, 0
	s_wait_kmcnt 0x0
	s_add_nc_u64 s[10:11], s[4:5], s[6:7]
	s_or_b64 s[10:11], s[12:13], s[10:11]
	s_delay_alu instid0(SALU_CYCLE_1) | instskip(NEXT) | instid1(SALU_CYCLE_1)
	s_and_b32 s8, s10, 3
	s_cmp_lg_u64 s[8:9], 0
	s_cselect_b32 s8, -1, 0
	s_delay_alu instid0(SALU_CYCLE_1)
	s_or_b32 s10, s15, s8
	s_sub_nc_u64 s[8:9], s[12:13], s[6:7]
	s_and_not1_b32 vcc_lo, exec_lo, s10
	s_mov_b32 s10, -1
	s_cbranch_vccz .LBB33_5
; %bb.1:
	v_min_i64 v[2:3], 0x10000, s[8:9]
	v_lshlrev_b32_e32 v4, 2, v0
	s_mov_b32 s15, exec_lo
	s_delay_alu instid0(VALU_DEP_1)
	v_cmpx_lt_i64_e64 v[4:5], v[2:3]
	s_cbranch_execz .LBB33_4
; %bb.2:
	s_load_b32 s10, s[0:1], 0xc5c
	s_lshr_b32 s11, s14, 16
	v_mov_b32_e32 v1, v5
	s_wait_loadcnt 0x0
	v_mul_lo_u32 v9, v8, s11
	v_add_nc_u64_e32 v[4:5], s[6:7], v[4:5]
	s_mov_b32 s11, 0
	v_mov_b64_e32 v[6:7], v[0:1]
	s_mov_b32 s13, s11
	s_mov_b32 s16, s11
	s_wait_kmcnt 0x0
	s_and_b32 s10, s10, 0xffff
	s_delay_alu instid0(SALU_CYCLE_1)
	s_lshl_b32 s12, s10, 2
.LBB33_3:                               ; =>This Inner Loop Header: Depth=1
	v_add_nc_u64_e32 v[10:11], s[4:5], v[4:5]
	v_add_nc_u64_e32 v[12:13], s[2:3], v[4:5]
	v_add_nc_u64_e32 v[6:7], s[10:11], v[6:7]
	v_add_nc_u64_e32 v[4:5], s[12:13], v[4:5]
	global_load_b32 v1, v[10:11], off
	global_load_b32 v14, v[12:13], off
	s_wait_loadcnt 0x0
	s_wait_xcnt 0x0
	v_dual_lshrrev_b32 v12, 8, v1 :: v_dual_lshrrev_b32 v13, 8, v14
	v_dual_lshrrev_b32 v15, 16, v1 :: v_dual_lshrrev_b32 v16, 16, v14
	;; [unrolled: 1-line block ×3, first 2 shown]
	s_delay_alu instid0(VALU_DEP_3) | instskip(SKIP_1) | instid1(VALU_DEP_4)
	v_mad_u16 v19, v9, v13, v12
	v_lshlrev_b64_e32 v[12:13], 2, v[6:7]
	v_mad_u16 v15, v9, v16, v15
	v_mad_u16 v1, v9, v14, v1
	;; [unrolled: 1-line block ×3, first 2 shown]
	v_and_b32_e32 v16, 0xff, v19
	s_delay_alu instid0(VALU_DEP_4) | instskip(SKIP_1) | instid1(VALU_DEP_4)
	v_and_b32_e32 v15, 0xff, v15
	v_cmp_ge_i64_e32 vcc_lo, v[12:13], v[2:3]
	v_lshlrev_b32_e32 v14, 24, v14
	s_delay_alu instid0(VALU_DEP_4) | instskip(NEXT) | instid1(VALU_DEP_4)
	v_perm_b32 v1, v16, v1, 0x6050400
	v_lshlrev_b32_e32 v15, 16, v15
	s_or_b32 s16, vcc_lo, s16
	s_delay_alu instid0(VALU_DEP_1)
	v_or3_b32 v1, v1, v15, v14
	global_store_b32 v[10:11], v1, off
	s_wait_xcnt 0x0
	s_and_not1_b32 exec_lo, exec_lo, s16
	s_cbranch_execnz .LBB33_3
.LBB33_4:
	s_or_b32 exec_lo, exec_lo, s15
	s_mov_b32 s10, 0
.LBB33_5:
	s_delay_alu instid0(SALU_CYCLE_1)
	s_and_not1_b32 vcc_lo, exec_lo, s10
	s_cbranch_vccnz .LBB33_25
; %bb.6:
	v_cmp_lt_i64_e64 s10, s[8:9], 1
	s_and_b32 vcc_lo, exec_lo, s10
	s_cbranch_vccnz .LBB33_25
; %bb.7:
	s_load_b32 s0, s[0:1], 0xc5c
	v_min_i64 v[2:3], 0x10000, s[8:9]
	v_min_u64 v[4:5], 0x10000, s[8:9]
	v_mov_b32_e32 v1, 0
	s_lshr_b32 s8, s14, 16
	s_wait_xcnt 0x0
	s_mov_b32 s1, 0
	s_wait_loadcnt 0x0
	v_mul_lo_u32 v36, v8, s8
	s_mov_b32 s9, s1
	v_add_nc_u64_e32 v[10:11], s[6:7], v[0:1]
	s_mov_b32 s11, s1
	s_delay_alu instid0(VALU_DEP_1) | instskip(SKIP_3) | instid1(SALU_CYCLE_1)
	v_add_nc_u64_e32 v[6:7], s[4:5], v[10:11]
	v_add_nc_u64_e32 v[8:9], s[2:3], v[10:11]
	s_wait_kmcnt 0x0
	s_and_b32 s0, s0, 0xffff
	s_lshl_b32 s8, s0, 1
	s_mul_i32 s10, s0, 3
	v_add_nc_u64_e32 v[16:17], s[0:1], v[10:11]
	s_add_nc_u64 s[12:13], s[6:7], s[10:11]
	s_add_nc_u64 s[6:7], s[6:7], s[8:9]
	v_add_nc_u64_e32 v[20:21], s[12:13], v[0:1]
	v_add_nc_u64_e32 v[24:25], s[6:7], v[0:1]
	;; [unrolled: 1-line block ×11, first 2 shown]
	s_lshl_b32 s0, s0, 2
	s_mov_b64 s[2:3], 0
	s_branch .LBB33_9
.LBB33_8:                               ;   in Loop: Header=BB33_9 Depth=1
	s_wait_xcnt 0x0
	s_or_b32 exec_lo, exec_lo, s4
	s_add_nc_u64 s[2:3], s[2:3], s[0:1]
	s_delay_alu instid0(SALU_CYCLE_1)
	v_cmp_ge_i64_e32 vcc_lo, s[2:3], v[2:3]
	s_cbranch_vccnz .LBB33_25
.LBB33_9:                               ; =>This Inner Loop Header: Depth=1
	v_add_nc_u64_e32 v[28:29], s[2:3], v[0:1]
	s_wait_loadcnt 0x0
	v_dual_mov_b32 v37, 0 :: v_dual_mov_b32 v38, 0
	s_mov_b32 s4, exec_lo
	s_delay_alu instid0(VALU_DEP_2)
	v_cmpx_lt_i64_e64 v[28:29], v[2:3]
	s_cbranch_execz .LBB33_11
; %bb.10:                               ;   in Loop: Header=BB33_9 Depth=1
	v_add_nc_u64_e32 v[30:31], s[2:3], v[6:7]
	v_add_nc_u64_e32 v[32:33], s[2:3], v[8:9]
	global_load_u8 v38, v[30:31], off
	global_load_u8 v37, v[32:33], off
.LBB33_11:                              ;   in Loop: Header=BB33_9 Depth=1
	s_wait_xcnt 0x0
	s_or_b32 exec_lo, exec_lo, s4
	v_add_nc_u64_e32 v[30:31], s[2:3], v[26:27]
	s_mov_b32 s4, exec_lo
	s_delay_alu instid0(VALU_DEP_1)
	v_cmpx_lt_i64_e64 v[30:31], v[2:3]
	s_cbranch_execz .LBB33_13
; %bb.12:                               ;   in Loop: Header=BB33_9 Depth=1
	v_add_nc_u64_e32 v[32:33], s[2:3], v[14:15]
	v_add_nc_u64_e32 v[34:35], s[2:3], v[16:17]
	global_load_u8 v39, v[32:33], off
	global_load_u8 v40, v[34:35], off
	s_wait_loadcnt 0x1
	v_lshl_or_b32 v38, v39, 8, v38
	s_wait_loadcnt 0x0
	v_lshl_or_b32 v37, v40, 8, v37
.LBB33_13:                              ;   in Loop: Header=BB33_9 Depth=1
	s_wait_xcnt 0x0
	s_or_b32 exec_lo, exec_lo, s4
	v_add_nc_u64_e32 v[32:33], s[2:3], v[12:13]
	s_mov_b32 s4, exec_lo
	s_delay_alu instid0(VALU_DEP_1)
	v_cmpx_lt_i64_e64 v[32:33], v[2:3]
	s_cbranch_execz .LBB33_15
; %bb.14:                               ;   in Loop: Header=BB33_9 Depth=1
	v_add_nc_u64_e32 v[34:35], s[2:3], v[22:23]
	v_add_nc_u64_e32 v[40:41], s[2:3], v[24:25]
	global_load_u8 v39, v[34:35], off
	global_load_u8 v42, v[40:41], off
	s_wait_loadcnt 0x1
	v_lshl_or_b32 v38, v39, 16, v38
	s_wait_loadcnt 0x0
	v_lshl_or_b32 v37, v42, 16, v37
.LBB33_15:                              ;   in Loop: Header=BB33_9 Depth=1
	s_wait_xcnt 0x0
	s_or_b32 exec_lo, exec_lo, s4
	v_add_nc_u64_e32 v[34:35], s[2:3], v[10:11]
	s_mov_b32 s4, exec_lo
	s_delay_alu instid0(VALU_DEP_1)
	v_cmpx_lt_i64_e64 v[34:35], v[2:3]
	s_cbranch_execnz .LBB33_20
; %bb.16:                               ;   in Loop: Header=BB33_9 Depth=1
	s_or_b32 exec_lo, exec_lo, s4
	s_delay_alu instid0(SALU_CYCLE_1)
	s_mov_b32 s4, exec_lo
	v_cmpx_lt_u64_e64 v[28:29], v[4:5]
	s_cbranch_execnz .LBB33_21
.LBB33_17:                              ;   in Loop: Header=BB33_9 Depth=1
	s_or_b32 exec_lo, exec_lo, s4
	s_delay_alu instid0(SALU_CYCLE_1)
	s_mov_b32 s4, exec_lo
	v_cmpx_lt_u64_e64 v[30:31], v[4:5]
	s_cbranch_execnz .LBB33_22
.LBB33_18:                              ;   in Loop: Header=BB33_9 Depth=1
	s_or_b32 exec_lo, exec_lo, s4
	s_delay_alu instid0(SALU_CYCLE_1)
	s_mov_b32 s4, exec_lo
	v_cmpx_lt_u64_e64 v[32:33], v[4:5]
	s_cbranch_execnz .LBB33_23
.LBB33_19:                              ;   in Loop: Header=BB33_9 Depth=1
	s_or_b32 exec_lo, exec_lo, s4
	s_delay_alu instid0(SALU_CYCLE_1)
	s_mov_b32 s4, exec_lo
	v_cmpx_lt_u64_e64 v[34:35], v[4:5]
	s_cbranch_execz .LBB33_8
	s_branch .LBB33_24
.LBB33_20:                              ;   in Loop: Header=BB33_9 Depth=1
	v_add_nc_u64_e32 v[40:41], s[2:3], v[18:19]
	v_add_nc_u64_e32 v[42:43], s[2:3], v[20:21]
	global_load_u8 v39, v[40:41], off
	global_load_u8 v44, v[42:43], off
	s_wait_loadcnt 0x1
	v_lshl_or_b32 v38, v39, 24, v38
	s_wait_loadcnt 0x0
	v_lshl_or_b32 v37, v44, 24, v37
	s_wait_xcnt 0x0
	s_or_b32 exec_lo, exec_lo, s4
	s_delay_alu instid0(SALU_CYCLE_1)
	s_mov_b32 s4, exec_lo
	v_cmpx_lt_u64_e64 v[28:29], v[4:5]
	s_cbranch_execz .LBB33_17
.LBB33_21:                              ;   in Loop: Header=BB33_9 Depth=1
	v_add_nc_u64_e32 v[28:29], s[2:3], v[6:7]
	s_wait_loadcnt 0x0
	v_mad_u16 v39, v36, v37, v38
	global_store_b8 v[28:29], v39, off
	s_wait_xcnt 0x0
	s_or_b32 exec_lo, exec_lo, s4
	s_delay_alu instid0(SALU_CYCLE_1)
	s_mov_b32 s4, exec_lo
	v_cmpx_lt_u64_e64 v[30:31], v[4:5]
	s_cbranch_execz .LBB33_18
.LBB33_22:                              ;   in Loop: Header=BB33_9 Depth=1
	s_wait_loadcnt 0x0
	v_dual_lshrrev_b32 v30, 8, v38 :: v_dual_lshrrev_b32 v31, 8, v37
	v_add_nc_u64_e32 v[28:29], s[2:3], v[14:15]
	s_delay_alu instid0(VALU_DEP_2) | instskip(SKIP_3) | instid1(SALU_CYCLE_1)
	v_mad_u16 v30, v36, v31, v30
	global_store_b8 v[28:29], v30, off
	s_wait_xcnt 0x0
	s_or_b32 exec_lo, exec_lo, s4
	s_mov_b32 s4, exec_lo
	v_cmpx_lt_u64_e64 v[32:33], v[4:5]
	s_cbranch_execz .LBB33_19
.LBB33_23:                              ;   in Loop: Header=BB33_9 Depth=1
	s_wait_loadcnt 0x0
	v_dual_lshrrev_b32 v30, 16, v38 :: v_dual_lshrrev_b32 v31, 16, v37
	v_add_nc_u64_e32 v[28:29], s[2:3], v[22:23]
	s_delay_alu instid0(VALU_DEP_2) | instskip(SKIP_3) | instid1(SALU_CYCLE_1)
	v_mad_u16 v30, v36, v31, v30
	global_store_b8 v[28:29], v30, off
	s_wait_xcnt 0x0
	s_or_b32 exec_lo, exec_lo, s4
	s_mov_b32 s4, exec_lo
	v_cmpx_lt_u64_e64 v[34:35], v[4:5]
	s_cbranch_execz .LBB33_8
.LBB33_24:                              ;   in Loop: Header=BB33_9 Depth=1
	s_wait_loadcnt 0x0
	v_dual_lshrrev_b32 v30, 24, v38 :: v_dual_lshrrev_b32 v31, 24, v37
	v_add_nc_u64_e32 v[28:29], s[2:3], v[18:19]
	s_delay_alu instid0(VALU_DEP_2)
	v_mad_u16 v30, v36, v31, v30
	global_store_b8 v[28:29], v30, off
	s_branch .LBB33_8
.LBB33_25:
	s_endpgm
	.section	.rodata,"a",@progbits
	.p2align	6, 0x0
	.amdhsa_kernel _ZN2at6native12_GLOBAL__N_125multi_tensor_apply_kernelINS1_18TensorListMetadataILi3EEENS1_32PointwiseOpScalar0dTensorFunctorIhLi3ELi2ELi0EEEJSt10multipliesIhEhEEEvT_T0_DpT1_
		.amdhsa_group_segment_fixed_size 0
		.amdhsa_private_segment_fixed_size 0
		.amdhsa_kernarg_size 3408
		.amdhsa_user_sgpr_count 2
		.amdhsa_user_sgpr_dispatch_ptr 0
		.amdhsa_user_sgpr_queue_ptr 0
		.amdhsa_user_sgpr_kernarg_segment_ptr 1
		.amdhsa_user_sgpr_dispatch_id 0
		.amdhsa_user_sgpr_kernarg_preload_length 0
		.amdhsa_user_sgpr_kernarg_preload_offset 0
		.amdhsa_user_sgpr_private_segment_size 0
		.amdhsa_wavefront_size32 1
		.amdhsa_uses_dynamic_stack 0
		.amdhsa_enable_private_segment 0
		.amdhsa_system_sgpr_workgroup_id_x 1
		.amdhsa_system_sgpr_workgroup_id_y 0
		.amdhsa_system_sgpr_workgroup_id_z 0
		.amdhsa_system_sgpr_workgroup_info 0
		.amdhsa_system_vgpr_workitem_id 0
		.amdhsa_next_free_vgpr 45
		.amdhsa_next_free_sgpr 17
		.amdhsa_named_barrier_count 0
		.amdhsa_reserve_vcc 1
		.amdhsa_float_round_mode_32 0
		.amdhsa_float_round_mode_16_64 0
		.amdhsa_float_denorm_mode_32 3
		.amdhsa_float_denorm_mode_16_64 3
		.amdhsa_fp16_overflow 0
		.amdhsa_memory_ordered 1
		.amdhsa_forward_progress 1
		.amdhsa_inst_pref_size 12
		.amdhsa_round_robin_scheduling 0
		.amdhsa_exception_fp_ieee_invalid_op 0
		.amdhsa_exception_fp_denorm_src 0
		.amdhsa_exception_fp_ieee_div_zero 0
		.amdhsa_exception_fp_ieee_overflow 0
		.amdhsa_exception_fp_ieee_underflow 0
		.amdhsa_exception_fp_ieee_inexact 0
		.amdhsa_exception_int_div_zero 0
	.end_amdhsa_kernel
	.section	.text._ZN2at6native12_GLOBAL__N_125multi_tensor_apply_kernelINS1_18TensorListMetadataILi3EEENS1_32PointwiseOpScalar0dTensorFunctorIhLi3ELi2ELi0EEEJSt10multipliesIhEhEEEvT_T0_DpT1_,"axG",@progbits,_ZN2at6native12_GLOBAL__N_125multi_tensor_apply_kernelINS1_18TensorListMetadataILi3EEENS1_32PointwiseOpScalar0dTensorFunctorIhLi3ELi2ELi0EEEJSt10multipliesIhEhEEEvT_T0_DpT1_,comdat
.Lfunc_end33:
	.size	_ZN2at6native12_GLOBAL__N_125multi_tensor_apply_kernelINS1_18TensorListMetadataILi3EEENS1_32PointwiseOpScalar0dTensorFunctorIhLi3ELi2ELi0EEEJSt10multipliesIhEhEEEvT_T0_DpT1_, .Lfunc_end33-_ZN2at6native12_GLOBAL__N_125multi_tensor_apply_kernelINS1_18TensorListMetadataILi3EEENS1_32PointwiseOpScalar0dTensorFunctorIhLi3ELi2ELi0EEEJSt10multipliesIhEhEEEvT_T0_DpT1_
                                        ; -- End function
	.set _ZN2at6native12_GLOBAL__N_125multi_tensor_apply_kernelINS1_18TensorListMetadataILi3EEENS1_32PointwiseOpScalar0dTensorFunctorIhLi3ELi2ELi0EEEJSt10multipliesIhEhEEEvT_T0_DpT1_.num_vgpr, 45
	.set _ZN2at6native12_GLOBAL__N_125multi_tensor_apply_kernelINS1_18TensorListMetadataILi3EEENS1_32PointwiseOpScalar0dTensorFunctorIhLi3ELi2ELi0EEEJSt10multipliesIhEhEEEvT_T0_DpT1_.num_agpr, 0
	.set _ZN2at6native12_GLOBAL__N_125multi_tensor_apply_kernelINS1_18TensorListMetadataILi3EEENS1_32PointwiseOpScalar0dTensorFunctorIhLi3ELi2ELi0EEEJSt10multipliesIhEhEEEvT_T0_DpT1_.numbered_sgpr, 17
	.set _ZN2at6native12_GLOBAL__N_125multi_tensor_apply_kernelINS1_18TensorListMetadataILi3EEENS1_32PointwiseOpScalar0dTensorFunctorIhLi3ELi2ELi0EEEJSt10multipliesIhEhEEEvT_T0_DpT1_.num_named_barrier, 0
	.set _ZN2at6native12_GLOBAL__N_125multi_tensor_apply_kernelINS1_18TensorListMetadataILi3EEENS1_32PointwiseOpScalar0dTensorFunctorIhLi3ELi2ELi0EEEJSt10multipliesIhEhEEEvT_T0_DpT1_.private_seg_size, 0
	.set _ZN2at6native12_GLOBAL__N_125multi_tensor_apply_kernelINS1_18TensorListMetadataILi3EEENS1_32PointwiseOpScalar0dTensorFunctorIhLi3ELi2ELi0EEEJSt10multipliesIhEhEEEvT_T0_DpT1_.uses_vcc, 1
	.set _ZN2at6native12_GLOBAL__N_125multi_tensor_apply_kernelINS1_18TensorListMetadataILi3EEENS1_32PointwiseOpScalar0dTensorFunctorIhLi3ELi2ELi0EEEJSt10multipliesIhEhEEEvT_T0_DpT1_.uses_flat_scratch, 0
	.set _ZN2at6native12_GLOBAL__N_125multi_tensor_apply_kernelINS1_18TensorListMetadataILi3EEENS1_32PointwiseOpScalar0dTensorFunctorIhLi3ELi2ELi0EEEJSt10multipliesIhEhEEEvT_T0_DpT1_.has_dyn_sized_stack, 0
	.set _ZN2at6native12_GLOBAL__N_125multi_tensor_apply_kernelINS1_18TensorListMetadataILi3EEENS1_32PointwiseOpScalar0dTensorFunctorIhLi3ELi2ELi0EEEJSt10multipliesIhEhEEEvT_T0_DpT1_.has_recursion, 0
	.set _ZN2at6native12_GLOBAL__N_125multi_tensor_apply_kernelINS1_18TensorListMetadataILi3EEENS1_32PointwiseOpScalar0dTensorFunctorIhLi3ELi2ELi0EEEJSt10multipliesIhEhEEEvT_T0_DpT1_.has_indirect_call, 0
	.section	.AMDGPU.csdata,"",@progbits
; Kernel info:
; codeLenInByte = 1496
; TotalNumSgprs: 19
; NumVgprs: 45
; ScratchSize: 0
; MemoryBound: 0
; FloatMode: 240
; IeeeMode: 1
; LDSByteSize: 0 bytes/workgroup (compile time only)
; SGPRBlocks: 0
; VGPRBlocks: 2
; NumSGPRsForWavesPerEU: 19
; NumVGPRsForWavesPerEU: 45
; NamedBarCnt: 0
; Occupancy: 16
; WaveLimiterHint : 0
; COMPUTE_PGM_RSRC2:SCRATCH_EN: 0
; COMPUTE_PGM_RSRC2:USER_SGPR: 2
; COMPUTE_PGM_RSRC2:TRAP_HANDLER: 0
; COMPUTE_PGM_RSRC2:TGID_X_EN: 1
; COMPUTE_PGM_RSRC2:TGID_Y_EN: 0
; COMPUTE_PGM_RSRC2:TGID_Z_EN: 0
; COMPUTE_PGM_RSRC2:TIDIG_COMP_CNT: 0
	.section	.text._ZN2at6native12_GLOBAL__N_125multi_tensor_apply_kernelINS1_18TensorListMetadataILi3EEENS1_32PointwiseOpScalar0dTensorFunctorIaLi3ELi2ELi0EEEJSt10multipliesIaEaEEEvT_T0_DpT1_,"axG",@progbits,_ZN2at6native12_GLOBAL__N_125multi_tensor_apply_kernelINS1_18TensorListMetadataILi3EEENS1_32PointwiseOpScalar0dTensorFunctorIaLi3ELi2ELi0EEEJSt10multipliesIaEaEEEvT_T0_DpT1_,comdat
	.globl	_ZN2at6native12_GLOBAL__N_125multi_tensor_apply_kernelINS1_18TensorListMetadataILi3EEENS1_32PointwiseOpScalar0dTensorFunctorIaLi3ELi2ELi0EEEJSt10multipliesIaEaEEEvT_T0_DpT1_ ; -- Begin function _ZN2at6native12_GLOBAL__N_125multi_tensor_apply_kernelINS1_18TensorListMetadataILi3EEENS1_32PointwiseOpScalar0dTensorFunctorIaLi3ELi2ELi0EEEJSt10multipliesIaEaEEEvT_T0_DpT1_
	.p2align	8
	.type	_ZN2at6native12_GLOBAL__N_125multi_tensor_apply_kernelINS1_18TensorListMetadataILi3EEENS1_32PointwiseOpScalar0dTensorFunctorIaLi3ELi2ELi0EEEJSt10multipliesIaEaEEEvT_T0_DpT1_,@function
_ZN2at6native12_GLOBAL__N_125multi_tensor_apply_kernelINS1_18TensorListMetadataILi3EEENS1_32PointwiseOpScalar0dTensorFunctorIaLi3ELi2ELi0EEEJSt10multipliesIaEaEEEvT_T0_DpT1_: ; @_ZN2at6native12_GLOBAL__N_125multi_tensor_apply_kernelINS1_18TensorListMetadataILi3EEENS1_32PointwiseOpScalar0dTensorFunctorIaLi3ELi2ELi0EEEJSt10multipliesIaEaEEEvT_T0_DpT1_
; %bb.0:
	s_bfe_u32 s2, ttmp6, 0x4000c
	s_and_b32 s3, ttmp6, 15
	s_add_co_i32 s2, s2, 1
	s_getreg_b32 s4, hwreg(HW_REG_IB_STS2, 6, 4)
	s_mul_i32 s2, ttmp9, s2
	s_mov_b32 s9, 0
	s_add_co_i32 s3, s3, s2
	s_cmp_eq_u32 s4, 0
	v_mov_b32_e32 v5, 0
	s_cselect_b32 s8, ttmp9, s3
	s_load_b32 s14, s[0:1], 0xc48
	s_add_nc_u64 s[2:3], s[0:1], s[8:9]
	s_mul_u64 s[4:5], s[8:9], 3
	s_delay_alu instid0(SALU_CYCLE_1)
	s_add_nc_u64 s[2:3], s[2:3], s[4:5]
	s_clause 0x1
	s_load_b32 s6, s[2:3], 0x740
	s_load_u8 s7, s[0:1], s8 offset:0x600
	s_wait_kmcnt 0x0
	s_clause 0x1
	s_load_b64 s[10:11], s[0:1], s7 offset:0x180 scale_offset
	s_load_b64 s[2:3], s[0:1], s7 offset:0x300 scale_offset
	s_wait_kmcnt 0x0
	global_load_u8 v8, v5, s[10:11]
	s_clause 0x1
	s_load_b64 s[4:5], s[0:1], s7 offset:0x0 scale_offset
	s_load_b64 s[12:13], s[0:1], s7 offset:0x480 scale_offset
	s_wait_xcnt 0x0
	s_ashr_i32 s7, s6, 31
	s_delay_alu instid0(SALU_CYCLE_1) | instskip(NEXT) | instid1(SALU_CYCLE_1)
	s_lshl_b64 s[6:7], s[6:7], 16
	s_add_nc_u64 s[10:11], s[10:11], s[6:7]
	s_delay_alu instid0(SALU_CYCLE_1) | instskip(NEXT) | instid1(SALU_CYCLE_1)
	s_or_b32 s8, s2, s10
	s_and_b32 s8, s8, 3
	s_delay_alu instid0(SALU_CYCLE_1) | instskip(SKIP_3) | instid1(SALU_CYCLE_1)
	s_cmp_lg_u32 s8, 0
	s_cselect_b32 s15, -1, 0
	s_wait_kmcnt 0x0
	s_add_nc_u64 s[10:11], s[4:5], s[6:7]
	s_or_b64 s[10:11], s[12:13], s[10:11]
	s_delay_alu instid0(SALU_CYCLE_1) | instskip(NEXT) | instid1(SALU_CYCLE_1)
	s_and_b32 s8, s10, 3
	s_cmp_lg_u64 s[8:9], 0
	s_cselect_b32 s8, -1, 0
	s_delay_alu instid0(SALU_CYCLE_1)
	s_or_b32 s10, s15, s8
	s_sub_nc_u64 s[8:9], s[12:13], s[6:7]
	s_and_not1_b32 vcc_lo, exec_lo, s10
	s_mov_b32 s10, -1
	s_cbranch_vccz .LBB34_5
; %bb.1:
	v_min_i64 v[2:3], 0x10000, s[8:9]
	v_lshlrev_b32_e32 v4, 2, v0
	s_mov_b32 s15, exec_lo
	s_delay_alu instid0(VALU_DEP_1)
	v_cmpx_lt_i64_e64 v[4:5], v[2:3]
	s_cbranch_execz .LBB34_4
; %bb.2:
	s_load_b32 s10, s[0:1], 0xc5c
	s_lshr_b32 s11, s14, 16
	v_mov_b32_e32 v1, v5
	s_wait_loadcnt 0x0
	v_mul_lo_u32 v9, v8, s11
	v_add_nc_u64_e32 v[4:5], s[6:7], v[4:5]
	s_mov_b32 s11, 0
	v_mov_b64_e32 v[6:7], v[0:1]
	s_mov_b32 s13, s11
	s_mov_b32 s16, s11
	s_wait_kmcnt 0x0
	s_and_b32 s10, s10, 0xffff
	s_delay_alu instid0(SALU_CYCLE_1)
	s_lshl_b32 s12, s10, 2
.LBB34_3:                               ; =>This Inner Loop Header: Depth=1
	v_add_nc_u64_e32 v[10:11], s[4:5], v[4:5]
	v_add_nc_u64_e32 v[12:13], s[2:3], v[4:5]
	v_add_nc_u64_e32 v[6:7], s[10:11], v[6:7]
	v_add_nc_u64_e32 v[4:5], s[12:13], v[4:5]
	global_load_b32 v1, v[10:11], off
	global_load_b32 v14, v[12:13], off
	s_wait_loadcnt 0x0
	s_wait_xcnt 0x0
	v_dual_lshrrev_b32 v12, 8, v1 :: v_dual_lshrrev_b32 v13, 8, v14
	v_dual_lshrrev_b32 v15, 16, v1 :: v_dual_lshrrev_b32 v16, 16, v14
	;; [unrolled: 1-line block ×3, first 2 shown]
	s_delay_alu instid0(VALU_DEP_3) | instskip(SKIP_1) | instid1(VALU_DEP_4)
	v_mad_u16 v19, v9, v13, v12
	v_lshlrev_b64_e32 v[12:13], 2, v[6:7]
	v_mad_u16 v15, v9, v16, v15
	v_mad_u16 v1, v9, v14, v1
	;; [unrolled: 1-line block ×3, first 2 shown]
	v_and_b32_e32 v16, 0xff, v19
	s_delay_alu instid0(VALU_DEP_4) | instskip(SKIP_1) | instid1(VALU_DEP_4)
	v_and_b32_e32 v15, 0xff, v15
	v_cmp_ge_i64_e32 vcc_lo, v[12:13], v[2:3]
	v_lshlrev_b32_e32 v14, 24, v14
	s_delay_alu instid0(VALU_DEP_4) | instskip(NEXT) | instid1(VALU_DEP_4)
	v_perm_b32 v1, v16, v1, 0x6050400
	v_lshlrev_b32_e32 v15, 16, v15
	s_or_b32 s16, vcc_lo, s16
	s_delay_alu instid0(VALU_DEP_1)
	v_or3_b32 v1, v1, v15, v14
	global_store_b32 v[10:11], v1, off
	s_wait_xcnt 0x0
	s_and_not1_b32 exec_lo, exec_lo, s16
	s_cbranch_execnz .LBB34_3
.LBB34_4:
	s_or_b32 exec_lo, exec_lo, s15
	s_mov_b32 s10, 0
.LBB34_5:
	s_delay_alu instid0(SALU_CYCLE_1)
	s_and_not1_b32 vcc_lo, exec_lo, s10
	s_cbranch_vccnz .LBB34_25
; %bb.6:
	v_cmp_lt_i64_e64 s10, s[8:9], 1
	s_and_b32 vcc_lo, exec_lo, s10
	s_cbranch_vccnz .LBB34_25
; %bb.7:
	s_load_b32 s0, s[0:1], 0xc5c
	v_min_i64 v[2:3], 0x10000, s[8:9]
	v_min_u64 v[4:5], 0x10000, s[8:9]
	v_mov_b32_e32 v1, 0
	s_lshr_b32 s8, s14, 16
	s_wait_xcnt 0x0
	s_mov_b32 s1, 0
	s_wait_loadcnt 0x0
	v_mul_lo_u32 v36, v8, s8
	s_mov_b32 s9, s1
	v_add_nc_u64_e32 v[10:11], s[6:7], v[0:1]
	s_mov_b32 s11, s1
	s_delay_alu instid0(VALU_DEP_1) | instskip(SKIP_3) | instid1(SALU_CYCLE_1)
	v_add_nc_u64_e32 v[6:7], s[4:5], v[10:11]
	v_add_nc_u64_e32 v[8:9], s[2:3], v[10:11]
	s_wait_kmcnt 0x0
	s_and_b32 s0, s0, 0xffff
	s_lshl_b32 s8, s0, 1
	s_mul_i32 s10, s0, 3
	v_add_nc_u64_e32 v[16:17], s[0:1], v[10:11]
	s_add_nc_u64 s[12:13], s[6:7], s[10:11]
	s_add_nc_u64 s[6:7], s[6:7], s[8:9]
	v_add_nc_u64_e32 v[20:21], s[12:13], v[0:1]
	v_add_nc_u64_e32 v[24:25], s[6:7], v[0:1]
	;; [unrolled: 1-line block ×11, first 2 shown]
	s_lshl_b32 s0, s0, 2
	s_mov_b64 s[2:3], 0
	s_branch .LBB34_9
.LBB34_8:                               ;   in Loop: Header=BB34_9 Depth=1
	s_wait_xcnt 0x0
	s_or_b32 exec_lo, exec_lo, s4
	s_add_nc_u64 s[2:3], s[2:3], s[0:1]
	s_delay_alu instid0(SALU_CYCLE_1)
	v_cmp_ge_i64_e32 vcc_lo, s[2:3], v[2:3]
	s_cbranch_vccnz .LBB34_25
.LBB34_9:                               ; =>This Inner Loop Header: Depth=1
	v_add_nc_u64_e32 v[28:29], s[2:3], v[0:1]
	s_wait_loadcnt 0x0
	v_dual_mov_b32 v37, 0 :: v_dual_mov_b32 v38, 0
	s_mov_b32 s4, exec_lo
	s_delay_alu instid0(VALU_DEP_2)
	v_cmpx_lt_i64_e64 v[28:29], v[2:3]
	s_cbranch_execz .LBB34_11
; %bb.10:                               ;   in Loop: Header=BB34_9 Depth=1
	v_add_nc_u64_e32 v[30:31], s[2:3], v[6:7]
	v_add_nc_u64_e32 v[32:33], s[2:3], v[8:9]
	global_load_u8 v38, v[30:31], off
	global_load_u8 v37, v[32:33], off
.LBB34_11:                              ;   in Loop: Header=BB34_9 Depth=1
	s_wait_xcnt 0x0
	s_or_b32 exec_lo, exec_lo, s4
	v_add_nc_u64_e32 v[30:31], s[2:3], v[26:27]
	s_mov_b32 s4, exec_lo
	s_delay_alu instid0(VALU_DEP_1)
	v_cmpx_lt_i64_e64 v[30:31], v[2:3]
	s_cbranch_execz .LBB34_13
; %bb.12:                               ;   in Loop: Header=BB34_9 Depth=1
	v_add_nc_u64_e32 v[32:33], s[2:3], v[14:15]
	v_add_nc_u64_e32 v[34:35], s[2:3], v[16:17]
	global_load_u8 v39, v[32:33], off
	global_load_u8 v40, v[34:35], off
	s_wait_loadcnt 0x1
	v_lshl_or_b32 v38, v39, 8, v38
	s_wait_loadcnt 0x0
	v_lshl_or_b32 v37, v40, 8, v37
.LBB34_13:                              ;   in Loop: Header=BB34_9 Depth=1
	s_wait_xcnt 0x0
	s_or_b32 exec_lo, exec_lo, s4
	v_add_nc_u64_e32 v[32:33], s[2:3], v[12:13]
	s_mov_b32 s4, exec_lo
	s_delay_alu instid0(VALU_DEP_1)
	v_cmpx_lt_i64_e64 v[32:33], v[2:3]
	s_cbranch_execz .LBB34_15
; %bb.14:                               ;   in Loop: Header=BB34_9 Depth=1
	v_add_nc_u64_e32 v[34:35], s[2:3], v[22:23]
	v_add_nc_u64_e32 v[40:41], s[2:3], v[24:25]
	global_load_u8 v39, v[34:35], off
	global_load_u8 v42, v[40:41], off
	s_wait_loadcnt 0x1
	v_lshl_or_b32 v38, v39, 16, v38
	s_wait_loadcnt 0x0
	v_lshl_or_b32 v37, v42, 16, v37
.LBB34_15:                              ;   in Loop: Header=BB34_9 Depth=1
	s_wait_xcnt 0x0
	s_or_b32 exec_lo, exec_lo, s4
	v_add_nc_u64_e32 v[34:35], s[2:3], v[10:11]
	s_mov_b32 s4, exec_lo
	s_delay_alu instid0(VALU_DEP_1)
	v_cmpx_lt_i64_e64 v[34:35], v[2:3]
	s_cbranch_execnz .LBB34_20
; %bb.16:                               ;   in Loop: Header=BB34_9 Depth=1
	s_or_b32 exec_lo, exec_lo, s4
	s_delay_alu instid0(SALU_CYCLE_1)
	s_mov_b32 s4, exec_lo
	v_cmpx_lt_u64_e64 v[28:29], v[4:5]
	s_cbranch_execnz .LBB34_21
.LBB34_17:                              ;   in Loop: Header=BB34_9 Depth=1
	s_or_b32 exec_lo, exec_lo, s4
	s_delay_alu instid0(SALU_CYCLE_1)
	s_mov_b32 s4, exec_lo
	v_cmpx_lt_u64_e64 v[30:31], v[4:5]
	s_cbranch_execnz .LBB34_22
.LBB34_18:                              ;   in Loop: Header=BB34_9 Depth=1
	s_or_b32 exec_lo, exec_lo, s4
	s_delay_alu instid0(SALU_CYCLE_1)
	s_mov_b32 s4, exec_lo
	v_cmpx_lt_u64_e64 v[32:33], v[4:5]
	s_cbranch_execnz .LBB34_23
.LBB34_19:                              ;   in Loop: Header=BB34_9 Depth=1
	s_or_b32 exec_lo, exec_lo, s4
	s_delay_alu instid0(SALU_CYCLE_1)
	s_mov_b32 s4, exec_lo
	v_cmpx_lt_u64_e64 v[34:35], v[4:5]
	s_cbranch_execz .LBB34_8
	s_branch .LBB34_24
.LBB34_20:                              ;   in Loop: Header=BB34_9 Depth=1
	v_add_nc_u64_e32 v[40:41], s[2:3], v[18:19]
	v_add_nc_u64_e32 v[42:43], s[2:3], v[20:21]
	global_load_u8 v39, v[40:41], off
	global_load_u8 v44, v[42:43], off
	s_wait_loadcnt 0x1
	v_lshl_or_b32 v38, v39, 24, v38
	s_wait_loadcnt 0x0
	v_lshl_or_b32 v37, v44, 24, v37
	s_wait_xcnt 0x0
	s_or_b32 exec_lo, exec_lo, s4
	s_delay_alu instid0(SALU_CYCLE_1)
	s_mov_b32 s4, exec_lo
	v_cmpx_lt_u64_e64 v[28:29], v[4:5]
	s_cbranch_execz .LBB34_17
.LBB34_21:                              ;   in Loop: Header=BB34_9 Depth=1
	v_add_nc_u64_e32 v[28:29], s[2:3], v[6:7]
	s_wait_loadcnt 0x0
	v_mad_u16 v39, v36, v37, v38
	global_store_b8 v[28:29], v39, off
	s_wait_xcnt 0x0
	s_or_b32 exec_lo, exec_lo, s4
	s_delay_alu instid0(SALU_CYCLE_1)
	s_mov_b32 s4, exec_lo
	v_cmpx_lt_u64_e64 v[30:31], v[4:5]
	s_cbranch_execz .LBB34_18
.LBB34_22:                              ;   in Loop: Header=BB34_9 Depth=1
	s_wait_loadcnt 0x0
	v_dual_lshrrev_b32 v30, 8, v38 :: v_dual_lshrrev_b32 v31, 8, v37
	v_add_nc_u64_e32 v[28:29], s[2:3], v[14:15]
	s_delay_alu instid0(VALU_DEP_2) | instskip(SKIP_3) | instid1(SALU_CYCLE_1)
	v_mad_u16 v30, v36, v31, v30
	global_store_b8 v[28:29], v30, off
	s_wait_xcnt 0x0
	s_or_b32 exec_lo, exec_lo, s4
	s_mov_b32 s4, exec_lo
	v_cmpx_lt_u64_e64 v[32:33], v[4:5]
	s_cbranch_execz .LBB34_19
.LBB34_23:                              ;   in Loop: Header=BB34_9 Depth=1
	s_wait_loadcnt 0x0
	v_dual_lshrrev_b32 v30, 16, v38 :: v_dual_lshrrev_b32 v31, 16, v37
	v_add_nc_u64_e32 v[28:29], s[2:3], v[22:23]
	s_delay_alu instid0(VALU_DEP_2) | instskip(SKIP_3) | instid1(SALU_CYCLE_1)
	v_mad_u16 v30, v36, v31, v30
	global_store_b8 v[28:29], v30, off
	s_wait_xcnt 0x0
	s_or_b32 exec_lo, exec_lo, s4
	s_mov_b32 s4, exec_lo
	v_cmpx_lt_u64_e64 v[34:35], v[4:5]
	s_cbranch_execz .LBB34_8
.LBB34_24:                              ;   in Loop: Header=BB34_9 Depth=1
	s_wait_loadcnt 0x0
	v_dual_lshrrev_b32 v30, 24, v38 :: v_dual_lshrrev_b32 v31, 24, v37
	v_add_nc_u64_e32 v[28:29], s[2:3], v[18:19]
	s_delay_alu instid0(VALU_DEP_2)
	v_mad_u16 v30, v36, v31, v30
	global_store_b8 v[28:29], v30, off
	s_branch .LBB34_8
.LBB34_25:
	s_endpgm
	.section	.rodata,"a",@progbits
	.p2align	6, 0x0
	.amdhsa_kernel _ZN2at6native12_GLOBAL__N_125multi_tensor_apply_kernelINS1_18TensorListMetadataILi3EEENS1_32PointwiseOpScalar0dTensorFunctorIaLi3ELi2ELi0EEEJSt10multipliesIaEaEEEvT_T0_DpT1_
		.amdhsa_group_segment_fixed_size 0
		.amdhsa_private_segment_fixed_size 0
		.amdhsa_kernarg_size 3408
		.amdhsa_user_sgpr_count 2
		.amdhsa_user_sgpr_dispatch_ptr 0
		.amdhsa_user_sgpr_queue_ptr 0
		.amdhsa_user_sgpr_kernarg_segment_ptr 1
		.amdhsa_user_sgpr_dispatch_id 0
		.amdhsa_user_sgpr_kernarg_preload_length 0
		.amdhsa_user_sgpr_kernarg_preload_offset 0
		.amdhsa_user_sgpr_private_segment_size 0
		.amdhsa_wavefront_size32 1
		.amdhsa_uses_dynamic_stack 0
		.amdhsa_enable_private_segment 0
		.amdhsa_system_sgpr_workgroup_id_x 1
		.amdhsa_system_sgpr_workgroup_id_y 0
		.amdhsa_system_sgpr_workgroup_id_z 0
		.amdhsa_system_sgpr_workgroup_info 0
		.amdhsa_system_vgpr_workitem_id 0
		.amdhsa_next_free_vgpr 45
		.amdhsa_next_free_sgpr 17
		.amdhsa_named_barrier_count 0
		.amdhsa_reserve_vcc 1
		.amdhsa_float_round_mode_32 0
		.amdhsa_float_round_mode_16_64 0
		.amdhsa_float_denorm_mode_32 3
		.amdhsa_float_denorm_mode_16_64 3
		.amdhsa_fp16_overflow 0
		.amdhsa_memory_ordered 1
		.amdhsa_forward_progress 1
		.amdhsa_inst_pref_size 12
		.amdhsa_round_robin_scheduling 0
		.amdhsa_exception_fp_ieee_invalid_op 0
		.amdhsa_exception_fp_denorm_src 0
		.amdhsa_exception_fp_ieee_div_zero 0
		.amdhsa_exception_fp_ieee_overflow 0
		.amdhsa_exception_fp_ieee_underflow 0
		.amdhsa_exception_fp_ieee_inexact 0
		.amdhsa_exception_int_div_zero 0
	.end_amdhsa_kernel
	.section	.text._ZN2at6native12_GLOBAL__N_125multi_tensor_apply_kernelINS1_18TensorListMetadataILi3EEENS1_32PointwiseOpScalar0dTensorFunctorIaLi3ELi2ELi0EEEJSt10multipliesIaEaEEEvT_T0_DpT1_,"axG",@progbits,_ZN2at6native12_GLOBAL__N_125multi_tensor_apply_kernelINS1_18TensorListMetadataILi3EEENS1_32PointwiseOpScalar0dTensorFunctorIaLi3ELi2ELi0EEEJSt10multipliesIaEaEEEvT_T0_DpT1_,comdat
.Lfunc_end34:
	.size	_ZN2at6native12_GLOBAL__N_125multi_tensor_apply_kernelINS1_18TensorListMetadataILi3EEENS1_32PointwiseOpScalar0dTensorFunctorIaLi3ELi2ELi0EEEJSt10multipliesIaEaEEEvT_T0_DpT1_, .Lfunc_end34-_ZN2at6native12_GLOBAL__N_125multi_tensor_apply_kernelINS1_18TensorListMetadataILi3EEENS1_32PointwiseOpScalar0dTensorFunctorIaLi3ELi2ELi0EEEJSt10multipliesIaEaEEEvT_T0_DpT1_
                                        ; -- End function
	.set _ZN2at6native12_GLOBAL__N_125multi_tensor_apply_kernelINS1_18TensorListMetadataILi3EEENS1_32PointwiseOpScalar0dTensorFunctorIaLi3ELi2ELi0EEEJSt10multipliesIaEaEEEvT_T0_DpT1_.num_vgpr, 45
	.set _ZN2at6native12_GLOBAL__N_125multi_tensor_apply_kernelINS1_18TensorListMetadataILi3EEENS1_32PointwiseOpScalar0dTensorFunctorIaLi3ELi2ELi0EEEJSt10multipliesIaEaEEEvT_T0_DpT1_.num_agpr, 0
	.set _ZN2at6native12_GLOBAL__N_125multi_tensor_apply_kernelINS1_18TensorListMetadataILi3EEENS1_32PointwiseOpScalar0dTensorFunctorIaLi3ELi2ELi0EEEJSt10multipliesIaEaEEEvT_T0_DpT1_.numbered_sgpr, 17
	.set _ZN2at6native12_GLOBAL__N_125multi_tensor_apply_kernelINS1_18TensorListMetadataILi3EEENS1_32PointwiseOpScalar0dTensorFunctorIaLi3ELi2ELi0EEEJSt10multipliesIaEaEEEvT_T0_DpT1_.num_named_barrier, 0
	.set _ZN2at6native12_GLOBAL__N_125multi_tensor_apply_kernelINS1_18TensorListMetadataILi3EEENS1_32PointwiseOpScalar0dTensorFunctorIaLi3ELi2ELi0EEEJSt10multipliesIaEaEEEvT_T0_DpT1_.private_seg_size, 0
	.set _ZN2at6native12_GLOBAL__N_125multi_tensor_apply_kernelINS1_18TensorListMetadataILi3EEENS1_32PointwiseOpScalar0dTensorFunctorIaLi3ELi2ELi0EEEJSt10multipliesIaEaEEEvT_T0_DpT1_.uses_vcc, 1
	.set _ZN2at6native12_GLOBAL__N_125multi_tensor_apply_kernelINS1_18TensorListMetadataILi3EEENS1_32PointwiseOpScalar0dTensorFunctorIaLi3ELi2ELi0EEEJSt10multipliesIaEaEEEvT_T0_DpT1_.uses_flat_scratch, 0
	.set _ZN2at6native12_GLOBAL__N_125multi_tensor_apply_kernelINS1_18TensorListMetadataILi3EEENS1_32PointwiseOpScalar0dTensorFunctorIaLi3ELi2ELi0EEEJSt10multipliesIaEaEEEvT_T0_DpT1_.has_dyn_sized_stack, 0
	.set _ZN2at6native12_GLOBAL__N_125multi_tensor_apply_kernelINS1_18TensorListMetadataILi3EEENS1_32PointwiseOpScalar0dTensorFunctorIaLi3ELi2ELi0EEEJSt10multipliesIaEaEEEvT_T0_DpT1_.has_recursion, 0
	.set _ZN2at6native12_GLOBAL__N_125multi_tensor_apply_kernelINS1_18TensorListMetadataILi3EEENS1_32PointwiseOpScalar0dTensorFunctorIaLi3ELi2ELi0EEEJSt10multipliesIaEaEEEvT_T0_DpT1_.has_indirect_call, 0
	.section	.AMDGPU.csdata,"",@progbits
; Kernel info:
; codeLenInByte = 1496
; TotalNumSgprs: 19
; NumVgprs: 45
; ScratchSize: 0
; MemoryBound: 0
; FloatMode: 240
; IeeeMode: 1
; LDSByteSize: 0 bytes/workgroup (compile time only)
; SGPRBlocks: 0
; VGPRBlocks: 2
; NumSGPRsForWavesPerEU: 19
; NumVGPRsForWavesPerEU: 45
; NamedBarCnt: 0
; Occupancy: 16
; WaveLimiterHint : 0
; COMPUTE_PGM_RSRC2:SCRATCH_EN: 0
; COMPUTE_PGM_RSRC2:USER_SGPR: 2
; COMPUTE_PGM_RSRC2:TRAP_HANDLER: 0
; COMPUTE_PGM_RSRC2:TGID_X_EN: 1
; COMPUTE_PGM_RSRC2:TGID_Y_EN: 0
; COMPUTE_PGM_RSRC2:TGID_Z_EN: 0
; COMPUTE_PGM_RSRC2:TIDIG_COMP_CNT: 0
	.section	.text._ZN2at6native12_GLOBAL__N_125multi_tensor_apply_kernelINS1_18TensorListMetadataILi3EEENS1_32PointwiseOpScalar0dTensorFunctorIiLi3ELi2ELi0EEEJSt10multipliesIiEiEEEvT_T0_DpT1_,"axG",@progbits,_ZN2at6native12_GLOBAL__N_125multi_tensor_apply_kernelINS1_18TensorListMetadataILi3EEENS1_32PointwiseOpScalar0dTensorFunctorIiLi3ELi2ELi0EEEJSt10multipliesIiEiEEEvT_T0_DpT1_,comdat
	.globl	_ZN2at6native12_GLOBAL__N_125multi_tensor_apply_kernelINS1_18TensorListMetadataILi3EEENS1_32PointwiseOpScalar0dTensorFunctorIiLi3ELi2ELi0EEEJSt10multipliesIiEiEEEvT_T0_DpT1_ ; -- Begin function _ZN2at6native12_GLOBAL__N_125multi_tensor_apply_kernelINS1_18TensorListMetadataILi3EEENS1_32PointwiseOpScalar0dTensorFunctorIiLi3ELi2ELi0EEEJSt10multipliesIiEiEEEvT_T0_DpT1_
	.p2align	8
	.type	_ZN2at6native12_GLOBAL__N_125multi_tensor_apply_kernelINS1_18TensorListMetadataILi3EEENS1_32PointwiseOpScalar0dTensorFunctorIiLi3ELi2ELi0EEEJSt10multipliesIiEiEEEvT_T0_DpT1_,@function
_ZN2at6native12_GLOBAL__N_125multi_tensor_apply_kernelINS1_18TensorListMetadataILi3EEENS1_32PointwiseOpScalar0dTensorFunctorIiLi3ELi2ELi0EEEJSt10multipliesIiEiEEEvT_T0_DpT1_: ; @_ZN2at6native12_GLOBAL__N_125multi_tensor_apply_kernelINS1_18TensorListMetadataILi3EEENS1_32PointwiseOpScalar0dTensorFunctorIiLi3ELi2ELi0EEEJSt10multipliesIiEiEEEvT_T0_DpT1_
; %bb.0:
	s_bfe_u32 s2, ttmp6, 0x4000c
	s_and_b32 s3, ttmp6, 15
	s_add_co_i32 s2, s2, 1
	s_getreg_b32 s4, hwreg(HW_REG_IB_STS2, 6, 4)
	s_mul_i32 s2, ttmp9, s2
	s_mov_b32 s9, 0
	s_add_co_i32 s3, s3, s2
	s_cmp_eq_u32 s4, 0
	s_load_b32 s16, s[0:1], 0xc4c
	s_cselect_b32 s8, ttmp9, s3
	s_delay_alu instid0(SALU_CYCLE_1) | instskip(SKIP_1) | instid1(SALU_CYCLE_1)
	s_add_nc_u64 s[2:3], s[0:1], s[8:9]
	s_mul_u64 s[4:5], s[8:9], 3
	s_add_nc_u64 s[2:3], s[2:3], s[4:5]
	s_clause 0x1
	s_load_b32 s14, s[2:3], 0x740
	s_load_u8 s4, s[0:1], s8 offset:0x600
	s_wait_kmcnt 0x0
	s_clause 0x3
	s_load_b64 s[18:19], s[0:1], s4 offset:0x180 scale_offset
	s_load_b64 s[6:7], s[0:1], s4 offset:0x300 scale_offset
	;; [unrolled: 1-line block ×4, first 2 shown]
	s_ashr_i32 s15, s14, 31
	s_delay_alu instid0(SALU_CYCLE_1)
	s_lshl_b64 s[12:13], s[14:15], 18
	s_wait_kmcnt 0x0
	s_add_nc_u64 s[4:5], s[18:19], s[12:13]
	s_add_nc_u64 s[2:3], s[6:7], s[12:13]
	s_load_b32 s17, s[18:19], 0x0
	s_or_b32 s8, s2, s4
	s_add_nc_u64 s[4:5], s[10:11], s[12:13]
	s_and_b32 s8, s8, 15
	s_and_b64 s[22:23], s[4:5], 15
	s_cmp_lg_u32 s8, 0
	s_cselect_b32 s24, -1, 0
	s_and_b32 s8, s20, 3
	s_lshl_b64 s[14:15], s[14:15], 16
	s_or_b64 s[8:9], s[22:23], s[8:9]
	s_delay_alu instid0(SALU_CYCLE_1)
	s_cmp_lg_u64 s[8:9], 0
	s_cselect_b32 s8, -1, 0
	s_wait_xcnt 0x0
	s_or_b32 s18, s24, s8
	s_sub_nc_u64 s[8:9], s[20:21], s[14:15]
	s_and_not1_b32 vcc_lo, exec_lo, s18
	s_mov_b32 s14, -1
	s_cbranch_vccz .LBB35_5
; %bb.1:
	v_min_i64 v[2:3], 0x10000, s[8:9]
	v_dual_mov_b32 v5, 0 :: v_dual_lshlrev_b32 v4, 2, v0
	s_mov_b32 s18, exec_lo
	s_delay_alu instid0(VALU_DEP_1)
	v_cmpx_lt_i64_e64 v[4:5], v[2:3]
	s_cbranch_execz .LBB35_4
; %bb.2:
	s_load_b32 s14, s[0:1], 0xc5c
	v_dual_mov_b32 v1, v5 :: v_dual_lshlrev_b32 v4, 4, v0
	s_wait_kmcnt 0x0
	s_mul_i32 s19, s17, s16
	s_mov_b32 s15, 0
	s_add_nc_u64 s[10:11], s[10:11], 8
	v_mov_b64_e32 v[6:7], v[0:1]
	v_add_nc_u64_e32 v[4:5], s[12:13], v[4:5]
	s_mov_b32 s20, s19
	s_mov_b32 s13, s15
	;; [unrolled: 1-line block ×3, first 2 shown]
	s_and_b32 s14, s14, 0xffff
	s_delay_alu instid0(SALU_CYCLE_1)
	s_lshl_b32 s12, s14, 4
.LBB35_3:                               ; =>This Inner Loop Header: Depth=1
	s_delay_alu instid0(VALU_DEP_1)
	v_add_nc_u64_e32 v[16:17], s[10:11], v[4:5]
	v_add_nc_u64_e32 v[18:19], s[6:7], v[4:5]
	;; [unrolled: 1-line block ×4, first 2 shown]
	global_load_b128 v[8:11], v[16:17], off offset:-8
	global_load_b128 v[12:15], v[18:19], off
	s_wait_xcnt 0x0
	v_lshlrev_b64_e32 v[18:19], 2, v[6:7]
	s_delay_alu instid0(VALU_DEP_1)
	v_cmp_ge_i64_e32 vcc_lo, v[18:19], v[2:3]
	s_or_b32 s21, vcc_lo, s21
	s_wait_loadcnt 0x0
	v_mad_u32 v9, v13, s20, v9
	v_mad_u32 v8, v12, s19, v8
	;; [unrolled: 1-line block ×4, first 2 shown]
	global_store_b128 v[16:17], v[8:11], off offset:-8
	s_wait_xcnt 0x0
	s_and_not1_b32 exec_lo, exec_lo, s21
	s_cbranch_execnz .LBB35_3
.LBB35_4:
	s_or_b32 exec_lo, exec_lo, s18
	s_mov_b32 s14, 0
.LBB35_5:
	s_delay_alu instid0(SALU_CYCLE_1)
	s_and_not1_b32 vcc_lo, exec_lo, s14
	s_cbranch_vccnz .LBB35_25
; %bb.6:
	v_cmp_lt_i64_e64 s6, s[8:9], 1
	s_and_b32 vcc_lo, exec_lo, s6
	s_cbranch_vccnz .LBB35_25
; %bb.7:
	v_min_i64 v[2:3], 0x10000, s[8:9]
	v_min_u64 v[4:5], 0x10000, s[8:9]
	s_load_b32 s0, s[0:1], 0xc5c
	v_mov_b32_e32 v1, 0
	s_wait_xcnt 0x0
	s_mov_b32 s1, 0
	s_wait_kmcnt 0x0
	s_mul_i32 s14, s17, s16
	s_mov_b32 s7, s1
	s_mov_b32 s9, s1
	;; [unrolled: 1-line block ×3, first 2 shown]
	s_mov_b64 s[12:13], 0
	s_and_b32 s0, s0, 0xffff
	s_delay_alu instid0(SALU_CYCLE_1)
	s_lshl_b32 s6, s0, 1
	s_mul_i32 s8, s0, 3
	s_lshl_b32 s10, s0, 2
	s_branch .LBB35_9
.LBB35_8:                               ;   in Loop: Header=BB35_9 Depth=1
	s_wait_xcnt 0x0
	s_or_b32 exec_lo, exec_lo, s15
	s_add_nc_u64 s[12:13], s[12:13], s[10:11]
	s_delay_alu instid0(SALU_CYCLE_1)
	v_cmp_ge_i64_e32 vcc_lo, s[12:13], v[2:3]
	s_cbranch_vccnz .LBB35_25
.LBB35_9:                               ; =>This Inner Loop Header: Depth=1
	v_add_nc_u64_e32 v[6:7], s[12:13], v[0:1]
	s_wait_loadcnt 0x0
	v_dual_mov_b32 v15, 0 :: v_dual_mov_b32 v16, 0
	s_mov_b32 s15, exec_lo
	s_delay_alu instid0(VALU_DEP_2)
	v_cmpx_lt_i64_e64 v[6:7], v[2:3]
	s_cbranch_execz .LBB35_11
; %bb.10:                               ;   in Loop: Header=BB35_9 Depth=1
	v_lshlrev_b64_e32 v[8:9], 2, v[6:7]
	s_delay_alu instid0(VALU_DEP_1)
	v_add_nc_u64_e32 v[10:11], s[4:5], v[8:9]
	v_add_nc_u64_e32 v[8:9], s[2:3], v[8:9]
	global_load_b32 v16, v[10:11], off
	global_load_b32 v15, v[8:9], off
.LBB35_11:                              ;   in Loop: Header=BB35_9 Depth=1
	s_wait_xcnt 0x0
	s_or_b32 exec_lo, exec_lo, s15
	v_add_nc_u64_e32 v[8:9], s[0:1], v[6:7]
	v_dual_mov_b32 v14, 0 :: v_dual_mov_b32 v17, 0
	v_mov_b32_e32 v18, 0
	s_mov_b32 s15, exec_lo
	s_delay_alu instid0(VALU_DEP_3)
	v_cmpx_lt_i64_e64 v[8:9], v[2:3]
	s_cbranch_execz .LBB35_13
; %bb.12:                               ;   in Loop: Header=BB35_9 Depth=1
	v_lshlrev_b64_e32 v[10:11], 2, v[8:9]
	s_delay_alu instid0(VALU_DEP_1)
	v_add_nc_u64_e32 v[12:13], s[4:5], v[10:11]
	v_add_nc_u64_e32 v[10:11], s[2:3], v[10:11]
	global_load_b32 v18, v[12:13], off
	global_load_b32 v17, v[10:11], off
.LBB35_13:                              ;   in Loop: Header=BB35_9 Depth=1
	s_wait_xcnt 0x0
	s_or_b32 exec_lo, exec_lo, s15
	v_add_nc_u64_e32 v[10:11], s[6:7], v[6:7]
	v_mov_b32_e32 v19, 0
	s_mov_b32 s15, exec_lo
	s_delay_alu instid0(VALU_DEP_2)
	v_cmpx_lt_i64_e64 v[10:11], v[2:3]
	s_cbranch_execz .LBB35_15
; %bb.14:                               ;   in Loop: Header=BB35_9 Depth=1
	v_lshlrev_b64_e32 v[12:13], 2, v[10:11]
	s_delay_alu instid0(VALU_DEP_1)
	v_add_nc_u64_e32 v[20:21], s[4:5], v[12:13]
	v_add_nc_u64_e32 v[12:13], s[2:3], v[12:13]
	global_load_b32 v19, v[20:21], off
	global_load_b32 v14, v[12:13], off
.LBB35_15:                              ;   in Loop: Header=BB35_9 Depth=1
	s_wait_xcnt 0x0
	s_or_b32 exec_lo, exec_lo, s15
	v_add_nc_u64_e32 v[12:13], s[8:9], v[6:7]
	v_dual_mov_b32 v20, 0 :: v_dual_mov_b32 v21, 0
	s_mov_b32 s15, exec_lo
	s_delay_alu instid0(VALU_DEP_2)
	v_cmpx_lt_i64_e64 v[12:13], v[2:3]
	s_cbranch_execnz .LBB35_20
; %bb.16:                               ;   in Loop: Header=BB35_9 Depth=1
	s_or_b32 exec_lo, exec_lo, s15
	s_delay_alu instid0(SALU_CYCLE_1)
	s_mov_b32 s15, exec_lo
	v_cmpx_lt_u64_e64 v[6:7], v[4:5]
	s_cbranch_execnz .LBB35_21
.LBB35_17:                              ;   in Loop: Header=BB35_9 Depth=1
	s_or_b32 exec_lo, exec_lo, s15
	s_delay_alu instid0(SALU_CYCLE_1)
	s_mov_b32 s15, exec_lo
	v_cmpx_lt_u64_e64 v[8:9], v[4:5]
	s_cbranch_execnz .LBB35_22
.LBB35_18:                              ;   in Loop: Header=BB35_9 Depth=1
	s_or_b32 exec_lo, exec_lo, s15
	s_delay_alu instid0(SALU_CYCLE_1)
	s_mov_b32 s15, exec_lo
	v_cmpx_lt_u64_e64 v[10:11], v[4:5]
	s_cbranch_execnz .LBB35_23
.LBB35_19:                              ;   in Loop: Header=BB35_9 Depth=1
	s_or_b32 exec_lo, exec_lo, s15
	s_delay_alu instid0(SALU_CYCLE_1)
	s_mov_b32 s15, exec_lo
	v_cmpx_lt_u64_e64 v[12:13], v[4:5]
	s_cbranch_execz .LBB35_8
	s_branch .LBB35_24
.LBB35_20:                              ;   in Loop: Header=BB35_9 Depth=1
	v_lshlrev_b64_e32 v[20:21], 2, v[12:13]
	s_delay_alu instid0(VALU_DEP_1)
	v_add_nc_u64_e32 v[22:23], s[4:5], v[20:21]
	v_add_nc_u64_e32 v[24:25], s[2:3], v[20:21]
	global_load_b32 v21, v[22:23], off
	global_load_b32 v20, v[24:25], off
	s_wait_xcnt 0x0
	s_or_b32 exec_lo, exec_lo, s15
	s_delay_alu instid0(SALU_CYCLE_1)
	s_mov_b32 s15, exec_lo
	v_cmpx_lt_u64_e64 v[6:7], v[4:5]
	s_cbranch_execz .LBB35_17
.LBB35_21:                              ;   in Loop: Header=BB35_9 Depth=1
	s_wait_loadcnt 0x0
	v_mad_u32 v15, v15, s14, v16
	v_lshl_add_u64 v[6:7], v[6:7], 2, s[4:5]
	global_store_b32 v[6:7], v15, off
	s_wait_xcnt 0x0
	s_or_b32 exec_lo, exec_lo, s15
	s_delay_alu instid0(SALU_CYCLE_1)
	s_mov_b32 s15, exec_lo
	v_cmpx_lt_u64_e64 v[8:9], v[4:5]
	s_cbranch_execz .LBB35_18
.LBB35_22:                              ;   in Loop: Header=BB35_9 Depth=1
	s_wait_loadcnt 0x0
	v_mad_u32 v15, v17, s14, v18
	v_lshl_add_u64 v[6:7], v[8:9], 2, s[4:5]
	global_store_b32 v[6:7], v15, off
	s_wait_xcnt 0x0
	s_or_b32 exec_lo, exec_lo, s15
	s_delay_alu instid0(SALU_CYCLE_1)
	s_mov_b32 s15, exec_lo
	v_cmpx_lt_u64_e64 v[10:11], v[4:5]
	s_cbranch_execz .LBB35_19
.LBB35_23:                              ;   in Loop: Header=BB35_9 Depth=1
	s_wait_loadcnt 0x0
	v_mad_u32 v8, v14, s14, v19
	v_lshl_add_u64 v[6:7], v[10:11], 2, s[4:5]
	global_store_b32 v[6:7], v8, off
	s_wait_xcnt 0x0
	s_or_b32 exec_lo, exec_lo, s15
	s_delay_alu instid0(SALU_CYCLE_1)
	s_mov_b32 s15, exec_lo
	v_cmpx_lt_u64_e64 v[12:13], v[4:5]
	s_cbranch_execz .LBB35_8
.LBB35_24:                              ;   in Loop: Header=BB35_9 Depth=1
	s_wait_loadcnt 0x0
	v_mad_u32 v8, v20, s14, v21
	v_lshl_add_u64 v[6:7], v[12:13], 2, s[4:5]
	global_store_b32 v[6:7], v8, off
	s_branch .LBB35_8
.LBB35_25:
	s_endpgm
	.section	.rodata,"a",@progbits
	.p2align	6, 0x0
	.amdhsa_kernel _ZN2at6native12_GLOBAL__N_125multi_tensor_apply_kernelINS1_18TensorListMetadataILi3EEENS1_32PointwiseOpScalar0dTensorFunctorIiLi3ELi2ELi0EEEJSt10multipliesIiEiEEEvT_T0_DpT1_
		.amdhsa_group_segment_fixed_size 0
		.amdhsa_private_segment_fixed_size 0
		.amdhsa_kernarg_size 3408
		.amdhsa_user_sgpr_count 2
		.amdhsa_user_sgpr_dispatch_ptr 0
		.amdhsa_user_sgpr_queue_ptr 0
		.amdhsa_user_sgpr_kernarg_segment_ptr 1
		.amdhsa_user_sgpr_dispatch_id 0
		.amdhsa_user_sgpr_kernarg_preload_length 0
		.amdhsa_user_sgpr_kernarg_preload_offset 0
		.amdhsa_user_sgpr_private_segment_size 0
		.amdhsa_wavefront_size32 1
		.amdhsa_uses_dynamic_stack 0
		.amdhsa_enable_private_segment 0
		.amdhsa_system_sgpr_workgroup_id_x 1
		.amdhsa_system_sgpr_workgroup_id_y 0
		.amdhsa_system_sgpr_workgroup_id_z 0
		.amdhsa_system_sgpr_workgroup_info 0
		.amdhsa_system_vgpr_workitem_id 0
		.amdhsa_next_free_vgpr 26
		.amdhsa_next_free_sgpr 25
		.amdhsa_named_barrier_count 0
		.amdhsa_reserve_vcc 1
		.amdhsa_float_round_mode_32 0
		.amdhsa_float_round_mode_16_64 0
		.amdhsa_float_denorm_mode_32 3
		.amdhsa_float_denorm_mode_16_64 3
		.amdhsa_fp16_overflow 0
		.amdhsa_memory_ordered 1
		.amdhsa_forward_progress 1
		.amdhsa_inst_pref_size 10
		.amdhsa_round_robin_scheduling 0
		.amdhsa_exception_fp_ieee_invalid_op 0
		.amdhsa_exception_fp_denorm_src 0
		.amdhsa_exception_fp_ieee_div_zero 0
		.amdhsa_exception_fp_ieee_overflow 0
		.amdhsa_exception_fp_ieee_underflow 0
		.amdhsa_exception_fp_ieee_inexact 0
		.amdhsa_exception_int_div_zero 0
	.end_amdhsa_kernel
	.section	.text._ZN2at6native12_GLOBAL__N_125multi_tensor_apply_kernelINS1_18TensorListMetadataILi3EEENS1_32PointwiseOpScalar0dTensorFunctorIiLi3ELi2ELi0EEEJSt10multipliesIiEiEEEvT_T0_DpT1_,"axG",@progbits,_ZN2at6native12_GLOBAL__N_125multi_tensor_apply_kernelINS1_18TensorListMetadataILi3EEENS1_32PointwiseOpScalar0dTensorFunctorIiLi3ELi2ELi0EEEJSt10multipliesIiEiEEEvT_T0_DpT1_,comdat
.Lfunc_end35:
	.size	_ZN2at6native12_GLOBAL__N_125multi_tensor_apply_kernelINS1_18TensorListMetadataILi3EEENS1_32PointwiseOpScalar0dTensorFunctorIiLi3ELi2ELi0EEEJSt10multipliesIiEiEEEvT_T0_DpT1_, .Lfunc_end35-_ZN2at6native12_GLOBAL__N_125multi_tensor_apply_kernelINS1_18TensorListMetadataILi3EEENS1_32PointwiseOpScalar0dTensorFunctorIiLi3ELi2ELi0EEEJSt10multipliesIiEiEEEvT_T0_DpT1_
                                        ; -- End function
	.set _ZN2at6native12_GLOBAL__N_125multi_tensor_apply_kernelINS1_18TensorListMetadataILi3EEENS1_32PointwiseOpScalar0dTensorFunctorIiLi3ELi2ELi0EEEJSt10multipliesIiEiEEEvT_T0_DpT1_.num_vgpr, 26
	.set _ZN2at6native12_GLOBAL__N_125multi_tensor_apply_kernelINS1_18TensorListMetadataILi3EEENS1_32PointwiseOpScalar0dTensorFunctorIiLi3ELi2ELi0EEEJSt10multipliesIiEiEEEvT_T0_DpT1_.num_agpr, 0
	.set _ZN2at6native12_GLOBAL__N_125multi_tensor_apply_kernelINS1_18TensorListMetadataILi3EEENS1_32PointwiseOpScalar0dTensorFunctorIiLi3ELi2ELi0EEEJSt10multipliesIiEiEEEvT_T0_DpT1_.numbered_sgpr, 25
	.set _ZN2at6native12_GLOBAL__N_125multi_tensor_apply_kernelINS1_18TensorListMetadataILi3EEENS1_32PointwiseOpScalar0dTensorFunctorIiLi3ELi2ELi0EEEJSt10multipliesIiEiEEEvT_T0_DpT1_.num_named_barrier, 0
	.set _ZN2at6native12_GLOBAL__N_125multi_tensor_apply_kernelINS1_18TensorListMetadataILi3EEENS1_32PointwiseOpScalar0dTensorFunctorIiLi3ELi2ELi0EEEJSt10multipliesIiEiEEEvT_T0_DpT1_.private_seg_size, 0
	.set _ZN2at6native12_GLOBAL__N_125multi_tensor_apply_kernelINS1_18TensorListMetadataILi3EEENS1_32PointwiseOpScalar0dTensorFunctorIiLi3ELi2ELi0EEEJSt10multipliesIiEiEEEvT_T0_DpT1_.uses_vcc, 1
	.set _ZN2at6native12_GLOBAL__N_125multi_tensor_apply_kernelINS1_18TensorListMetadataILi3EEENS1_32PointwiseOpScalar0dTensorFunctorIiLi3ELi2ELi0EEEJSt10multipliesIiEiEEEvT_T0_DpT1_.uses_flat_scratch, 0
	.set _ZN2at6native12_GLOBAL__N_125multi_tensor_apply_kernelINS1_18TensorListMetadataILi3EEENS1_32PointwiseOpScalar0dTensorFunctorIiLi3ELi2ELi0EEEJSt10multipliesIiEiEEEvT_T0_DpT1_.has_dyn_sized_stack, 0
	.set _ZN2at6native12_GLOBAL__N_125multi_tensor_apply_kernelINS1_18TensorListMetadataILi3EEENS1_32PointwiseOpScalar0dTensorFunctorIiLi3ELi2ELi0EEEJSt10multipliesIiEiEEEvT_T0_DpT1_.has_recursion, 0
	.set _ZN2at6native12_GLOBAL__N_125multi_tensor_apply_kernelINS1_18TensorListMetadataILi3EEENS1_32PointwiseOpScalar0dTensorFunctorIiLi3ELi2ELi0EEEJSt10multipliesIiEiEEEvT_T0_DpT1_.has_indirect_call, 0
	.section	.AMDGPU.csdata,"",@progbits
; Kernel info:
; codeLenInByte = 1280
; TotalNumSgprs: 27
; NumVgprs: 26
; ScratchSize: 0
; MemoryBound: 0
; FloatMode: 240
; IeeeMode: 1
; LDSByteSize: 0 bytes/workgroup (compile time only)
; SGPRBlocks: 0
; VGPRBlocks: 1
; NumSGPRsForWavesPerEU: 27
; NumVGPRsForWavesPerEU: 26
; NamedBarCnt: 0
; Occupancy: 16
; WaveLimiterHint : 0
; COMPUTE_PGM_RSRC2:SCRATCH_EN: 0
; COMPUTE_PGM_RSRC2:USER_SGPR: 2
; COMPUTE_PGM_RSRC2:TRAP_HANDLER: 0
; COMPUTE_PGM_RSRC2:TGID_X_EN: 1
; COMPUTE_PGM_RSRC2:TGID_Y_EN: 0
; COMPUTE_PGM_RSRC2:TGID_Z_EN: 0
; COMPUTE_PGM_RSRC2:TIDIG_COMP_CNT: 0
	.section	.text._ZN2at6native12_GLOBAL__N_125multi_tensor_apply_kernelINS1_18TensorListMetadataILi3EEENS1_32PointwiseOpScalar0dTensorFunctorIlLi3ELi2ELi0EEEJSt10multipliesIlElEEEvT_T0_DpT1_,"axG",@progbits,_ZN2at6native12_GLOBAL__N_125multi_tensor_apply_kernelINS1_18TensorListMetadataILi3EEENS1_32PointwiseOpScalar0dTensorFunctorIlLi3ELi2ELi0EEEJSt10multipliesIlElEEEvT_T0_DpT1_,comdat
	.globl	_ZN2at6native12_GLOBAL__N_125multi_tensor_apply_kernelINS1_18TensorListMetadataILi3EEENS1_32PointwiseOpScalar0dTensorFunctorIlLi3ELi2ELi0EEEJSt10multipliesIlElEEEvT_T0_DpT1_ ; -- Begin function _ZN2at6native12_GLOBAL__N_125multi_tensor_apply_kernelINS1_18TensorListMetadataILi3EEENS1_32PointwiseOpScalar0dTensorFunctorIlLi3ELi2ELi0EEEJSt10multipliesIlElEEEvT_T0_DpT1_
	.p2align	8
	.type	_ZN2at6native12_GLOBAL__N_125multi_tensor_apply_kernelINS1_18TensorListMetadataILi3EEENS1_32PointwiseOpScalar0dTensorFunctorIlLi3ELi2ELi0EEEJSt10multipliesIlElEEEvT_T0_DpT1_,@function
_ZN2at6native12_GLOBAL__N_125multi_tensor_apply_kernelINS1_18TensorListMetadataILi3EEENS1_32PointwiseOpScalar0dTensorFunctorIlLi3ELi2ELi0EEEJSt10multipliesIlElEEEvT_T0_DpT1_: ; @_ZN2at6native12_GLOBAL__N_125multi_tensor_apply_kernelINS1_18TensorListMetadataILi3EEENS1_32PointwiseOpScalar0dTensorFunctorIlLi3ELi2ELi0EEEJSt10multipliesIlElEEEvT_T0_DpT1_
; %bb.0:
	s_bfe_u32 s2, ttmp6, 0x4000c
	s_and_b32 s3, ttmp6, 15
	s_add_co_i32 s2, s2, 1
	s_getreg_b32 s4, hwreg(HW_REG_IB_STS2, 6, 4)
	s_mul_i32 s2, ttmp9, s2
	s_mov_b32 s15, 0
	s_add_co_i32 s3, s3, s2
	s_cmp_eq_u32 s4, 0
	s_cselect_b32 s14, ttmp9, s3
	s_delay_alu instid0(SALU_CYCLE_1) | instskip(SKIP_1) | instid1(SALU_CYCLE_1)
	s_add_nc_u64 s[2:3], s[0:1], s[14:15]
	s_mul_u64 s[4:5], s[14:15], 3
	s_add_nc_u64 s[2:3], s[2:3], s[4:5]
	s_clause 0x1
	s_load_b32 s16, s[2:3], 0x740
	s_load_u8 s4, s[0:1], s14 offset:0x600
	s_wait_kmcnt 0x0
	s_clause 0x3
	s_load_b64 s[8:9], s[0:1], s4 offset:0x180 scale_offset
	s_load_b64 s[10:11], s[0:1], s4 offset:0x300 scale_offset
	;; [unrolled: 1-line block ×4, first 2 shown]
	s_ashr_i32 s17, s16, 31
	s_delay_alu instid0(SALU_CYCLE_1)
	s_lshl_b64 s[20:21], s[16:17], 19
	s_wait_kmcnt 0x0
	s_add_nc_u64 s[4:5], s[8:9], s[20:21]
	s_add_nc_u64 s[2:3], s[10:11], s[20:21]
	s_load_b64 s[8:9], s[8:9], 0x0
	s_or_b32 s6, s2, s4
	s_add_nc_u64 s[4:5], s[12:13], s[20:21]
	s_and_b32 s6, s6, 31
	s_and_b64 s[22:23], s[4:5], 31
	s_cmp_lg_u32 s6, 0
	s_load_b64 s[6:7], s[0:1], 0xc50
	s_cselect_b32 s24, -1, 0
	s_and_b32 s14, s18, 3
	s_lshl_b64 s[16:17], s[16:17], 16
	s_or_b64 s[14:15], s[22:23], s[14:15]
	s_delay_alu instid0(SALU_CYCLE_1) | instskip(SKIP_1) | instid1(SALU_CYCLE_1)
	s_cmp_lg_u64 s[14:15], 0
	s_cselect_b32 s14, -1, 0
	s_or_b32 s22, s24, s14
	s_sub_nc_u64 s[14:15], s[18:19], s[16:17]
	s_and_not1_b32 vcc_lo, exec_lo, s22
	s_mov_b32 s16, -1
	s_cbranch_vccz .LBB36_5
; %bb.1:
	v_min_i64 v[2:3], 0x10000, s[14:15]
	v_dual_mov_b32 v5, 0 :: v_dual_lshlrev_b32 v4, 2, v0
	s_mov_b32 s22, exec_lo
	s_delay_alu instid0(VALU_DEP_1)
	v_cmpx_lt_i64_e64 v[4:5], v[2:3]
	s_cbranch_execz .LBB36_4
; %bb.2:
	s_load_b32 s18, s[0:1], 0xc64
	v_dual_mov_b32 v1, v5 :: v_dual_lshlrev_b32 v4, 5, v0
	s_mov_b32 s19, 0
	s_wait_kmcnt 0x0
	s_mul_u64 s[16:17], s[8:9], s[6:7]
	s_mov_b32 s23, s19
	v_add_nc_u64_e32 v[4:5], s[20:21], v[4:5]
	v_mov_b64_e32 v[6:7], v[0:1]
	s_mov_b32 s21, s19
	s_and_b32 s18, s18, 0xffff
	s_delay_alu instid0(SALU_CYCLE_1)
	s_lshl_b32 s20, s18, 5
.LBB36_3:                               ; =>This Inner Loop Header: Depth=1
	s_delay_alu instid0(VALU_DEP_2) | instskip(SKIP_1) | instid1(VALU_DEP_3)
	v_add_nc_u64_e32 v[24:25], s[10:11], v[4:5]
	v_add_nc_u64_e32 v[26:27], s[12:13], v[4:5]
	;; [unrolled: 1-line block ×4, first 2 shown]
	global_load_b128 v[8:11], v[24:25], off
	s_clause 0x1
	global_load_b128 v[12:15], v[26:27], off
	global_load_b128 v[16:19], v[26:27], off offset:16
	global_load_b128 v[20:23], v[24:25], off offset:16
	s_wait_xcnt 0x0
	v_lshlrev_b64_e32 v[24:25], 2, v[6:7]
	s_delay_alu instid0(VALU_DEP_1)
	v_cmp_ge_i64_e32 vcc_lo, v[24:25], v[2:3]
	s_or_b32 s23, vcc_lo, s23
	s_wait_loadcnt 0x2
	v_mad_nc_u64_u32 v[12:13], v8, s16, v[12:13]
	v_mad_nc_u64_u32 v[14:15], v10, s16, v[14:15]
	s_wait_loadcnt 0x0
	v_mad_nc_u64_u32 v[16:17], v20, s16, v[16:17]
	v_mad_nc_u64_u32 v[18:19], v22, s16, v[18:19]
	s_delay_alu instid0(VALU_DEP_4) | instskip(NEXT) | instid1(VALU_DEP_4)
	v_mad_u32 v1, v9, s16, v13
	v_mad_u32 v9, v11, s16, v15
	s_delay_alu instid0(VALU_DEP_4) | instskip(NEXT) | instid1(VALU_DEP_4)
	v_mad_u32 v11, v21, s16, v17
	v_mad_u32 v19, v23, s16, v19
	;; [unrolled: 3-line block ×4, first 2 shown]
	s_clause 0x1
	global_store_b128 v[26:27], v[12:15], off
	global_store_b128 v[26:27], v[16:19], off offset:16
	s_wait_xcnt 0x0
	s_and_not1_b32 exec_lo, exec_lo, s23
	s_cbranch_execnz .LBB36_3
.LBB36_4:
	s_or_b32 exec_lo, exec_lo, s22
	s_mov_b32 s16, 0
.LBB36_5:
	s_delay_alu instid0(SALU_CYCLE_1)
	s_and_not1_b32 vcc_lo, exec_lo, s16
	s_cbranch_vccnz .LBB36_25
; %bb.6:
	v_cmp_lt_i64_e64 s10, s[14:15], 1
	s_and_b32 vcc_lo, exec_lo, s10
	s_cbranch_vccnz .LBB36_25
; %bb.7:
	v_min_i64 v[2:3], 0x10000, s[14:15]
	v_min_u64 v[4:5], 0x10000, s[14:15]
	s_wait_xcnt 0x0
	s_load_b32 s0, s[0:1], 0xc64
	v_mov_b32_e32 v1, 0
	s_wait_xcnt 0x0
	s_mov_b32 s1, 0
	s_wait_kmcnt 0x0
	s_mul_u64 s[6:7], s[8:9], s[6:7]
	s_mov_b32 s9, s1
	s_mov_b32 s11, s1
	;; [unrolled: 1-line block ×3, first 2 shown]
	s_mov_b64 s[14:15], 0
	s_and_b32 s0, s0, 0xffff
	s_delay_alu instid0(SALU_CYCLE_1)
	s_lshl_b32 s8, s0, 1
	s_mul_i32 s10, s0, 3
	s_lshl_b32 s12, s0, 2
	s_branch .LBB36_9
.LBB36_8:                               ;   in Loop: Header=BB36_9 Depth=1
	s_wait_xcnt 0x0
	s_or_b32 exec_lo, exec_lo, s16
	s_add_nc_u64 s[14:15], s[14:15], s[12:13]
	s_delay_alu instid0(SALU_CYCLE_1)
	v_cmp_ge_i64_e32 vcc_lo, s[14:15], v[2:3]
	s_cbranch_vccnz .LBB36_25
.LBB36_9:                               ; =>This Inner Loop Header: Depth=1
	v_add_nc_u64_e32 v[8:9], s[14:15], v[0:1]
	s_wait_loadcnt 0x0
	v_mov_b64_e32 v[6:7], 0
	v_mov_b64_e32 v[14:15], 0
	;; [unrolled: 1-line block ×3, first 2 shown]
	s_mov_b32 s16, exec_lo
	s_delay_alu instid0(VALU_DEP_4)
	v_cmpx_lt_i64_e64 v[8:9], v[2:3]
	s_cbranch_execz .LBB36_11
; %bb.10:                               ;   in Loop: Header=BB36_9 Depth=1
	v_lshlrev_b64_e32 v[10:11], 3, v[8:9]
	s_delay_alu instid0(VALU_DEP_1)
	v_add_nc_u64_e32 v[12:13], s[4:5], v[10:11]
	v_add_nc_u64_e32 v[10:11], s[2:3], v[10:11]
	global_load_b64 v[16:17], v[12:13], off
	global_load_b64 v[14:15], v[10:11], off
.LBB36_11:                              ;   in Loop: Header=BB36_9 Depth=1
	s_wait_xcnt 0x0
	s_or_b32 exec_lo, exec_lo, s16
	v_add_nc_u64_e32 v[10:11], s[0:1], v[8:9]
	v_mov_b64_e32 v[20:21], 0
	s_mov_b32 s16, exec_lo
	s_delay_alu instid0(VALU_DEP_2)
	v_cmpx_lt_i64_e64 v[10:11], v[2:3]
	s_cbranch_execz .LBB36_13
; %bb.12:                               ;   in Loop: Header=BB36_9 Depth=1
	v_lshlrev_b64_e32 v[6:7], 3, v[10:11]
	s_delay_alu instid0(VALU_DEP_1)
	v_add_nc_u64_e32 v[12:13], s[4:5], v[6:7]
	v_add_nc_u64_e32 v[18:19], s[2:3], v[6:7]
	global_load_b64 v[20:21], v[12:13], off
	global_load_b64 v[6:7], v[18:19], off
.LBB36_13:                              ;   in Loop: Header=BB36_9 Depth=1
	s_wait_xcnt 0x0
	s_or_b32 exec_lo, exec_lo, s16
	v_add_nc_u64_e32 v[18:19], s[8:9], v[8:9]
	v_mov_b64_e32 v[12:13], 0
	v_mov_b64_e32 v[24:25], 0
	;; [unrolled: 1-line block ×3, first 2 shown]
	s_mov_b32 s16, exec_lo
	s_delay_alu instid0(VALU_DEP_4)
	v_cmpx_lt_i64_e64 v[18:19], v[2:3]
	s_cbranch_execz .LBB36_15
; %bb.14:                               ;   in Loop: Header=BB36_9 Depth=1
	v_lshlrev_b64_e32 v[22:23], 3, v[18:19]
	s_delay_alu instid0(VALU_DEP_1)
	v_add_nc_u64_e32 v[28:29], s[4:5], v[22:23]
	v_add_nc_u64_e32 v[22:23], s[2:3], v[22:23]
	global_load_b64 v[26:27], v[28:29], off
	global_load_b64 v[24:25], v[22:23], off
.LBB36_15:                              ;   in Loop: Header=BB36_9 Depth=1
	s_wait_xcnt 0x0
	s_or_b32 exec_lo, exec_lo, s16
	v_add_nc_u64_e32 v[22:23], s[10:11], v[8:9]
	v_mov_b64_e32 v[28:29], 0
	s_mov_b32 s16, exec_lo
	s_delay_alu instid0(VALU_DEP_2)
	v_cmpx_lt_i64_e64 v[22:23], v[2:3]
	s_cbranch_execnz .LBB36_20
; %bb.16:                               ;   in Loop: Header=BB36_9 Depth=1
	s_or_b32 exec_lo, exec_lo, s16
	s_delay_alu instid0(SALU_CYCLE_1)
	s_mov_b32 s16, exec_lo
	v_cmpx_lt_u64_e64 v[8:9], v[4:5]
	s_cbranch_execnz .LBB36_21
.LBB36_17:                              ;   in Loop: Header=BB36_9 Depth=1
	s_or_b32 exec_lo, exec_lo, s16
	s_delay_alu instid0(SALU_CYCLE_1)
	s_mov_b32 s16, exec_lo
	v_cmpx_lt_u64_e64 v[10:11], v[4:5]
	s_cbranch_execnz .LBB36_22
.LBB36_18:                              ;   in Loop: Header=BB36_9 Depth=1
	s_or_b32 exec_lo, exec_lo, s16
	s_delay_alu instid0(SALU_CYCLE_1)
	s_mov_b32 s16, exec_lo
	v_cmpx_lt_u64_e64 v[18:19], v[4:5]
	s_cbranch_execnz .LBB36_23
.LBB36_19:                              ;   in Loop: Header=BB36_9 Depth=1
	s_or_b32 exec_lo, exec_lo, s16
	s_delay_alu instid0(SALU_CYCLE_1)
	s_mov_b32 s16, exec_lo
	v_cmpx_lt_u64_e64 v[22:23], v[4:5]
	s_cbranch_execz .LBB36_8
	s_branch .LBB36_24
.LBB36_20:                              ;   in Loop: Header=BB36_9 Depth=1
	v_lshlrev_b64_e32 v[12:13], 3, v[22:23]
	s_delay_alu instid0(VALU_DEP_1)
	v_add_nc_u64_e32 v[30:31], s[4:5], v[12:13]
	v_add_nc_u64_e32 v[32:33], s[2:3], v[12:13]
	global_load_b64 v[28:29], v[30:31], off
	global_load_b64 v[12:13], v[32:33], off
	s_wait_xcnt 0x0
	s_or_b32 exec_lo, exec_lo, s16
	s_delay_alu instid0(SALU_CYCLE_1)
	s_mov_b32 s16, exec_lo
	v_cmpx_lt_u64_e64 v[8:9], v[4:5]
	s_cbranch_execz .LBB36_17
.LBB36_21:                              ;   in Loop: Header=BB36_9 Depth=1
	s_wait_loadcnt 0x0
	v_mad_nc_u64_u32 v[16:17], v14, s6, v[16:17]
	v_lshl_add_u64 v[8:9], v[8:9], 3, s[4:5]
	s_delay_alu instid0(VALU_DEP_2) | instskip(NEXT) | instid1(VALU_DEP_1)
	v_mad_u32 v15, v15, s6, v17
	v_mad_u32 v17, v14, s7, v15
	global_store_b64 v[8:9], v[16:17], off
	s_wait_xcnt 0x0
	s_or_b32 exec_lo, exec_lo, s16
	s_delay_alu instid0(SALU_CYCLE_1)
	s_mov_b32 s16, exec_lo
	v_cmpx_lt_u64_e64 v[10:11], v[4:5]
	s_cbranch_execz .LBB36_18
.LBB36_22:                              ;   in Loop: Header=BB36_9 Depth=1
	s_wait_loadcnt 0x0
	v_mad_nc_u64_u32 v[8:9], v6, s6, v[20:21]
	s_delay_alu instid0(VALU_DEP_1) | instskip(NEXT) | instid1(VALU_DEP_1)
	v_mad_u32 v7, v7, s6, v9
	v_mad_u32 v9, v6, s7, v7
	v_lshl_add_u64 v[6:7], v[10:11], 3, s[4:5]
	global_store_b64 v[6:7], v[8:9], off
	s_wait_xcnt 0x0
	s_or_b32 exec_lo, exec_lo, s16
	s_delay_alu instid0(SALU_CYCLE_1)
	s_mov_b32 s16, exec_lo
	v_cmpx_lt_u64_e64 v[18:19], v[4:5]
	s_cbranch_execz .LBB36_19
.LBB36_23:                              ;   in Loop: Header=BB36_9 Depth=1
	s_wait_loadcnt 0x0
	v_mad_nc_u64_u32 v[6:7], v24, s6, v[26:27]
	v_lshl_add_u64 v[8:9], v[18:19], 3, s[4:5]
	s_delay_alu instid0(VALU_DEP_2) | instskip(NEXT) | instid1(VALU_DEP_1)
	v_mad_u32 v7, v25, s6, v7
	v_mad_u32 v7, v24, s7, v7
	global_store_b64 v[8:9], v[6:7], off
	s_wait_xcnt 0x0
	s_or_b32 exec_lo, exec_lo, s16
	s_delay_alu instid0(SALU_CYCLE_1)
	s_mov_b32 s16, exec_lo
	v_cmpx_lt_u64_e64 v[22:23], v[4:5]
	s_cbranch_execz .LBB36_8
.LBB36_24:                              ;   in Loop: Header=BB36_9 Depth=1
	s_wait_loadcnt 0x0
	v_mad_nc_u64_u32 v[6:7], v12, s6, v[28:29]
	v_lshl_add_u64 v[8:9], v[22:23], 3, s[4:5]
	s_delay_alu instid0(VALU_DEP_2) | instskip(NEXT) | instid1(VALU_DEP_1)
	v_mad_u32 v7, v13, s6, v7
	v_mad_u32 v7, v12, s7, v7
	global_store_b64 v[8:9], v[6:7], off
	s_branch .LBB36_8
.LBB36_25:
	s_endpgm
	.section	.rodata,"a",@progbits
	.p2align	6, 0x0
	.amdhsa_kernel _ZN2at6native12_GLOBAL__N_125multi_tensor_apply_kernelINS1_18TensorListMetadataILi3EEENS1_32PointwiseOpScalar0dTensorFunctorIlLi3ELi2ELi0EEEJSt10multipliesIlElEEEvT_T0_DpT1_
		.amdhsa_group_segment_fixed_size 0
		.amdhsa_private_segment_fixed_size 0
		.amdhsa_kernarg_size 3416
		.amdhsa_user_sgpr_count 2
		.amdhsa_user_sgpr_dispatch_ptr 0
		.amdhsa_user_sgpr_queue_ptr 0
		.amdhsa_user_sgpr_kernarg_segment_ptr 1
		.amdhsa_user_sgpr_dispatch_id 0
		.amdhsa_user_sgpr_kernarg_preload_length 0
		.amdhsa_user_sgpr_kernarg_preload_offset 0
		.amdhsa_user_sgpr_private_segment_size 0
		.amdhsa_wavefront_size32 1
		.amdhsa_uses_dynamic_stack 0
		.amdhsa_enable_private_segment 0
		.amdhsa_system_sgpr_workgroup_id_x 1
		.amdhsa_system_sgpr_workgroup_id_y 0
		.amdhsa_system_sgpr_workgroup_id_z 0
		.amdhsa_system_sgpr_workgroup_info 0
		.amdhsa_system_vgpr_workitem_id 0
		.amdhsa_next_free_vgpr 34
		.amdhsa_next_free_sgpr 25
		.amdhsa_named_barrier_count 0
		.amdhsa_reserve_vcc 1
		.amdhsa_float_round_mode_32 0
		.amdhsa_float_round_mode_16_64 0
		.amdhsa_float_denorm_mode_32 3
		.amdhsa_float_denorm_mode_16_64 3
		.amdhsa_fp16_overflow 0
		.amdhsa_memory_ordered 1
		.amdhsa_forward_progress 1
		.amdhsa_inst_pref_size 12
		.amdhsa_round_robin_scheduling 0
		.amdhsa_exception_fp_ieee_invalid_op 0
		.amdhsa_exception_fp_denorm_src 0
		.amdhsa_exception_fp_ieee_div_zero 0
		.amdhsa_exception_fp_ieee_overflow 0
		.amdhsa_exception_fp_ieee_underflow 0
		.amdhsa_exception_fp_ieee_inexact 0
		.amdhsa_exception_int_div_zero 0
	.end_amdhsa_kernel
	.section	.text._ZN2at6native12_GLOBAL__N_125multi_tensor_apply_kernelINS1_18TensorListMetadataILi3EEENS1_32PointwiseOpScalar0dTensorFunctorIlLi3ELi2ELi0EEEJSt10multipliesIlElEEEvT_T0_DpT1_,"axG",@progbits,_ZN2at6native12_GLOBAL__N_125multi_tensor_apply_kernelINS1_18TensorListMetadataILi3EEENS1_32PointwiseOpScalar0dTensorFunctorIlLi3ELi2ELi0EEEJSt10multipliesIlElEEEvT_T0_DpT1_,comdat
.Lfunc_end36:
	.size	_ZN2at6native12_GLOBAL__N_125multi_tensor_apply_kernelINS1_18TensorListMetadataILi3EEENS1_32PointwiseOpScalar0dTensorFunctorIlLi3ELi2ELi0EEEJSt10multipliesIlElEEEvT_T0_DpT1_, .Lfunc_end36-_ZN2at6native12_GLOBAL__N_125multi_tensor_apply_kernelINS1_18TensorListMetadataILi3EEENS1_32PointwiseOpScalar0dTensorFunctorIlLi3ELi2ELi0EEEJSt10multipliesIlElEEEvT_T0_DpT1_
                                        ; -- End function
	.set _ZN2at6native12_GLOBAL__N_125multi_tensor_apply_kernelINS1_18TensorListMetadataILi3EEENS1_32PointwiseOpScalar0dTensorFunctorIlLi3ELi2ELi0EEEJSt10multipliesIlElEEEvT_T0_DpT1_.num_vgpr, 34
	.set _ZN2at6native12_GLOBAL__N_125multi_tensor_apply_kernelINS1_18TensorListMetadataILi3EEENS1_32PointwiseOpScalar0dTensorFunctorIlLi3ELi2ELi0EEEJSt10multipliesIlElEEEvT_T0_DpT1_.num_agpr, 0
	.set _ZN2at6native12_GLOBAL__N_125multi_tensor_apply_kernelINS1_18TensorListMetadataILi3EEENS1_32PointwiseOpScalar0dTensorFunctorIlLi3ELi2ELi0EEEJSt10multipliesIlElEEEvT_T0_DpT1_.numbered_sgpr, 25
	.set _ZN2at6native12_GLOBAL__N_125multi_tensor_apply_kernelINS1_18TensorListMetadataILi3EEENS1_32PointwiseOpScalar0dTensorFunctorIlLi3ELi2ELi0EEEJSt10multipliesIlElEEEvT_T0_DpT1_.num_named_barrier, 0
	.set _ZN2at6native12_GLOBAL__N_125multi_tensor_apply_kernelINS1_18TensorListMetadataILi3EEENS1_32PointwiseOpScalar0dTensorFunctorIlLi3ELi2ELi0EEEJSt10multipliesIlElEEEvT_T0_DpT1_.private_seg_size, 0
	.set _ZN2at6native12_GLOBAL__N_125multi_tensor_apply_kernelINS1_18TensorListMetadataILi3EEENS1_32PointwiseOpScalar0dTensorFunctorIlLi3ELi2ELi0EEEJSt10multipliesIlElEEEvT_T0_DpT1_.uses_vcc, 1
	.set _ZN2at6native12_GLOBAL__N_125multi_tensor_apply_kernelINS1_18TensorListMetadataILi3EEENS1_32PointwiseOpScalar0dTensorFunctorIlLi3ELi2ELi0EEEJSt10multipliesIlElEEEvT_T0_DpT1_.uses_flat_scratch, 0
	.set _ZN2at6native12_GLOBAL__N_125multi_tensor_apply_kernelINS1_18TensorListMetadataILi3EEENS1_32PointwiseOpScalar0dTensorFunctorIlLi3ELi2ELi0EEEJSt10multipliesIlElEEEvT_T0_DpT1_.has_dyn_sized_stack, 0
	.set _ZN2at6native12_GLOBAL__N_125multi_tensor_apply_kernelINS1_18TensorListMetadataILi3EEENS1_32PointwiseOpScalar0dTensorFunctorIlLi3ELi2ELi0EEEJSt10multipliesIlElEEEvT_T0_DpT1_.has_recursion, 0
	.set _ZN2at6native12_GLOBAL__N_125multi_tensor_apply_kernelINS1_18TensorListMetadataILi3EEENS1_32PointwiseOpScalar0dTensorFunctorIlLi3ELi2ELi0EEEJSt10multipliesIlElEEEvT_T0_DpT1_.has_indirect_call, 0
	.section	.AMDGPU.csdata,"",@progbits
; Kernel info:
; codeLenInByte = 1480
; TotalNumSgprs: 27
; NumVgprs: 34
; ScratchSize: 0
; MemoryBound: 0
; FloatMode: 240
; IeeeMode: 1
; LDSByteSize: 0 bytes/workgroup (compile time only)
; SGPRBlocks: 0
; VGPRBlocks: 2
; NumSGPRsForWavesPerEU: 27
; NumVGPRsForWavesPerEU: 34
; NamedBarCnt: 0
; Occupancy: 16
; WaveLimiterHint : 0
; COMPUTE_PGM_RSRC2:SCRATCH_EN: 0
; COMPUTE_PGM_RSRC2:USER_SGPR: 2
; COMPUTE_PGM_RSRC2:TRAP_HANDLER: 0
; COMPUTE_PGM_RSRC2:TGID_X_EN: 1
; COMPUTE_PGM_RSRC2:TGID_Y_EN: 0
; COMPUTE_PGM_RSRC2:TGID_Z_EN: 0
; COMPUTE_PGM_RSRC2:TIDIG_COMP_CNT: 0
	.section	.text._ZN2at6native12_GLOBAL__N_125multi_tensor_apply_kernelINS1_18TensorListMetadataILi3EEENS1_32PointwiseOpScalar0dTensorFunctorIsLi3ELi2ELi0EEEJSt10multipliesIsEsEEEvT_T0_DpT1_,"axG",@progbits,_ZN2at6native12_GLOBAL__N_125multi_tensor_apply_kernelINS1_18TensorListMetadataILi3EEENS1_32PointwiseOpScalar0dTensorFunctorIsLi3ELi2ELi0EEEJSt10multipliesIsEsEEEvT_T0_DpT1_,comdat
	.globl	_ZN2at6native12_GLOBAL__N_125multi_tensor_apply_kernelINS1_18TensorListMetadataILi3EEENS1_32PointwiseOpScalar0dTensorFunctorIsLi3ELi2ELi0EEEJSt10multipliesIsEsEEEvT_T0_DpT1_ ; -- Begin function _ZN2at6native12_GLOBAL__N_125multi_tensor_apply_kernelINS1_18TensorListMetadataILi3EEENS1_32PointwiseOpScalar0dTensorFunctorIsLi3ELi2ELi0EEEJSt10multipliesIsEsEEEvT_T0_DpT1_
	.p2align	8
	.type	_ZN2at6native12_GLOBAL__N_125multi_tensor_apply_kernelINS1_18TensorListMetadataILi3EEENS1_32PointwiseOpScalar0dTensorFunctorIsLi3ELi2ELi0EEEJSt10multipliesIsEsEEEvT_T0_DpT1_,@function
_ZN2at6native12_GLOBAL__N_125multi_tensor_apply_kernelINS1_18TensorListMetadataILi3EEENS1_32PointwiseOpScalar0dTensorFunctorIsLi3ELi2ELi0EEEJSt10multipliesIsEsEEEvT_T0_DpT1_: ; @_ZN2at6native12_GLOBAL__N_125multi_tensor_apply_kernelINS1_18TensorListMetadataILi3EEENS1_32PointwiseOpScalar0dTensorFunctorIsLi3ELi2ELi0EEEJSt10multipliesIsEsEEEvT_T0_DpT1_
; %bb.0:
	s_load_b32 s2, s[0:1], 0xc48
	s_bfe_u32 s3, ttmp6, 0x4000c
	s_and_b32 s4, ttmp6, 15
	s_add_co_i32 s3, s3, 1
	s_getreg_b32 s5, hwreg(HW_REG_IB_STS2, 6, 4)
	s_mul_i32 s3, ttmp9, s3
	s_mov_b32 s9, 0
	s_add_co_i32 s4, s4, s3
	v_mov_b32_e32 v5, 0
	s_wait_kmcnt 0x0
	s_lshr_b32 s16, s2, 16
	s_cmp_eq_u32 s5, 0
	s_cselect_b32 s8, ttmp9, s4
	s_load_u8 s13, s[0:1], s8 offset:0x600
	s_add_nc_u64 s[2:3], s[0:1], s[8:9]
	s_mul_u64 s[4:5], s[8:9], 3
	s_delay_alu instid0(SALU_CYCLE_1)
	s_add_nc_u64 s[2:3], s[2:3], s[4:5]
	s_load_b32 s12, s[2:3], 0x740
	s_wait_kmcnt 0x0
	s_clause 0x1
	s_load_b64 s[4:5], s[0:1], s13 offset:0x180 scale_offset
	s_load_b64 s[6:7], s[0:1], s13 offset:0x300 scale_offset
	s_wait_kmcnt 0x0
	global_load_u16 v8, v5, s[4:5]
	s_clause 0x1
	s_load_b64 s[10:11], s[0:1], s13 offset:0x0 scale_offset
	s_load_b64 s[18:19], s[0:1], s13 offset:0x480 scale_offset
	s_wait_xcnt 0x0
	s_ashr_i32 s13, s12, 31
	s_delay_alu instid0(SALU_CYCLE_1) | instskip(NEXT) | instid1(SALU_CYCLE_1)
	s_lshl_b64 s[14:15], s[12:13], 17
	s_add_nc_u64 s[4:5], s[4:5], s[14:15]
	s_add_nc_u64 s[2:3], s[6:7], s[14:15]
	s_delay_alu instid0(SALU_CYCLE_1) | instskip(NEXT) | instid1(SALU_CYCLE_1)
	s_or_b32 s8, s2, s4
	s_and_b32 s8, s8, 7
	s_wait_kmcnt 0x0
	s_add_nc_u64 s[4:5], s[10:11], s[14:15]
	s_delay_alu instid0(SALU_CYCLE_1)
	s_and_b64 s[20:21], s[4:5], 7
	s_cmp_lg_u32 s8, 0
	s_cselect_b32 s17, -1, 0
	s_and_b32 s8, s18, 3
	s_lshl_b64 s[12:13], s[12:13], 16
	s_or_b64 s[8:9], s[20:21], s[8:9]
	s_delay_alu instid0(SALU_CYCLE_1) | instskip(SKIP_1) | instid1(SALU_CYCLE_1)
	s_cmp_lg_u64 s[8:9], 0
	s_cselect_b32 s8, -1, 0
	s_or_b32 s17, s17, s8
	s_sub_nc_u64 s[8:9], s[18:19], s[12:13]
	s_and_not1_b32 vcc_lo, exec_lo, s17
	s_mov_b32 s12, -1
	s_cbranch_vccz .LBB37_5
; %bb.1:
	v_min_i64 v[2:3], 0x10000, s[8:9]
	v_lshlrev_b32_e32 v4, 2, v0
	s_mov_b32 s17, exec_lo
	s_delay_alu instid0(VALU_DEP_1)
	v_cmpx_lt_i64_e64 v[4:5], v[2:3]
	s_cbranch_execz .LBB37_4
; %bb.2:
	s_load_b32 s12, s[0:1], 0xc5c
	v_dual_mov_b32 v7, 0 :: v_dual_lshlrev_b32 v6, 3, v0
	v_mov_b32_e32 v1, v5
	s_wait_loadcnt 0x0
	v_mul_lo_u32 v9, v8, s16
	s_mov_b32 s13, 0
	v_add_nc_u64_e32 v[4:5], s[14:15], v[6:7]
	v_mov_b64_e32 v[6:7], v[0:1]
	s_mov_b32 s15, s13
	s_mov_b32 s18, s13
	s_wait_kmcnt 0x0
	s_and_b32 s12, s12, 0xffff
	s_delay_alu instid0(SALU_CYCLE_1)
	s_lshl_b32 s14, s12, 3
.LBB37_3:                               ; =>This Inner Loop Header: Depth=1
	v_add_nc_u64_e32 v[10:11], s[10:11], v[4:5]
	v_add_nc_u64_e32 v[12:13], s[6:7], v[4:5]
	;; [unrolled: 1-line block ×4, first 2 shown]
	global_load_b64 v[14:15], v[10:11], off
	global_load_b64 v[16:17], v[12:13], off
	s_wait_loadcnt 0x0
	s_wait_xcnt 0x0
	v_dual_lshrrev_b32 v1, 16, v14 :: v_dual_lshrrev_b32 v12, 16, v16
	v_mad_u16 v14, v9, v16, v14
	v_dual_lshrrev_b32 v16, 16, v15 :: v_dual_lshrrev_b32 v18, 16, v17
	v_mad_u16 v15, v9, v17, v15
	s_delay_alu instid0(VALU_DEP_4) | instskip(SKIP_4) | instid1(VALU_DEP_2)
	v_mad_u16 v1, v9, v12, v1
	v_lshlrev_b64_e32 v[12:13], 2, v[6:7]
	v_and_b32_e32 v14, 0xffff, v14
	v_mad_u16 v16, v9, v18, v16
	v_and_b32_e32 v15, 0xffff, v15
	v_dual_lshlrev_b32 v1, 16, v1 :: v_dual_lshlrev_b32 v16, 16, v16
	v_cmp_ge_i64_e32 vcc_lo, v[12:13], v[2:3]
	s_delay_alu instid0(VALU_DEP_2) | instskip(NEXT) | instid1(VALU_DEP_3)
	v_or_b32_e32 v1, v1, v14
	v_or3_b32 v13, 0, v15, v16
	s_delay_alu instid0(VALU_DEP_2)
	v_or3_b32 v12, v1, 0, 0
	s_or_b32 s18, vcc_lo, s18
	global_store_b64 v[10:11], v[12:13], off
	s_wait_xcnt 0x0
	s_and_not1_b32 exec_lo, exec_lo, s18
	s_cbranch_execnz .LBB37_3
.LBB37_4:
	s_or_b32 exec_lo, exec_lo, s17
	s_mov_b32 s12, 0
.LBB37_5:
	s_delay_alu instid0(SALU_CYCLE_1)
	s_and_not1_b32 vcc_lo, exec_lo, s12
	s_cbranch_vccnz .LBB37_25
; %bb.6:
	v_cmp_lt_i64_e64 s6, s[8:9], 1
	s_and_b32 vcc_lo, exec_lo, s6
	s_cbranch_vccnz .LBB37_25
; %bb.7:
	v_min_i64 v[2:3], 0x10000, s[8:9]
	v_min_u64 v[4:5], 0x10000, s[8:9]
	s_load_b32 s0, s[0:1], 0xc5c
	s_wait_loadcnt 0x0
	v_mul_lo_u32 v18, v8, s16
	v_mov_b32_e32 v1, 0
	s_wait_xcnt 0x0
	s_mov_b32 s1, 0
	s_mov_b64 s[12:13], 0
	s_mov_b32 s7, s1
	s_mov_b32 s9, s1
	;; [unrolled: 1-line block ×3, first 2 shown]
	s_wait_kmcnt 0x0
	s_and_b32 s0, s0, 0xffff
	s_delay_alu instid0(SALU_CYCLE_1)
	s_lshl_b32 s6, s0, 1
	s_mul_i32 s8, s0, 3
	s_lshl_b32 s10, s0, 2
	s_branch .LBB37_9
.LBB37_8:                               ;   in Loop: Header=BB37_9 Depth=1
	s_wait_xcnt 0x0
	s_or_b32 exec_lo, exec_lo, s14
	s_add_nc_u64 s[12:13], s[12:13], s[10:11]
	s_delay_alu instid0(SALU_CYCLE_1)
	v_cmp_ge_i64_e32 vcc_lo, s[12:13], v[2:3]
	s_cbranch_vccnz .LBB37_25
.LBB37_9:                               ; =>This Inner Loop Header: Depth=1
	v_add_nc_u64_e32 v[10:11], s[12:13], v[0:1]
	v_mov_b64_e32 v[6:7], 0
	v_mov_b64_e32 v[8:9], 0
	s_mov_b32 s14, exec_lo
	s_delay_alu instid0(VALU_DEP_3)
	v_cmpx_lt_i64_e64 v[10:11], v[2:3]
	s_cbranch_execz .LBB37_11
; %bb.10:                               ;   in Loop: Header=BB37_9 Depth=1
	v_lshlrev_b64_e32 v[6:7], 1, v[10:11]
	s_delay_alu instid0(VALU_DEP_1)
	v_add_nc_u64_e32 v[8:9], s[4:5], v[6:7]
	v_add_nc_u64_e32 v[6:7], s[2:3], v[6:7]
	global_load_u16 v12, v[8:9], off
	global_load_u16 v13, v[6:7], off
	s_wait_xcnt 0x0
	v_dual_mov_b32 v9, s1 :: v_dual_mov_b32 v7, s1
	s_wait_loadcnt 0x1
	v_and_b32_e32 v8, 0xffff, v12
	s_wait_loadcnt 0x0
	v_and_b32_e32 v6, 0xffff, v13
.LBB37_11:                              ;   in Loop: Header=BB37_9 Depth=1
	s_or_b32 exec_lo, exec_lo, s14
	v_add_nc_u64_e32 v[12:13], s[0:1], v[10:11]
	s_mov_b32 s14, exec_lo
	s_delay_alu instid0(VALU_DEP_1)
	v_cmpx_lt_i64_e64 v[12:13], v[2:3]
	s_cbranch_execz .LBB37_13
; %bb.12:                               ;   in Loop: Header=BB37_9 Depth=1
	v_lshlrev_b64_e32 v[14:15], 1, v[12:13]
	s_delay_alu instid0(VALU_DEP_1)
	v_add_nc_u64_e32 v[16:17], s[4:5], v[14:15]
	v_add_nc_u64_e32 v[14:15], s[2:3], v[14:15]
	global_load_u16 v19, v[16:17], off
	global_load_u16 v20, v[14:15], off
	s_wait_loadcnt 0x1
	v_lshl_or_b32 v8, v19, 16, v8
	s_wait_loadcnt 0x0
	v_lshl_or_b32 v6, v20, 16, v6
.LBB37_13:                              ;   in Loop: Header=BB37_9 Depth=1
	s_wait_xcnt 0x0
	s_or_b32 exec_lo, exec_lo, s14
	v_add_nc_u64_e32 v[14:15], s[6:7], v[10:11]
	s_mov_b32 s14, exec_lo
	s_delay_alu instid0(VALU_DEP_1)
	v_cmpx_lt_i64_e64 v[14:15], v[2:3]
	s_cbranch_execz .LBB37_15
; %bb.14:                               ;   in Loop: Header=BB37_9 Depth=1
	v_lshlrev_b64_e32 v[16:17], 1, v[14:15]
	s_delay_alu instid0(VALU_DEP_1)
	v_add_nc_u64_e32 v[20:21], s[4:5], v[16:17]
	v_add_nc_u64_e32 v[16:17], s[2:3], v[16:17]
	global_load_u16 v19, v[20:21], off
	global_load_u16 v22, v[16:17], off
	s_wait_loadcnt 0x1
	v_or_b32_e32 v9, v19, v9
	s_wait_loadcnt 0x0
	v_or_b32_e32 v7, v22, v7
.LBB37_15:                              ;   in Loop: Header=BB37_9 Depth=1
	s_wait_xcnt 0x0
	s_or_b32 exec_lo, exec_lo, s14
	v_add_nc_u64_e32 v[16:17], s[8:9], v[10:11]
	s_mov_b32 s14, exec_lo
	s_delay_alu instid0(VALU_DEP_1)
	v_cmpx_lt_i64_e64 v[16:17], v[2:3]
	s_cbranch_execnz .LBB37_20
; %bb.16:                               ;   in Loop: Header=BB37_9 Depth=1
	s_or_b32 exec_lo, exec_lo, s14
	s_delay_alu instid0(SALU_CYCLE_1)
	s_mov_b32 s14, exec_lo
	v_cmpx_lt_u64_e64 v[10:11], v[4:5]
	s_cbranch_execnz .LBB37_21
.LBB37_17:                              ;   in Loop: Header=BB37_9 Depth=1
	s_or_b32 exec_lo, exec_lo, s14
	s_delay_alu instid0(SALU_CYCLE_1)
	s_mov_b32 s14, exec_lo
	v_cmpx_lt_u64_e64 v[12:13], v[4:5]
	s_cbranch_execnz .LBB37_22
.LBB37_18:                              ;   in Loop: Header=BB37_9 Depth=1
	s_or_b32 exec_lo, exec_lo, s14
	s_delay_alu instid0(SALU_CYCLE_1)
	s_mov_b32 s14, exec_lo
	v_cmpx_lt_u64_e64 v[14:15], v[4:5]
	s_cbranch_execnz .LBB37_23
.LBB37_19:                              ;   in Loop: Header=BB37_9 Depth=1
	s_or_b32 exec_lo, exec_lo, s14
	s_delay_alu instid0(SALU_CYCLE_1)
	s_mov_b32 s14, exec_lo
	v_cmpx_lt_u64_e64 v[16:17], v[4:5]
	s_cbranch_execz .LBB37_8
	s_branch .LBB37_24
.LBB37_20:                              ;   in Loop: Header=BB37_9 Depth=1
	v_lshlrev_b64_e32 v[20:21], 1, v[16:17]
	s_delay_alu instid0(VALU_DEP_1)
	v_add_nc_u64_e32 v[22:23], s[4:5], v[20:21]
	v_add_nc_u64_e32 v[20:21], s[2:3], v[20:21]
	global_load_u16 v19, v[22:23], off
	global_load_u16 v24, v[20:21], off
	s_wait_loadcnt 0x0
	v_dual_lshlrev_b32 v19, 16, v19 :: v_dual_lshlrev_b32 v20, 16, v24
	s_delay_alu instid0(VALU_DEP_1) | instskip(NEXT) | instid1(VALU_DEP_2)
	v_or_b32_e32 v9, v19, v9
	v_or_b32_e32 v7, v20, v7
	s_or_b32 exec_lo, exec_lo, s14
	s_delay_alu instid0(SALU_CYCLE_1)
	s_mov_b32 s14, exec_lo
	v_cmpx_lt_u64_e64 v[10:11], v[4:5]
	s_cbranch_execz .LBB37_17
.LBB37_21:                              ;   in Loop: Header=BB37_9 Depth=1
	v_mad_u16 v19, v18, v6, v8
	v_lshl_add_u64 v[10:11], v[10:11], 1, s[4:5]
	global_store_b16 v[10:11], v19, off
	s_wait_xcnt 0x0
	s_or_b32 exec_lo, exec_lo, s14
	s_delay_alu instid0(SALU_CYCLE_1)
	s_mov_b32 s14, exec_lo
	v_cmpx_lt_u64_e64 v[12:13], v[4:5]
	s_cbranch_execz .LBB37_18
.LBB37_22:                              ;   in Loop: Header=BB37_9 Depth=1
	v_dual_lshrrev_b32 v8, 16, v8 :: v_dual_lshrrev_b32 v6, 16, v6
	v_lshl_add_u64 v[10:11], v[12:13], 1, s[4:5]
	s_delay_alu instid0(VALU_DEP_2) | instskip(SKIP_3) | instid1(SALU_CYCLE_1)
	v_mad_u16 v6, v18, v6, v8
	global_store_b16 v[10:11], v6, off
	s_wait_xcnt 0x0
	s_or_b32 exec_lo, exec_lo, s14
	s_mov_b32 s14, exec_lo
	v_cmpx_lt_u64_e64 v[14:15], v[4:5]
	s_cbranch_execz .LBB37_19
.LBB37_23:                              ;   in Loop: Header=BB37_9 Depth=1
	v_mad_u16 v6, v18, v7, v9
	v_lshl_add_u64 v[10:11], v[14:15], 1, s[4:5]
	global_store_b16 v[10:11], v6, off
	s_wait_xcnt 0x0
	s_or_b32 exec_lo, exec_lo, s14
	s_delay_alu instid0(SALU_CYCLE_1)
	s_mov_b32 s14, exec_lo
	v_cmpx_lt_u64_e64 v[16:17], v[4:5]
	s_cbranch_execz .LBB37_8
.LBB37_24:                              ;   in Loop: Header=BB37_9 Depth=1
	v_dual_lshrrev_b32 v6, 16, v9 :: v_dual_lshrrev_b32 v7, 16, v7
	s_delay_alu instid0(VALU_DEP_1)
	v_mad_u16 v8, v18, v7, v6
	v_lshl_add_u64 v[6:7], v[16:17], 1, s[4:5]
	global_store_b16 v[6:7], v8, off
	s_branch .LBB37_8
.LBB37_25:
	s_endpgm
	.section	.rodata,"a",@progbits
	.p2align	6, 0x0
	.amdhsa_kernel _ZN2at6native12_GLOBAL__N_125multi_tensor_apply_kernelINS1_18TensorListMetadataILi3EEENS1_32PointwiseOpScalar0dTensorFunctorIsLi3ELi2ELi0EEEJSt10multipliesIsEsEEEvT_T0_DpT1_
		.amdhsa_group_segment_fixed_size 0
		.amdhsa_private_segment_fixed_size 0
		.amdhsa_kernarg_size 3408
		.amdhsa_user_sgpr_count 2
		.amdhsa_user_sgpr_dispatch_ptr 0
		.amdhsa_user_sgpr_queue_ptr 0
		.amdhsa_user_sgpr_kernarg_segment_ptr 1
		.amdhsa_user_sgpr_dispatch_id 0
		.amdhsa_user_sgpr_kernarg_preload_length 0
		.amdhsa_user_sgpr_kernarg_preload_offset 0
		.amdhsa_user_sgpr_private_segment_size 0
		.amdhsa_wavefront_size32 1
		.amdhsa_uses_dynamic_stack 0
		.amdhsa_enable_private_segment 0
		.amdhsa_system_sgpr_workgroup_id_x 1
		.amdhsa_system_sgpr_workgroup_id_y 0
		.amdhsa_system_sgpr_workgroup_id_z 0
		.amdhsa_system_sgpr_workgroup_info 0
		.amdhsa_system_vgpr_workitem_id 0
		.amdhsa_next_free_vgpr 25
		.amdhsa_next_free_sgpr 22
		.amdhsa_named_barrier_count 0
		.amdhsa_reserve_vcc 1
		.amdhsa_float_round_mode_32 0
		.amdhsa_float_round_mode_16_64 0
		.amdhsa_float_denorm_mode_32 3
		.amdhsa_float_denorm_mode_16_64 3
		.amdhsa_fp16_overflow 0
		.amdhsa_memory_ordered 1
		.amdhsa_forward_progress 1
		.amdhsa_inst_pref_size 12
		.amdhsa_round_robin_scheduling 0
		.amdhsa_exception_fp_ieee_invalid_op 0
		.amdhsa_exception_fp_denorm_src 0
		.amdhsa_exception_fp_ieee_div_zero 0
		.amdhsa_exception_fp_ieee_overflow 0
		.amdhsa_exception_fp_ieee_underflow 0
		.amdhsa_exception_fp_ieee_inexact 0
		.amdhsa_exception_int_div_zero 0
	.end_amdhsa_kernel
	.section	.text._ZN2at6native12_GLOBAL__N_125multi_tensor_apply_kernelINS1_18TensorListMetadataILi3EEENS1_32PointwiseOpScalar0dTensorFunctorIsLi3ELi2ELi0EEEJSt10multipliesIsEsEEEvT_T0_DpT1_,"axG",@progbits,_ZN2at6native12_GLOBAL__N_125multi_tensor_apply_kernelINS1_18TensorListMetadataILi3EEENS1_32PointwiseOpScalar0dTensorFunctorIsLi3ELi2ELi0EEEJSt10multipliesIsEsEEEvT_T0_DpT1_,comdat
.Lfunc_end37:
	.size	_ZN2at6native12_GLOBAL__N_125multi_tensor_apply_kernelINS1_18TensorListMetadataILi3EEENS1_32PointwiseOpScalar0dTensorFunctorIsLi3ELi2ELi0EEEJSt10multipliesIsEsEEEvT_T0_DpT1_, .Lfunc_end37-_ZN2at6native12_GLOBAL__N_125multi_tensor_apply_kernelINS1_18TensorListMetadataILi3EEENS1_32PointwiseOpScalar0dTensorFunctorIsLi3ELi2ELi0EEEJSt10multipliesIsEsEEEvT_T0_DpT1_
                                        ; -- End function
	.set _ZN2at6native12_GLOBAL__N_125multi_tensor_apply_kernelINS1_18TensorListMetadataILi3EEENS1_32PointwiseOpScalar0dTensorFunctorIsLi3ELi2ELi0EEEJSt10multipliesIsEsEEEvT_T0_DpT1_.num_vgpr, 25
	.set _ZN2at6native12_GLOBAL__N_125multi_tensor_apply_kernelINS1_18TensorListMetadataILi3EEENS1_32PointwiseOpScalar0dTensorFunctorIsLi3ELi2ELi0EEEJSt10multipliesIsEsEEEvT_T0_DpT1_.num_agpr, 0
	.set _ZN2at6native12_GLOBAL__N_125multi_tensor_apply_kernelINS1_18TensorListMetadataILi3EEENS1_32PointwiseOpScalar0dTensorFunctorIsLi3ELi2ELi0EEEJSt10multipliesIsEsEEEvT_T0_DpT1_.numbered_sgpr, 22
	.set _ZN2at6native12_GLOBAL__N_125multi_tensor_apply_kernelINS1_18TensorListMetadataILi3EEENS1_32PointwiseOpScalar0dTensorFunctorIsLi3ELi2ELi0EEEJSt10multipliesIsEsEEEvT_T0_DpT1_.num_named_barrier, 0
	.set _ZN2at6native12_GLOBAL__N_125multi_tensor_apply_kernelINS1_18TensorListMetadataILi3EEENS1_32PointwiseOpScalar0dTensorFunctorIsLi3ELi2ELi0EEEJSt10multipliesIsEsEEEvT_T0_DpT1_.private_seg_size, 0
	.set _ZN2at6native12_GLOBAL__N_125multi_tensor_apply_kernelINS1_18TensorListMetadataILi3EEENS1_32PointwiseOpScalar0dTensorFunctorIsLi3ELi2ELi0EEEJSt10multipliesIsEsEEEvT_T0_DpT1_.uses_vcc, 1
	.set _ZN2at6native12_GLOBAL__N_125multi_tensor_apply_kernelINS1_18TensorListMetadataILi3EEENS1_32PointwiseOpScalar0dTensorFunctorIsLi3ELi2ELi0EEEJSt10multipliesIsEsEEEvT_T0_DpT1_.uses_flat_scratch, 0
	.set _ZN2at6native12_GLOBAL__N_125multi_tensor_apply_kernelINS1_18TensorListMetadataILi3EEENS1_32PointwiseOpScalar0dTensorFunctorIsLi3ELi2ELi0EEEJSt10multipliesIsEsEEEvT_T0_DpT1_.has_dyn_sized_stack, 0
	.set _ZN2at6native12_GLOBAL__N_125multi_tensor_apply_kernelINS1_18TensorListMetadataILi3EEENS1_32PointwiseOpScalar0dTensorFunctorIsLi3ELi2ELi0EEEJSt10multipliesIsEsEEEvT_T0_DpT1_.has_recursion, 0
	.set _ZN2at6native12_GLOBAL__N_125multi_tensor_apply_kernelINS1_18TensorListMetadataILi3EEENS1_32PointwiseOpScalar0dTensorFunctorIsLi3ELi2ELi0EEEJSt10multipliesIsEsEEEvT_T0_DpT1_.has_indirect_call, 0
	.section	.AMDGPU.csdata,"",@progbits
; Kernel info:
; codeLenInByte = 1476
; TotalNumSgprs: 24
; NumVgprs: 25
; ScratchSize: 0
; MemoryBound: 0
; FloatMode: 240
; IeeeMode: 1
; LDSByteSize: 0 bytes/workgroup (compile time only)
; SGPRBlocks: 0
; VGPRBlocks: 1
; NumSGPRsForWavesPerEU: 24
; NumVGPRsForWavesPerEU: 25
; NamedBarCnt: 0
; Occupancy: 16
; WaveLimiterHint : 0
; COMPUTE_PGM_RSRC2:SCRATCH_EN: 0
; COMPUTE_PGM_RSRC2:USER_SGPR: 2
; COMPUTE_PGM_RSRC2:TRAP_HANDLER: 0
; COMPUTE_PGM_RSRC2:TGID_X_EN: 1
; COMPUTE_PGM_RSRC2:TGID_Y_EN: 0
; COMPUTE_PGM_RSRC2:TGID_Z_EN: 0
; COMPUTE_PGM_RSRC2:TIDIG_COMP_CNT: 0
	.section	.text._ZN2at6native12_GLOBAL__N_125multi_tensor_apply_kernelINS1_18TensorListMetadataILi3EEENS1_32PointwiseOpScalar0dTensorFunctorIdLi3ELi2ELi0EEEJSt10multipliesIdEdEEEvT_T0_DpT1_,"axG",@progbits,_ZN2at6native12_GLOBAL__N_125multi_tensor_apply_kernelINS1_18TensorListMetadataILi3EEENS1_32PointwiseOpScalar0dTensorFunctorIdLi3ELi2ELi0EEEJSt10multipliesIdEdEEEvT_T0_DpT1_,comdat
	.globl	_ZN2at6native12_GLOBAL__N_125multi_tensor_apply_kernelINS1_18TensorListMetadataILi3EEENS1_32PointwiseOpScalar0dTensorFunctorIdLi3ELi2ELi0EEEJSt10multipliesIdEdEEEvT_T0_DpT1_ ; -- Begin function _ZN2at6native12_GLOBAL__N_125multi_tensor_apply_kernelINS1_18TensorListMetadataILi3EEENS1_32PointwiseOpScalar0dTensorFunctorIdLi3ELi2ELi0EEEJSt10multipliesIdEdEEEvT_T0_DpT1_
	.p2align	8
	.type	_ZN2at6native12_GLOBAL__N_125multi_tensor_apply_kernelINS1_18TensorListMetadataILi3EEENS1_32PointwiseOpScalar0dTensorFunctorIdLi3ELi2ELi0EEEJSt10multipliesIdEdEEEvT_T0_DpT1_,@function
_ZN2at6native12_GLOBAL__N_125multi_tensor_apply_kernelINS1_18TensorListMetadataILi3EEENS1_32PointwiseOpScalar0dTensorFunctorIdLi3ELi2ELi0EEEJSt10multipliesIdEdEEEvT_T0_DpT1_: ; @_ZN2at6native12_GLOBAL__N_125multi_tensor_apply_kernelINS1_18TensorListMetadataILi3EEENS1_32PointwiseOpScalar0dTensorFunctorIdLi3ELi2ELi0EEEJSt10multipliesIdEdEEEvT_T0_DpT1_
; %bb.0:
	s_bfe_u32 s2, ttmp6, 0x4000c
	s_and_b32 s3, ttmp6, 15
	s_add_co_i32 s2, s2, 1
	s_getreg_b32 s4, hwreg(HW_REG_IB_STS2, 6, 4)
	s_mul_i32 s2, ttmp9, s2
	s_mov_b32 s15, 0
	s_add_co_i32 s3, s3, s2
	s_cmp_eq_u32 s4, 0
	s_cselect_b32 s14, ttmp9, s3
	s_delay_alu instid0(SALU_CYCLE_1) | instskip(SKIP_1) | instid1(SALU_CYCLE_1)
	s_add_nc_u64 s[2:3], s[0:1], s[14:15]
	s_mul_u64 s[4:5], s[14:15], 3
	s_add_nc_u64 s[2:3], s[2:3], s[4:5]
	s_clause 0x1
	s_load_b32 s16, s[2:3], 0x740
	s_load_u8 s4, s[0:1], s14 offset:0x600
	s_wait_kmcnt 0x0
	s_clause 0x3
	s_load_b64 s[8:9], s[0:1], s4 offset:0x180 scale_offset
	s_load_b64 s[10:11], s[0:1], s4 offset:0x300 scale_offset
	;; [unrolled: 1-line block ×4, first 2 shown]
	s_ashr_i32 s17, s16, 31
	s_delay_alu instid0(SALU_CYCLE_1)
	s_lshl_b64 s[18:19], s[16:17], 19
	s_wait_kmcnt 0x0
	s_add_nc_u64 s[4:5], s[8:9], s[18:19]
	s_add_nc_u64 s[2:3], s[10:11], s[18:19]
	s_load_b64 s[8:9], s[8:9], 0x0
	s_or_b32 s6, s2, s4
	s_add_nc_u64 s[4:5], s[12:13], s[18:19]
	s_and_b32 s6, s6, 31
	s_and_b64 s[22:23], s[4:5], 31
	s_cmp_lg_u32 s6, 0
	s_load_b64 s[6:7], s[0:1], 0xc50
	s_cselect_b32 s24, -1, 0
	s_and_b32 s14, s20, 3
	s_lshl_b64 s[16:17], s[16:17], 16
	s_or_b64 s[14:15], s[22:23], s[14:15]
	s_delay_alu instid0(SALU_CYCLE_1) | instskip(SKIP_1) | instid1(SALU_CYCLE_1)
	s_cmp_lg_u64 s[14:15], 0
	s_cselect_b32 s14, -1, 0
	s_or_b32 s22, s24, s14
	s_sub_nc_u64 s[14:15], s[20:21], s[16:17]
	s_and_not1_b32 vcc_lo, exec_lo, s22
	s_mov_b32 s16, -1
	s_cbranch_vccz .LBB38_21
; %bb.1:
	v_min_i64 v[22:23], 0x10000, s[14:15]
	v_dual_mov_b32 v3, 0 :: v_dual_lshlrev_b32 v2, 2, v0
	s_mov_b32 s20, exec_lo
	s_delay_alu instid0(VALU_DEP_1)
	v_cmpx_lt_i64_e64 v[2:3], v[22:23]
	s_cbranch_execz .LBB38_20
; %bb.2:
	s_wait_kmcnt 0x0
	v_cmp_neq_f64_e64 s21, s[6:7], 1.0
	s_load_b32 s16, s[0:1], 0xc64
	v_dual_mov_b32 v1, v3 :: v_dual_lshlrev_b32 v2, 5, v0
	s_mov_b32 s17, 0
	s_delay_alu instid0(SALU_CYCLE_1) | instskip(NEXT) | instid1(VALU_DEP_1)
	s_mov_b32 s22, s17
	v_add_nc_u64_e32 v[24:25], s[18:19], v[2:3]
	s_delay_alu instid0(VALU_DEP_2) | instskip(SKIP_3) | instid1(SALU_CYCLE_1)
	v_mov_b64_e32 v[26:27], v[0:1]
	s_mov_b32 s19, s17
	s_wait_kmcnt 0x0
	s_and_b32 s16, s16, 0xffff
	s_lshl_b32 s18, s16, 5
	s_branch .LBB38_4
.LBB38_3:                               ;   in Loop: Header=BB38_4 Depth=1
	v_add_nc_u64_e32 v[26:27], s[16:17], v[26:27]
	v_add_nc_u64_e32 v[24:25], s[18:19], v[24:25]
	global_store_b128 v[28:29], v[2:5], off
	s_wait_loadcnt 0x2
	global_store_b128 v[28:29], v[14:17], off offset:16
	v_lshlrev_b64_e32 v[6:7], 2, v[26:27]
	s_delay_alu instid0(VALU_DEP_1)
	v_cmp_ge_i64_e32 vcc_lo, v[6:7], v[22:23]
	s_or_b32 s22, vcc_lo, s22
	s_wait_xcnt 0x0
	s_and_not1_b32 exec_lo, exec_lo, s22
	s_cbranch_execz .LBB38_20
.LBB38_4:                               ; =>This Inner Loop Header: Depth=1
	v_add_nc_u64_e32 v[28:29], s[12:13], v[24:25]
	v_add_nc_u64_e32 v[2:3], s[10:11], v[24:25]
	s_and_b32 vcc_lo, exec_lo, s21
	s_clause 0x1
	global_load_b128 v[6:9], v[28:29], off offset:16
	global_load_b128 v[14:17], v[28:29], off
	s_wait_loadcnt 0x3
	global_load_b128 v[10:13], v[2:3], off offset:16
	s_wait_loadcnt 0x3
	global_load_b128 v[18:21], v[2:3], off
	s_cbranch_vccz .LBB38_15
; %bb.5:                                ;   in Loop: Header=BB38_4 Depth=1
	s_wait_loadcnt 0x0
	s_wait_xcnt 0x0
	v_mul_f64_e32 v[2:3], s[8:9], v[18:19]
	s_delay_alu instid0(VALU_DEP_1)
	v_fma_f64 v[2:3], s[6:7], v[2:3], v[14:15]
	s_cbranch_execnz .LBB38_7
.LBB38_6:                               ;   in Loop: Header=BB38_4 Depth=1
	s_wait_loadcnt 0x0
	v_fmac_f64_e32 v[14:15], s[8:9], v[18:19]
	s_wait_xcnt 0x0
	s_delay_alu instid0(VALU_DEP_1)
	v_mov_b64_e32 v[2:3], v[14:15]
.LBB38_7:                               ;   in Loop: Header=BB38_4 Depth=1
	s_and_not1_b32 vcc_lo, exec_lo, s21
	s_cbranch_vccnz .LBB38_16
; %bb.8:                                ;   in Loop: Header=BB38_4 Depth=1
	s_wait_loadcnt 0x0
	v_mul_f64_e32 v[4:5], s[8:9], v[20:21]
	s_delay_alu instid0(VALU_DEP_1)
	v_fma_f64 v[4:5], s[6:7], v[4:5], v[16:17]
	s_cbranch_execnz .LBB38_10
.LBB38_9:                               ;   in Loop: Header=BB38_4 Depth=1
	s_wait_loadcnt 0x0
	v_fmac_f64_e32 v[16:17], s[8:9], v[20:21]
	s_delay_alu instid0(VALU_DEP_1)
	v_mov_b64_e32 v[4:5], v[16:17]
.LBB38_10:                              ;   in Loop: Header=BB38_4 Depth=1
	s_and_not1_b32 vcc_lo, exec_lo, s21
	s_cbranch_vccnz .LBB38_17
; %bb.11:                               ;   in Loop: Header=BB38_4 Depth=1
	s_wait_loadcnt 0x1
	v_mul_f64_e32 v[14:15], s[8:9], v[10:11]
	s_delay_alu instid0(VALU_DEP_1)
	v_fma_f64 v[14:15], s[6:7], v[14:15], v[6:7]
	s_cbranch_execnz .LBB38_13
.LBB38_12:                              ;   in Loop: Header=BB38_4 Depth=1
	s_wait_loadcnt 0x1
	v_fmac_f64_e32 v[6:7], s[8:9], v[10:11]
	s_delay_alu instid0(VALU_DEP_1)
	v_mov_b64_e32 v[14:15], v[6:7]
.LBB38_13:                              ;   in Loop: Header=BB38_4 Depth=1
	s_and_not1_b32 vcc_lo, exec_lo, s21
	s_cbranch_vccnz .LBB38_18
; %bb.14:                               ;   in Loop: Header=BB38_4 Depth=1
	s_wait_loadcnt 0x1
	v_mul_f64_e32 v[6:7], s[8:9], v[12:13]
	s_delay_alu instid0(VALU_DEP_1)
	v_fma_f64 v[16:17], s[6:7], v[6:7], v[8:9]
	s_cbranch_execnz .LBB38_3
	s_branch .LBB38_19
.LBB38_15:                              ;   in Loop: Header=BB38_4 Depth=1
                                        ; implicit-def: $vgpr2_vgpr3
	s_branch .LBB38_6
.LBB38_16:                              ;   in Loop: Header=BB38_4 Depth=1
	s_branch .LBB38_9
.LBB38_17:                              ;   in Loop: Header=BB38_4 Depth=1
                                        ; implicit-def: $vgpr14_vgpr15
	s_branch .LBB38_12
.LBB38_18:                              ;   in Loop: Header=BB38_4 Depth=1
.LBB38_19:                              ;   in Loop: Header=BB38_4 Depth=1
	s_wait_loadcnt 0x1
	v_fmac_f64_e32 v[8:9], s[8:9], v[12:13]
	s_delay_alu instid0(VALU_DEP_1)
	v_mov_b64_e32 v[16:17], v[8:9]
	s_branch .LBB38_3
.LBB38_20:
	s_or_b32 exec_lo, exec_lo, s20
	s_mov_b32 s16, 0
.LBB38_21:
	s_delay_alu instid0(SALU_CYCLE_1)
	s_and_not1_b32 vcc_lo, exec_lo, s16
	s_cbranch_vccnz .LBB38_57
; %bb.22:
	v_cmp_lt_i64_e64 s10, s[14:15], 1
	s_and_b32 vcc_lo, exec_lo, s10
	s_cbranch_vccnz .LBB38_57
; %bb.23:
	v_min_i64 v[2:3], 0x10000, s[14:15]
	s_wait_kmcnt 0x0
	v_cmp_neq_f64_e64 s18, s[6:7], 1.0
	v_min_u64 v[4:5], 0x10000, s[14:15]
	s_load_b32 s0, s[0:1], 0xc64
	v_mov_b32_e32 v1, 0
	s_wait_xcnt 0x0
	s_mov_b32 s1, 0
	s_mov_b64 s[16:17], 0
	s_mov_b32 s11, s1
	s_mov_b32 s13, s1
	;; [unrolled: 1-line block ×3, first 2 shown]
	s_wait_kmcnt 0x0
	s_and_b32 s0, s0, 0xffff
	s_delay_alu instid0(SALU_CYCLE_1)
	s_lshl_b32 s10, s0, 1
	s_mul_i32 s12, s0, 3
	s_lshl_b32 s14, s0, 2
	s_branch .LBB38_25
.LBB38_24:                              ;   in Loop: Header=BB38_25 Depth=1
	s_wait_xcnt 0x0
	s_or_b32 exec_lo, exec_lo, s19
	s_add_nc_u64 s[16:17], s[16:17], s[14:15]
	s_delay_alu instid0(SALU_CYCLE_1)
	v_cmp_ge_i64_e32 vcc_lo, s[16:17], v[2:3]
	s_cbranch_vccnz .LBB38_57
.LBB38_25:                              ; =>This Inner Loop Header: Depth=1
	v_add_nc_u64_e32 v[6:7], s[16:17], v[0:1]
	v_mov_b64_e32 v[16:17], 0
	v_mov_b64_e32 v[28:29], 0
	;; [unrolled: 1-line block ×3, first 2 shown]
	s_mov_b32 s19, exec_lo
	s_delay_alu instid0(VALU_DEP_4)
	v_cmpx_lt_i64_e64 v[6:7], v[2:3]
	s_cbranch_execz .LBB38_27
; %bb.26:                               ;   in Loop: Header=BB38_25 Depth=1
	v_lshlrev_b64_e32 v[8:9], 3, v[6:7]
	s_wait_loadcnt 0x1
	s_delay_alu instid0(VALU_DEP_1)
	v_add_nc_u64_e32 v[10:11], s[4:5], v[8:9]
	v_add_nc_u64_e32 v[8:9], s[2:3], v[8:9]
	global_load_b64 v[30:31], v[10:11], off
	global_load_b64 v[28:29], v[8:9], off
.LBB38_27:                              ;   in Loop: Header=BB38_25 Depth=1
	s_wait_xcnt 0x0
	s_or_b32 exec_lo, exec_lo, s19
	v_add_nc_u64_e32 v[8:9], s[0:1], v[6:7]
	v_mov_b64_e32 v[24:25], 0
	s_mov_b32 s19, exec_lo
	s_delay_alu instid0(VALU_DEP_2)
	v_cmpx_lt_i64_e64 v[8:9], v[2:3]
	s_cbranch_execz .LBB38_29
; %bb.28:                               ;   in Loop: Header=BB38_25 Depth=1
	s_wait_loadcnt 0x1
	v_lshlrev_b64_e32 v[10:11], 3, v[8:9]
	s_delay_alu instid0(VALU_DEP_1)
	v_add_nc_u64_e32 v[12:13], s[4:5], v[10:11]
	v_add_nc_u64_e32 v[10:11], s[2:3], v[10:11]
	global_load_b64 v[24:25], v[12:13], off
	global_load_b64 v[16:17], v[10:11], off
.LBB38_29:                              ;   in Loop: Header=BB38_25 Depth=1
	s_wait_xcnt 0x0
	s_or_b32 exec_lo, exec_lo, s19
	s_wait_loadcnt 0x1
	v_add_nc_u64_e32 v[10:11], s[10:11], v[6:7]
	s_wait_loadcnt 0x0
	v_mov_b64_e32 v[14:15], 0
	s_wait_loadcnt 0x0
	v_mov_b64_e32 v[20:21], 0
	v_mov_b64_e32 v[22:23], 0
	s_mov_b32 s19, exec_lo
	v_cmpx_lt_i64_e64 v[10:11], v[2:3]
	s_cbranch_execz .LBB38_31
; %bb.30:                               ;   in Loop: Header=BB38_25 Depth=1
	v_lshlrev_b64_e32 v[12:13], 3, v[10:11]
	s_delay_alu instid0(VALU_DEP_1)
	v_add_nc_u64_e32 v[18:19], s[4:5], v[12:13]
	v_add_nc_u64_e32 v[12:13], s[2:3], v[12:13]
	global_load_b64 v[22:23], v[18:19], off
	global_load_b64 v[20:21], v[12:13], off
.LBB38_31:                              ;   in Loop: Header=BB38_25 Depth=1
	s_wait_xcnt 0x0
	s_or_b32 exec_lo, exec_lo, s19
	v_add_nc_u64_e32 v[12:13], s[12:13], v[6:7]
	v_mov_b64_e32 v[18:19], 0
	s_mov_b32 s19, exec_lo
	s_delay_alu instid0(VALU_DEP_2)
	v_cmpx_lt_i64_e64 v[12:13], v[2:3]
	s_cbranch_execz .LBB38_33
; %bb.32:                               ;   in Loop: Header=BB38_25 Depth=1
	v_lshlrev_b64_e32 v[14:15], 3, v[12:13]
	s_delay_alu instid0(VALU_DEP_1)
	v_add_nc_u64_e32 v[26:27], s[4:5], v[14:15]
	v_add_nc_u64_e32 v[32:33], s[2:3], v[14:15]
	global_load_b64 v[18:19], v[26:27], off
	global_load_b64 v[14:15], v[32:33], off
.LBB38_33:                              ;   in Loop: Header=BB38_25 Depth=1
	s_wait_xcnt 0x0
	s_or_b32 exec_lo, exec_lo, s19
	s_delay_alu instid0(SALU_CYCLE_1)
	s_and_b32 vcc_lo, exec_lo, s18
	s_cbranch_vccz .LBB38_53
; %bb.34:                               ;   in Loop: Header=BB38_25 Depth=1
	v_mul_f64_e32 v[26:27], s[8:9], v[28:29]
	s_delay_alu instid0(VALU_DEP_1)
	v_fma_f64 v[26:27], s[6:7], v[26:27], v[30:31]
	s_cbranch_execnz .LBB38_36
.LBB38_35:                              ;   in Loop: Header=BB38_25 Depth=1
	v_fmac_f64_e32 v[30:31], s[8:9], v[28:29]
	s_delay_alu instid0(VALU_DEP_1)
	v_mov_b64_e32 v[26:27], v[30:31]
.LBB38_36:                              ;   in Loop: Header=BB38_25 Depth=1
	s_and_not1_b32 vcc_lo, exec_lo, s18
	s_cbranch_vccnz .LBB38_54
; %bb.37:                               ;   in Loop: Header=BB38_25 Depth=1
	v_mul_f64_e32 v[28:29], s[8:9], v[16:17]
	s_delay_alu instid0(VALU_DEP_1)
	v_fma_f64 v[28:29], s[6:7], v[28:29], v[24:25]
	s_cbranch_execnz .LBB38_39
.LBB38_38:                              ;   in Loop: Header=BB38_25 Depth=1
	v_fmac_f64_e32 v[24:25], s[8:9], v[16:17]
	s_delay_alu instid0(VALU_DEP_1)
	v_mov_b64_e32 v[28:29], v[24:25]
.LBB38_39:                              ;   in Loop: Header=BB38_25 Depth=1
	s_and_not1_b32 vcc_lo, exec_lo, s18
	s_cbranch_vccnz .LBB38_55
; %bb.40:                               ;   in Loop: Header=BB38_25 Depth=1
	s_wait_loadcnt 0x0
	v_mul_f64_e32 v[16:17], s[8:9], v[20:21]
	s_delay_alu instid0(VALU_DEP_1)
	v_fma_f64 v[16:17], s[6:7], v[16:17], v[22:23]
	s_cbranch_execnz .LBB38_42
.LBB38_41:                              ;   in Loop: Header=BB38_25 Depth=1
	s_wait_loadcnt 0x0
	v_fmac_f64_e32 v[22:23], s[8:9], v[20:21]
	s_delay_alu instid0(VALU_DEP_1)
	v_mov_b64_e32 v[16:17], v[22:23]
.LBB38_42:                              ;   in Loop: Header=BB38_25 Depth=1
	s_and_not1_b32 vcc_lo, exec_lo, s18
	s_cbranch_vccnz .LBB38_56
; %bb.43:                               ;   in Loop: Header=BB38_25 Depth=1
	s_wait_loadcnt 0x0
	v_mul_f64_e32 v[20:21], s[8:9], v[14:15]
	s_delay_alu instid0(VALU_DEP_1)
	v_fma_f64 v[20:21], s[6:7], v[20:21], v[18:19]
	s_cbranch_execnz .LBB38_45
.LBB38_44:                              ;   in Loop: Header=BB38_25 Depth=1
	s_wait_loadcnt 0x0
	v_fmac_f64_e32 v[18:19], s[8:9], v[14:15]
	s_delay_alu instid0(VALU_DEP_1)
	v_mov_b64_e32 v[20:21], v[18:19]
.LBB38_45:                              ;   in Loop: Header=BB38_25 Depth=1
	s_mov_b32 s19, exec_lo
	v_cmpx_lt_u64_e64 v[6:7], v[4:5]
	s_xor_b32 s19, exec_lo, s19
	s_cbranch_execz .LBB38_47
; %bb.46:                               ;   in Loop: Header=BB38_25 Depth=1
	v_lshl_add_u64 v[6:7], v[6:7], 3, s[4:5]
	global_store_b64 v[6:7], v[26:27], off
.LBB38_47:                              ;   in Loop: Header=BB38_25 Depth=1
	s_wait_xcnt 0x0
	s_or_b32 exec_lo, exec_lo, s19
	s_delay_alu instid0(SALU_CYCLE_1)
	s_mov_b32 s19, exec_lo
	v_cmpx_lt_u64_e64 v[8:9], v[4:5]
	s_cbranch_execnz .LBB38_50
; %bb.48:                               ;   in Loop: Header=BB38_25 Depth=1
	s_or_b32 exec_lo, exec_lo, s19
	s_delay_alu instid0(SALU_CYCLE_1)
	s_mov_b32 s19, exec_lo
	v_cmpx_lt_u64_e64 v[10:11], v[4:5]
	s_cbranch_execnz .LBB38_51
.LBB38_49:                              ;   in Loop: Header=BB38_25 Depth=1
	s_or_b32 exec_lo, exec_lo, s19
	s_delay_alu instid0(SALU_CYCLE_1)
	s_mov_b32 s19, exec_lo
	v_cmpx_lt_u64_e64 v[12:13], v[4:5]
	s_cbranch_execz .LBB38_24
	s_branch .LBB38_52
.LBB38_50:                              ;   in Loop: Header=BB38_25 Depth=1
	v_lshl_add_u64 v[6:7], v[8:9], 3, s[4:5]
	global_store_b64 v[6:7], v[28:29], off
	s_wait_xcnt 0x0
	s_or_b32 exec_lo, exec_lo, s19
	s_delay_alu instid0(SALU_CYCLE_1)
	s_mov_b32 s19, exec_lo
	v_cmpx_lt_u64_e64 v[10:11], v[4:5]
	s_cbranch_execz .LBB38_49
.LBB38_51:                              ;   in Loop: Header=BB38_25 Depth=1
	v_lshl_add_u64 v[6:7], v[10:11], 3, s[4:5]
	global_store_b64 v[6:7], v[16:17], off
	s_wait_xcnt 0x0
	s_or_b32 exec_lo, exec_lo, s19
	s_delay_alu instid0(SALU_CYCLE_1)
	s_mov_b32 s19, exec_lo
	v_cmpx_lt_u64_e64 v[12:13], v[4:5]
	s_cbranch_execz .LBB38_24
.LBB38_52:                              ;   in Loop: Header=BB38_25 Depth=1
	v_lshl_add_u64 v[6:7], v[12:13], 3, s[4:5]
	s_wait_loadcnt 0x0
	global_store_b64 v[6:7], v[20:21], off
	s_branch .LBB38_24
.LBB38_53:                              ;   in Loop: Header=BB38_25 Depth=1
                                        ; implicit-def: $vgpr26_vgpr27
	s_branch .LBB38_35
.LBB38_54:                              ;   in Loop: Header=BB38_25 Depth=1
                                        ; implicit-def: $vgpr28_vgpr29
	s_branch .LBB38_38
.LBB38_55:                              ;   in Loop: Header=BB38_25 Depth=1
                                        ; implicit-def: $vgpr16_vgpr17
	s_branch .LBB38_41
.LBB38_56:                              ;   in Loop: Header=BB38_25 Depth=1
                                        ; implicit-def: $vgpr20_vgpr21
	s_branch .LBB38_44
.LBB38_57:
	s_endpgm
	.section	.rodata,"a",@progbits
	.p2align	6, 0x0
	.amdhsa_kernel _ZN2at6native12_GLOBAL__N_125multi_tensor_apply_kernelINS1_18TensorListMetadataILi3EEENS1_32PointwiseOpScalar0dTensorFunctorIdLi3ELi2ELi0EEEJSt10multipliesIdEdEEEvT_T0_DpT1_
		.amdhsa_group_segment_fixed_size 0
		.amdhsa_private_segment_fixed_size 0
		.amdhsa_kernarg_size 3416
		.amdhsa_user_sgpr_count 2
		.amdhsa_user_sgpr_dispatch_ptr 0
		.amdhsa_user_sgpr_queue_ptr 0
		.amdhsa_user_sgpr_kernarg_segment_ptr 1
		.amdhsa_user_sgpr_dispatch_id 0
		.amdhsa_user_sgpr_kernarg_preload_length 0
		.amdhsa_user_sgpr_kernarg_preload_offset 0
		.amdhsa_user_sgpr_private_segment_size 0
		.amdhsa_wavefront_size32 1
		.amdhsa_uses_dynamic_stack 0
		.amdhsa_enable_private_segment 0
		.amdhsa_system_sgpr_workgroup_id_x 1
		.amdhsa_system_sgpr_workgroup_id_y 0
		.amdhsa_system_sgpr_workgroup_id_z 0
		.amdhsa_system_sgpr_workgroup_info 0
		.amdhsa_system_vgpr_workitem_id 0
		.amdhsa_next_free_vgpr 34
		.amdhsa_next_free_sgpr 25
		.amdhsa_named_barrier_count 0
		.amdhsa_reserve_vcc 1
		.amdhsa_float_round_mode_32 0
		.amdhsa_float_round_mode_16_64 0
		.amdhsa_float_denorm_mode_32 3
		.amdhsa_float_denorm_mode_16_64 3
		.amdhsa_fp16_overflow 0
		.amdhsa_memory_ordered 1
		.amdhsa_forward_progress 1
		.amdhsa_inst_pref_size 13
		.amdhsa_round_robin_scheduling 0
		.amdhsa_exception_fp_ieee_invalid_op 0
		.amdhsa_exception_fp_denorm_src 0
		.amdhsa_exception_fp_ieee_div_zero 0
		.amdhsa_exception_fp_ieee_overflow 0
		.amdhsa_exception_fp_ieee_underflow 0
		.amdhsa_exception_fp_ieee_inexact 0
		.amdhsa_exception_int_div_zero 0
	.end_amdhsa_kernel
	.section	.text._ZN2at6native12_GLOBAL__N_125multi_tensor_apply_kernelINS1_18TensorListMetadataILi3EEENS1_32PointwiseOpScalar0dTensorFunctorIdLi3ELi2ELi0EEEJSt10multipliesIdEdEEEvT_T0_DpT1_,"axG",@progbits,_ZN2at6native12_GLOBAL__N_125multi_tensor_apply_kernelINS1_18TensorListMetadataILi3EEENS1_32PointwiseOpScalar0dTensorFunctorIdLi3ELi2ELi0EEEJSt10multipliesIdEdEEEvT_T0_DpT1_,comdat
.Lfunc_end38:
	.size	_ZN2at6native12_GLOBAL__N_125multi_tensor_apply_kernelINS1_18TensorListMetadataILi3EEENS1_32PointwiseOpScalar0dTensorFunctorIdLi3ELi2ELi0EEEJSt10multipliesIdEdEEEvT_T0_DpT1_, .Lfunc_end38-_ZN2at6native12_GLOBAL__N_125multi_tensor_apply_kernelINS1_18TensorListMetadataILi3EEENS1_32PointwiseOpScalar0dTensorFunctorIdLi3ELi2ELi0EEEJSt10multipliesIdEdEEEvT_T0_DpT1_
                                        ; -- End function
	.set _ZN2at6native12_GLOBAL__N_125multi_tensor_apply_kernelINS1_18TensorListMetadataILi3EEENS1_32PointwiseOpScalar0dTensorFunctorIdLi3ELi2ELi0EEEJSt10multipliesIdEdEEEvT_T0_DpT1_.num_vgpr, 34
	.set _ZN2at6native12_GLOBAL__N_125multi_tensor_apply_kernelINS1_18TensorListMetadataILi3EEENS1_32PointwiseOpScalar0dTensorFunctorIdLi3ELi2ELi0EEEJSt10multipliesIdEdEEEvT_T0_DpT1_.num_agpr, 0
	.set _ZN2at6native12_GLOBAL__N_125multi_tensor_apply_kernelINS1_18TensorListMetadataILi3EEENS1_32PointwiseOpScalar0dTensorFunctorIdLi3ELi2ELi0EEEJSt10multipliesIdEdEEEvT_T0_DpT1_.numbered_sgpr, 25
	.set _ZN2at6native12_GLOBAL__N_125multi_tensor_apply_kernelINS1_18TensorListMetadataILi3EEENS1_32PointwiseOpScalar0dTensorFunctorIdLi3ELi2ELi0EEEJSt10multipliesIdEdEEEvT_T0_DpT1_.num_named_barrier, 0
	.set _ZN2at6native12_GLOBAL__N_125multi_tensor_apply_kernelINS1_18TensorListMetadataILi3EEENS1_32PointwiseOpScalar0dTensorFunctorIdLi3ELi2ELi0EEEJSt10multipliesIdEdEEEvT_T0_DpT1_.private_seg_size, 0
	.set _ZN2at6native12_GLOBAL__N_125multi_tensor_apply_kernelINS1_18TensorListMetadataILi3EEENS1_32PointwiseOpScalar0dTensorFunctorIdLi3ELi2ELi0EEEJSt10multipliesIdEdEEEvT_T0_DpT1_.uses_vcc, 1
	.set _ZN2at6native12_GLOBAL__N_125multi_tensor_apply_kernelINS1_18TensorListMetadataILi3EEENS1_32PointwiseOpScalar0dTensorFunctorIdLi3ELi2ELi0EEEJSt10multipliesIdEdEEEvT_T0_DpT1_.uses_flat_scratch, 0
	.set _ZN2at6native12_GLOBAL__N_125multi_tensor_apply_kernelINS1_18TensorListMetadataILi3EEENS1_32PointwiseOpScalar0dTensorFunctorIdLi3ELi2ELi0EEEJSt10multipliesIdEdEEEvT_T0_DpT1_.has_dyn_sized_stack, 0
	.set _ZN2at6native12_GLOBAL__N_125multi_tensor_apply_kernelINS1_18TensorListMetadataILi3EEENS1_32PointwiseOpScalar0dTensorFunctorIdLi3ELi2ELi0EEEJSt10multipliesIdEdEEEvT_T0_DpT1_.has_recursion, 0
	.set _ZN2at6native12_GLOBAL__N_125multi_tensor_apply_kernelINS1_18TensorListMetadataILi3EEENS1_32PointwiseOpScalar0dTensorFunctorIdLi3ELi2ELi0EEEJSt10multipliesIdEdEEEvT_T0_DpT1_.has_indirect_call, 0
	.section	.AMDGPU.csdata,"",@progbits
; Kernel info:
; codeLenInByte = 1636
; TotalNumSgprs: 27
; NumVgprs: 34
; ScratchSize: 0
; MemoryBound: 1
; FloatMode: 240
; IeeeMode: 1
; LDSByteSize: 0 bytes/workgroup (compile time only)
; SGPRBlocks: 0
; VGPRBlocks: 2
; NumSGPRsForWavesPerEU: 27
; NumVGPRsForWavesPerEU: 34
; NamedBarCnt: 0
; Occupancy: 16
; WaveLimiterHint : 0
; COMPUTE_PGM_RSRC2:SCRATCH_EN: 0
; COMPUTE_PGM_RSRC2:USER_SGPR: 2
; COMPUTE_PGM_RSRC2:TRAP_HANDLER: 0
; COMPUTE_PGM_RSRC2:TGID_X_EN: 1
; COMPUTE_PGM_RSRC2:TGID_Y_EN: 0
; COMPUTE_PGM_RSRC2:TGID_Z_EN: 0
; COMPUTE_PGM_RSRC2:TIDIG_COMP_CNT: 0
	.section	.text._ZN2at6native12_GLOBAL__N_125multi_tensor_apply_kernelINS1_18TensorListMetadataILi3EEENS1_32PointwiseOpScalar0dTensorFunctorIfLi3ELi2ELi0EEEJSt10multipliesIfEfEEEvT_T0_DpT1_,"axG",@progbits,_ZN2at6native12_GLOBAL__N_125multi_tensor_apply_kernelINS1_18TensorListMetadataILi3EEENS1_32PointwiseOpScalar0dTensorFunctorIfLi3ELi2ELi0EEEJSt10multipliesIfEfEEEvT_T0_DpT1_,comdat
	.globl	_ZN2at6native12_GLOBAL__N_125multi_tensor_apply_kernelINS1_18TensorListMetadataILi3EEENS1_32PointwiseOpScalar0dTensorFunctorIfLi3ELi2ELi0EEEJSt10multipliesIfEfEEEvT_T0_DpT1_ ; -- Begin function _ZN2at6native12_GLOBAL__N_125multi_tensor_apply_kernelINS1_18TensorListMetadataILi3EEENS1_32PointwiseOpScalar0dTensorFunctorIfLi3ELi2ELi0EEEJSt10multipliesIfEfEEEvT_T0_DpT1_
	.p2align	8
	.type	_ZN2at6native12_GLOBAL__N_125multi_tensor_apply_kernelINS1_18TensorListMetadataILi3EEENS1_32PointwiseOpScalar0dTensorFunctorIfLi3ELi2ELi0EEEJSt10multipliesIfEfEEEvT_T0_DpT1_,@function
_ZN2at6native12_GLOBAL__N_125multi_tensor_apply_kernelINS1_18TensorListMetadataILi3EEENS1_32PointwiseOpScalar0dTensorFunctorIfLi3ELi2ELi0EEEJSt10multipliesIfEfEEEvT_T0_DpT1_: ; @_ZN2at6native12_GLOBAL__N_125multi_tensor_apply_kernelINS1_18TensorListMetadataILi3EEENS1_32PointwiseOpScalar0dTensorFunctorIfLi3ELi2ELi0EEEJSt10multipliesIfEfEEEvT_T0_DpT1_
; %bb.0:
	s_bfe_u32 s2, ttmp6, 0x4000c
	s_and_b32 s3, ttmp6, 15
	s_add_co_i32 s2, s2, 1
	s_getreg_b32 s4, hwreg(HW_REG_IB_STS2, 6, 4)
	s_mul_i32 s2, ttmp9, s2
	s_mov_b32 s15, 0
	s_add_co_i32 s3, s3, s2
	s_cmp_eq_u32 s4, 0
	s_cselect_b32 s14, ttmp9, s3
	s_delay_alu instid0(SALU_CYCLE_1) | instskip(SKIP_1) | instid1(SALU_CYCLE_1)
	s_add_nc_u64 s[2:3], s[0:1], s[14:15]
	s_mul_u64 s[4:5], s[14:15], 3
	s_add_nc_u64 s[2:3], s[2:3], s[4:5]
	s_clause 0x1
	s_load_b32 s16, s[2:3], 0x740
	s_load_u8 s4, s[0:1], s14 offset:0x600
	s_wait_kmcnt 0x0
	s_clause 0x3
	s_load_b64 s[10:11], s[0:1], s4 offset:0x180 scale_offset
	s_load_b64 s[12:13], s[0:1], s4 offset:0x300 scale_offset
	;; [unrolled: 1-line block ×4, first 2 shown]
	s_ashr_i32 s17, s16, 31
	s_delay_alu instid0(SALU_CYCLE_1)
	s_lshl_b64 s[2:3], s[16:17], 18
	s_wait_kmcnt 0x0
	s_add_nc_u64 s[6:7], s[10:11], s[2:3]
	s_add_nc_u64 s[4:5], s[12:13], s[2:3]
	s_load_b32 s10, s[10:11], 0x0
	s_or_b32 s8, s4, s6
	s_add_nc_u64 s[6:7], s[18:19], s[2:3]
	s_and_b32 s8, s8, 15
	s_and_b64 s[22:23], s[6:7], 15
	s_cmp_lg_u32 s8, 0
	s_load_b32 s8, s[0:1], 0xc4c
	s_cselect_b32 s9, -1, 0
	s_and_b32 s14, s20, 3
	s_lshl_b64 s[16:17], s[16:17], 16
	s_or_b64 s[14:15], s[22:23], s[14:15]
	s_delay_alu instid0(SALU_CYCLE_1) | instskip(SKIP_3) | instid1(SALU_CYCLE_1)
	s_cmp_lg_u64 s[14:15], 0
	s_sub_nc_u64 s[14:15], s[20:21], s[16:17]
	s_wait_xcnt 0x0
	s_cselect_b32 s11, -1, 0
	s_or_b32 s9, s9, s11
	s_delay_alu instid0(SALU_CYCLE_1)
	s_and_not1_b32 vcc_lo, exec_lo, s9
	s_mov_b32 s9, -1
	s_cbranch_vccz .LBB39_5
; %bb.1:
	v_min_i64 v[2:3], 0x10000, s[14:15]
	v_dual_mov_b32 v9, 0 :: v_dual_lshlrev_b32 v8, 2, v0
	s_mov_b32 s22, exec_lo
	s_delay_alu instid0(VALU_DEP_1)
	v_cmpx_lt_i64_e64 v[8:9], v[2:3]
	s_cbranch_execz .LBB39_4
; %bb.2:
	s_load_b32 s16, s[0:1], 0xc5c
	v_dual_mov_b32 v1, v9 :: v_dual_lshlrev_b32 v8, 4, v0
	s_wait_kmcnt 0x0
	s_mov_b32 s11, s10
	s_mov_b32 s9, s8
	s_cmp_eq_f32 s8, 1.0
	v_mov_b64_e32 v[4:5], s[10:11]
	v_mov_b64_e32 v[6:7], s[8:9]
	v_add_nc_u64_e32 v[8:9], s[2:3], v[8:9]
	v_mov_b64_e32 v[10:11], v[0:1]
	s_mov_b32 s17, 0
	s_cselect_b32 vcc_lo, -1, 0
	s_add_nc_u64 s[18:19], s[18:19], 8
	s_mov_b32 s21, s17
	s_mov_b32 s3, s17
	s_and_b32 s16, s16, 0xffff
	s_delay_alu instid0(SALU_CYCLE_1)
	s_lshl_b32 s20, s16, 4
.LBB39_3:                               ; =>This Inner Loop Header: Depth=1
	v_add_nc_u64_e32 v[20:21], s[12:13], v[8:9]
	v_add_nc_u64_e32 v[22:23], s[18:19], v[8:9]
	;; [unrolled: 1-line block ×4, first 2 shown]
	global_load_b128 v[12:15], v[20:21], off
	global_load_b128 v[16:19], v[22:23], off offset:-8
	s_wait_xcnt 0x1
	v_lshlrev_b64_e32 v[20:21], 2, v[10:11]
	s_delay_alu instid0(VALU_DEP_1)
	v_cmp_ge_i64_e64 s2, v[20:21], v[2:3]
	s_or_b32 s3, s2, s3
	s_wait_loadcnt 0x1
	v_pk_mul_f32 v[24:25], v[4:5], v[12:13]
	v_pk_mul_f32 v[26:27], v[4:5], v[14:15]
	s_wait_loadcnt 0x0
	v_pk_fma_f32 v[12:13], v[4:5], v[12:13], v[16:17]
	v_pk_fma_f32 v[14:15], v[4:5], v[14:15], v[18:19]
	;; [unrolled: 1-line block ×4, first 2 shown]
	s_delay_alu instid0(VALU_DEP_2) | instskip(NEXT) | instid1(VALU_DEP_2)
	v_dual_cndmask_b32 v13, v17, v13 :: v_dual_cndmask_b32 v12, v16, v12
	v_dual_cndmask_b32 v15, v19, v15 :: v_dual_cndmask_b32 v14, v18, v14
	global_store_b128 v[22:23], v[12:15], off offset:-8
	s_wait_xcnt 0x0
	s_and_not1_b32 exec_lo, exec_lo, s3
	s_cbranch_execnz .LBB39_3
.LBB39_4:
	s_or_b32 exec_lo, exec_lo, s22
	s_mov_b32 s9, 0
.LBB39_5:
	s_delay_alu instid0(SALU_CYCLE_1)
	s_and_not1_b32 vcc_lo, exec_lo, s9
	s_cbranch_vccnz .LBB39_25
; %bb.6:
	v_cmp_lt_i64_e64 s2, s[14:15], 1
	s_and_b32 vcc_lo, exec_lo, s2
	s_cbranch_vccnz .LBB39_25
; %bb.7:
	v_min_i64 v[2:3], 0x10000, s[14:15]
	v_min_u64 v[4:5], 0x10000, s[14:15]
	s_load_b32 s0, s[0:1], 0xc5c
	v_mov_b32_e32 v1, 0
	s_mov_b32 s3, 0
	s_mov_b64 s[18:19], 0
	s_mov_b32 s13, s3
	s_mov_b32 s15, s3
	;; [unrolled: 1-line block ×3, first 2 shown]
	s_wait_kmcnt 0x0
	s_and_b32 s2, s0, 0xffff
	s_cmp_eq_f32 s8, 1.0
	s_mul_i32 s14, s2, 3
	s_cselect_b32 s0, -1, 0
	s_lshl_b32 s12, s2, 1
	s_lshl_b32 s16, s2, 2
	s_branch .LBB39_9
.LBB39_8:                               ;   in Loop: Header=BB39_9 Depth=1
	s_wait_xcnt 0x0
	s_or_b32 exec_lo, exec_lo, s1
	s_add_nc_u64 s[18:19], s[18:19], s[16:17]
	s_delay_alu instid0(SALU_CYCLE_1)
	v_cmp_ge_i64_e32 vcc_lo, s[18:19], v[2:3]
	s_cbranch_vccnz .LBB39_25
.LBB39_9:                               ; =>This Inner Loop Header: Depth=1
	v_add_nc_u64_e32 v[6:7], s[18:19], v[0:1]
	s_wait_loadcnt 0x0
	v_dual_mov_b32 v16, 0 :: v_dual_mov_b32 v15, 0
	s_mov_b32 s1, exec_lo
	s_delay_alu instid0(VALU_DEP_2)
	v_cmpx_lt_i64_e64 v[6:7], v[2:3]
	s_cbranch_execz .LBB39_11
; %bb.10:                               ;   in Loop: Header=BB39_9 Depth=1
	v_lshlrev_b64_e32 v[8:9], 2, v[6:7]
	s_delay_alu instid0(VALU_DEP_1)
	v_add_nc_u64_e32 v[10:11], s[6:7], v[8:9]
	v_add_nc_u64_e32 v[8:9], s[4:5], v[8:9]
	global_load_b32 v15, v[10:11], off
	global_load_b32 v16, v[8:9], off
.LBB39_11:                              ;   in Loop: Header=BB39_9 Depth=1
	s_wait_xcnt 0x0
	s_or_b32 exec_lo, exec_lo, s1
	v_add_nc_u64_e32 v[8:9], s[2:3], v[6:7]
	v_dual_mov_b32 v14, 0 :: v_dual_mov_b32 v18, 0
	v_mov_b32_e32 v17, 0
	s_mov_b32 s1, exec_lo
	s_delay_alu instid0(VALU_DEP_3)
	v_cmpx_lt_i64_e64 v[8:9], v[2:3]
	s_cbranch_execz .LBB39_13
; %bb.12:                               ;   in Loop: Header=BB39_9 Depth=1
	v_lshlrev_b64_e32 v[10:11], 2, v[8:9]
	s_delay_alu instid0(VALU_DEP_1)
	v_add_nc_u64_e32 v[12:13], s[6:7], v[10:11]
	v_add_nc_u64_e32 v[10:11], s[4:5], v[10:11]
	global_load_b32 v17, v[12:13], off
	global_load_b32 v18, v[10:11], off
.LBB39_13:                              ;   in Loop: Header=BB39_9 Depth=1
	s_wait_xcnt 0x0
	s_or_b32 exec_lo, exec_lo, s1
	v_add_nc_u64_e32 v[10:11], s[12:13], v[6:7]
	v_mov_b32_e32 v19, 0
	s_mov_b32 s1, exec_lo
	s_delay_alu instid0(VALU_DEP_2)
	v_cmpx_lt_i64_e64 v[10:11], v[2:3]
	s_cbranch_execz .LBB39_15
; %bb.14:                               ;   in Loop: Header=BB39_9 Depth=1
	v_lshlrev_b64_e32 v[12:13], 2, v[10:11]
	s_delay_alu instid0(VALU_DEP_1)
	v_add_nc_u64_e32 v[20:21], s[6:7], v[12:13]
	v_add_nc_u64_e32 v[12:13], s[4:5], v[12:13]
	global_load_b32 v19, v[20:21], off
	global_load_b32 v14, v[12:13], off
.LBB39_15:                              ;   in Loop: Header=BB39_9 Depth=1
	s_wait_xcnt 0x0
	s_or_b32 exec_lo, exec_lo, s1
	v_add_nc_u64_e32 v[12:13], s[14:15], v[6:7]
	v_dual_mov_b32 v21, 0 :: v_dual_mov_b32 v20, 0
	s_mov_b32 s1, exec_lo
	s_delay_alu instid0(VALU_DEP_2)
	v_cmpx_lt_i64_e64 v[12:13], v[2:3]
	s_cbranch_execnz .LBB39_20
; %bb.16:                               ;   in Loop: Header=BB39_9 Depth=1
	s_or_b32 exec_lo, exec_lo, s1
	s_delay_alu instid0(SALU_CYCLE_1)
	s_mov_b32 s1, exec_lo
	v_cmpx_lt_u64_e64 v[6:7], v[4:5]
	s_cbranch_execnz .LBB39_21
.LBB39_17:                              ;   in Loop: Header=BB39_9 Depth=1
	s_or_b32 exec_lo, exec_lo, s1
	s_delay_alu instid0(SALU_CYCLE_1)
	s_mov_b32 s1, exec_lo
	v_cmpx_lt_u64_e64 v[8:9], v[4:5]
	s_cbranch_execnz .LBB39_22
.LBB39_18:                              ;   in Loop: Header=BB39_9 Depth=1
	s_or_b32 exec_lo, exec_lo, s1
	s_delay_alu instid0(SALU_CYCLE_1)
	s_mov_b32 s1, exec_lo
	v_cmpx_lt_u64_e64 v[10:11], v[4:5]
	s_cbranch_execnz .LBB39_23
.LBB39_19:                              ;   in Loop: Header=BB39_9 Depth=1
	s_or_b32 exec_lo, exec_lo, s1
	s_delay_alu instid0(SALU_CYCLE_1)
	s_mov_b32 s1, exec_lo
	v_cmpx_lt_u64_e64 v[12:13], v[4:5]
	s_cbranch_execz .LBB39_8
	s_branch .LBB39_24
.LBB39_20:                              ;   in Loop: Header=BB39_9 Depth=1
	v_lshlrev_b64_e32 v[20:21], 2, v[12:13]
	s_delay_alu instid0(VALU_DEP_1)
	v_add_nc_u64_e32 v[22:23], s[6:7], v[20:21]
	v_add_nc_u64_e32 v[24:25], s[4:5], v[20:21]
	global_load_b32 v20, v[22:23], off
	global_load_b32 v21, v[24:25], off
	s_wait_xcnt 0x0
	s_or_b32 exec_lo, exec_lo, s1
	s_delay_alu instid0(SALU_CYCLE_1)
	s_mov_b32 s1, exec_lo
	v_cmpx_lt_u64_e64 v[6:7], v[4:5]
	s_cbranch_execz .LBB39_17
.LBB39_21:                              ;   in Loop: Header=BB39_9 Depth=1
	s_wait_loadcnt 0x0
	v_dual_mul_f32 v22, s10, v16 :: v_dual_fma_f32 v16, s10, v16, v15
	v_lshl_add_u64 v[6:7], v[6:7], 2, s[6:7]
	s_delay_alu instid0(VALU_DEP_2) | instskip(NEXT) | instid1(VALU_DEP_1)
	v_fmac_f32_e32 v15, s8, v22
	v_cndmask_b32_e64 v15, v15, v16, s0
	global_store_b32 v[6:7], v15, off
	s_wait_xcnt 0x0
	s_or_b32 exec_lo, exec_lo, s1
	s_delay_alu instid0(SALU_CYCLE_1)
	s_mov_b32 s1, exec_lo
	v_cmpx_lt_u64_e64 v[8:9], v[4:5]
	s_cbranch_execz .LBB39_18
.LBB39_22:                              ;   in Loop: Header=BB39_9 Depth=1
	s_wait_loadcnt 0x0
	v_dual_mul_f32 v6, s10, v18 :: v_dual_fma_f32 v7, s10, v18, v17
	s_delay_alu instid0(VALU_DEP_1) | instskip(NEXT) | instid1(VALU_DEP_1)
	v_fmac_f32_e32 v17, s8, v6
	v_cndmask_b32_e64 v15, v17, v7, s0
	v_lshl_add_u64 v[6:7], v[8:9], 2, s[6:7]
	global_store_b32 v[6:7], v15, off
	s_wait_xcnt 0x0
	s_or_b32 exec_lo, exec_lo, s1
	s_delay_alu instid0(SALU_CYCLE_1)
	s_mov_b32 s1, exec_lo
	v_cmpx_lt_u64_e64 v[10:11], v[4:5]
	s_cbranch_execz .LBB39_19
.LBB39_23:                              ;   in Loop: Header=BB39_9 Depth=1
	s_wait_loadcnt 0x0
	v_dual_mul_f32 v6, s10, v14 :: v_dual_fma_f32 v7, s10, v14, v19
	s_delay_alu instid0(VALU_DEP_1) | instskip(NEXT) | instid1(VALU_DEP_1)
	v_fmac_f32_e32 v19, s8, v6
	v_cndmask_b32_e64 v8, v19, v7, s0
	v_lshl_add_u64 v[6:7], v[10:11], 2, s[6:7]
	global_store_b32 v[6:7], v8, off
	s_wait_xcnt 0x0
	s_or_b32 exec_lo, exec_lo, s1
	s_delay_alu instid0(SALU_CYCLE_1)
	s_mov_b32 s1, exec_lo
	v_cmpx_lt_u64_e64 v[12:13], v[4:5]
	s_cbranch_execz .LBB39_8
.LBB39_24:                              ;   in Loop: Header=BB39_9 Depth=1
	s_wait_loadcnt 0x0
	v_dual_mul_f32 v6, s10, v21 :: v_dual_fma_f32 v7, s10, v21, v20
	s_delay_alu instid0(VALU_DEP_1) | instskip(NEXT) | instid1(VALU_DEP_1)
	v_fmac_f32_e32 v20, s8, v6
	v_cndmask_b32_e64 v8, v20, v7, s0
	v_lshl_add_u64 v[6:7], v[12:13], 2, s[6:7]
	global_store_b32 v[6:7], v8, off
	s_branch .LBB39_8
.LBB39_25:
	s_endpgm
	.section	.rodata,"a",@progbits
	.p2align	6, 0x0
	.amdhsa_kernel _ZN2at6native12_GLOBAL__N_125multi_tensor_apply_kernelINS1_18TensorListMetadataILi3EEENS1_32PointwiseOpScalar0dTensorFunctorIfLi3ELi2ELi0EEEJSt10multipliesIfEfEEEvT_T0_DpT1_
		.amdhsa_group_segment_fixed_size 0
		.amdhsa_private_segment_fixed_size 0
		.amdhsa_kernarg_size 3408
		.amdhsa_user_sgpr_count 2
		.amdhsa_user_sgpr_dispatch_ptr 0
		.amdhsa_user_sgpr_queue_ptr 0
		.amdhsa_user_sgpr_kernarg_segment_ptr 1
		.amdhsa_user_sgpr_dispatch_id 0
		.amdhsa_user_sgpr_kernarg_preload_length 0
		.amdhsa_user_sgpr_kernarg_preload_offset 0
		.amdhsa_user_sgpr_private_segment_size 0
		.amdhsa_wavefront_size32 1
		.amdhsa_uses_dynamic_stack 0
		.amdhsa_enable_private_segment 0
		.amdhsa_system_sgpr_workgroup_id_x 1
		.amdhsa_system_sgpr_workgroup_id_y 0
		.amdhsa_system_sgpr_workgroup_id_z 0
		.amdhsa_system_sgpr_workgroup_info 0
		.amdhsa_system_vgpr_workitem_id 0
		.amdhsa_next_free_vgpr 28
		.amdhsa_next_free_sgpr 24
		.amdhsa_named_barrier_count 0
		.amdhsa_reserve_vcc 1
		.amdhsa_float_round_mode_32 0
		.amdhsa_float_round_mode_16_64 0
		.amdhsa_float_denorm_mode_32 3
		.amdhsa_float_denorm_mode_16_64 3
		.amdhsa_fp16_overflow 0
		.amdhsa_memory_ordered 1
		.amdhsa_forward_progress 1
		.amdhsa_inst_pref_size 12
		.amdhsa_round_robin_scheduling 0
		.amdhsa_exception_fp_ieee_invalid_op 0
		.amdhsa_exception_fp_denorm_src 0
		.amdhsa_exception_fp_ieee_div_zero 0
		.amdhsa_exception_fp_ieee_overflow 0
		.amdhsa_exception_fp_ieee_underflow 0
		.amdhsa_exception_fp_ieee_inexact 0
		.amdhsa_exception_int_div_zero 0
	.end_amdhsa_kernel
	.section	.text._ZN2at6native12_GLOBAL__N_125multi_tensor_apply_kernelINS1_18TensorListMetadataILi3EEENS1_32PointwiseOpScalar0dTensorFunctorIfLi3ELi2ELi0EEEJSt10multipliesIfEfEEEvT_T0_DpT1_,"axG",@progbits,_ZN2at6native12_GLOBAL__N_125multi_tensor_apply_kernelINS1_18TensorListMetadataILi3EEENS1_32PointwiseOpScalar0dTensorFunctorIfLi3ELi2ELi0EEEJSt10multipliesIfEfEEEvT_T0_DpT1_,comdat
.Lfunc_end39:
	.size	_ZN2at6native12_GLOBAL__N_125multi_tensor_apply_kernelINS1_18TensorListMetadataILi3EEENS1_32PointwiseOpScalar0dTensorFunctorIfLi3ELi2ELi0EEEJSt10multipliesIfEfEEEvT_T0_DpT1_, .Lfunc_end39-_ZN2at6native12_GLOBAL__N_125multi_tensor_apply_kernelINS1_18TensorListMetadataILi3EEENS1_32PointwiseOpScalar0dTensorFunctorIfLi3ELi2ELi0EEEJSt10multipliesIfEfEEEvT_T0_DpT1_
                                        ; -- End function
	.set _ZN2at6native12_GLOBAL__N_125multi_tensor_apply_kernelINS1_18TensorListMetadataILi3EEENS1_32PointwiseOpScalar0dTensorFunctorIfLi3ELi2ELi0EEEJSt10multipliesIfEfEEEvT_T0_DpT1_.num_vgpr, 28
	.set _ZN2at6native12_GLOBAL__N_125multi_tensor_apply_kernelINS1_18TensorListMetadataILi3EEENS1_32PointwiseOpScalar0dTensorFunctorIfLi3ELi2ELi0EEEJSt10multipliesIfEfEEEvT_T0_DpT1_.num_agpr, 0
	.set _ZN2at6native12_GLOBAL__N_125multi_tensor_apply_kernelINS1_18TensorListMetadataILi3EEENS1_32PointwiseOpScalar0dTensorFunctorIfLi3ELi2ELi0EEEJSt10multipliesIfEfEEEvT_T0_DpT1_.numbered_sgpr, 24
	.set _ZN2at6native12_GLOBAL__N_125multi_tensor_apply_kernelINS1_18TensorListMetadataILi3EEENS1_32PointwiseOpScalar0dTensorFunctorIfLi3ELi2ELi0EEEJSt10multipliesIfEfEEEvT_T0_DpT1_.num_named_barrier, 0
	.set _ZN2at6native12_GLOBAL__N_125multi_tensor_apply_kernelINS1_18TensorListMetadataILi3EEENS1_32PointwiseOpScalar0dTensorFunctorIfLi3ELi2ELi0EEEJSt10multipliesIfEfEEEvT_T0_DpT1_.private_seg_size, 0
	.set _ZN2at6native12_GLOBAL__N_125multi_tensor_apply_kernelINS1_18TensorListMetadataILi3EEENS1_32PointwiseOpScalar0dTensorFunctorIfLi3ELi2ELi0EEEJSt10multipliesIfEfEEEvT_T0_DpT1_.uses_vcc, 1
	.set _ZN2at6native12_GLOBAL__N_125multi_tensor_apply_kernelINS1_18TensorListMetadataILi3EEENS1_32PointwiseOpScalar0dTensorFunctorIfLi3ELi2ELi0EEEJSt10multipliesIfEfEEEvT_T0_DpT1_.uses_flat_scratch, 0
	.set _ZN2at6native12_GLOBAL__N_125multi_tensor_apply_kernelINS1_18TensorListMetadataILi3EEENS1_32PointwiseOpScalar0dTensorFunctorIfLi3ELi2ELi0EEEJSt10multipliesIfEfEEEvT_T0_DpT1_.has_dyn_sized_stack, 0
	.set _ZN2at6native12_GLOBAL__N_125multi_tensor_apply_kernelINS1_18TensorListMetadataILi3EEENS1_32PointwiseOpScalar0dTensorFunctorIfLi3ELi2ELi0EEEJSt10multipliesIfEfEEEvT_T0_DpT1_.has_recursion, 0
	.set _ZN2at6native12_GLOBAL__N_125multi_tensor_apply_kernelINS1_18TensorListMetadataILi3EEENS1_32PointwiseOpScalar0dTensorFunctorIfLi3ELi2ELi0EEEJSt10multipliesIfEfEEEvT_T0_DpT1_.has_indirect_call, 0
	.section	.AMDGPU.csdata,"",@progbits
; Kernel info:
; codeLenInByte = 1420
; TotalNumSgprs: 26
; NumVgprs: 28
; ScratchSize: 0
; MemoryBound: 0
; FloatMode: 240
; IeeeMode: 1
; LDSByteSize: 0 bytes/workgroup (compile time only)
; SGPRBlocks: 0
; VGPRBlocks: 1
; NumSGPRsForWavesPerEU: 26
; NumVGPRsForWavesPerEU: 28
; NamedBarCnt: 0
; Occupancy: 16
; WaveLimiterHint : 0
; COMPUTE_PGM_RSRC2:SCRATCH_EN: 0
; COMPUTE_PGM_RSRC2:USER_SGPR: 2
; COMPUTE_PGM_RSRC2:TRAP_HANDLER: 0
; COMPUTE_PGM_RSRC2:TGID_X_EN: 1
; COMPUTE_PGM_RSRC2:TGID_Y_EN: 0
; COMPUTE_PGM_RSRC2:TGID_Z_EN: 0
; COMPUTE_PGM_RSRC2:TIDIG_COMP_CNT: 0
	.section	.text._ZN2at6native12_GLOBAL__N_125multi_tensor_apply_kernelINS1_18TensorListMetadataILi3EEENS1_32PointwiseOpScalar0dTensorFunctorIN3c107complexIdEELi3ELi2ELi0EEEJSt10multipliesIS8_ES8_EEEvT_T0_DpT1_,"axG",@progbits,_ZN2at6native12_GLOBAL__N_125multi_tensor_apply_kernelINS1_18TensorListMetadataILi3EEENS1_32PointwiseOpScalar0dTensorFunctorIN3c107complexIdEELi3ELi2ELi0EEEJSt10multipliesIS8_ES8_EEEvT_T0_DpT1_,comdat
	.globl	_ZN2at6native12_GLOBAL__N_125multi_tensor_apply_kernelINS1_18TensorListMetadataILi3EEENS1_32PointwiseOpScalar0dTensorFunctorIN3c107complexIdEELi3ELi2ELi0EEEJSt10multipliesIS8_ES8_EEEvT_T0_DpT1_ ; -- Begin function _ZN2at6native12_GLOBAL__N_125multi_tensor_apply_kernelINS1_18TensorListMetadataILi3EEENS1_32PointwiseOpScalar0dTensorFunctorIN3c107complexIdEELi3ELi2ELi0EEEJSt10multipliesIS8_ES8_EEEvT_T0_DpT1_
	.p2align	8
	.type	_ZN2at6native12_GLOBAL__N_125multi_tensor_apply_kernelINS1_18TensorListMetadataILi3EEENS1_32PointwiseOpScalar0dTensorFunctorIN3c107complexIdEELi3ELi2ELi0EEEJSt10multipliesIS8_ES8_EEEvT_T0_DpT1_,@function
_ZN2at6native12_GLOBAL__N_125multi_tensor_apply_kernelINS1_18TensorListMetadataILi3EEENS1_32PointwiseOpScalar0dTensorFunctorIN3c107complexIdEELi3ELi2ELi0EEEJSt10multipliesIS8_ES8_EEEvT_T0_DpT1_: ; @_ZN2at6native12_GLOBAL__N_125multi_tensor_apply_kernelINS1_18TensorListMetadataILi3EEENS1_32PointwiseOpScalar0dTensorFunctorIN3c107complexIdEELi3ELi2ELi0EEEJSt10multipliesIS8_ES8_EEEvT_T0_DpT1_
; %bb.0:
	s_bfe_u32 s2, ttmp6, 0x4000c
	s_and_b32 s3, ttmp6, 15
	s_add_co_i32 s2, s2, 1
	s_getreg_b32 s4, hwreg(HW_REG_IB_STS2, 6, 4)
	s_mul_i32 s2, ttmp9, s2
	s_mov_b32 s15, 0
	s_add_co_i32 s3, s3, s2
	s_cmp_eq_u32 s4, 0
	s_cselect_b32 s14, ttmp9, s3
	s_delay_alu instid0(SALU_CYCLE_1) | instskip(SKIP_1) | instid1(SALU_CYCLE_1)
	s_add_nc_u64 s[2:3], s[0:1], s[14:15]
	s_mul_u64 s[4:5], s[14:15], 3
	s_add_nc_u64 s[2:3], s[2:3], s[4:5]
	s_clause 0x1
	s_load_b32 s4, s[2:3], 0x740
	s_load_u8 s5, s[0:1], s14 offset:0x600
	s_wait_kmcnt 0x0
	s_clause 0x3
	s_load_b64 s[8:9], s[0:1], s5 offset:0x180 scale_offset
	s_load_b64 s[2:3], s[0:1], s5 offset:0x300 scale_offset
	;; [unrolled: 1-line block ×4, first 2 shown]
	s_wait_xcnt 0x0
	s_ashr_i32 s5, s4, 31
	s_delay_alu instid0(SALU_CYCLE_1) | instskip(SKIP_4) | instid1(SALU_CYCLE_1)
	s_lshl_b64 s[10:11], s[4:5], 20
	s_lshl_b64 s[18:19], s[4:5], 16
	s_wait_kmcnt 0x0
	s_add_nc_u64 s[12:13], s[8:9], s[10:11]
	s_add_nc_u64 s[2:3], s[2:3], s[10:11]
	s_or_b32 s4, s2, s12
	s_add_nc_u64 s[12:13], s[6:7], s[10:11]
	s_and_b32 s4, s4, 63
	s_and_b64 s[20:21], s[12:13], 63
	s_cmp_lg_u32 s4, 0
	s_load_b128 s[4:7], s[0:1], 0xc50
	s_cselect_b32 s22, -1, 0
	s_load_b128 s[8:11], s[8:9], 0x0
	s_and_b32 s14, s16, 3
	s_delay_alu instid0(SALU_CYCLE_1) | instskip(NEXT) | instid1(SALU_CYCLE_1)
	s_or_b64 s[14:15], s[20:21], s[14:15]
	s_cmp_lg_u64 s[14:15], 0
	s_cselect_b32 s14, -1, 0
	s_delay_alu instid0(SALU_CYCLE_1)
	s_or_b32 s20, s22, s14
	s_sub_nc_u64 s[14:15], s[16:17], s[18:19]
	s_and_not1_b32 vcc_lo, exec_lo, s20
	s_mov_b32 s16, -1
	s_cbranch_vccz .LBB40_13
; %bb.1:
	v_min_i64 v[30:31], 0x10000, s[14:15]
	v_dual_mov_b32 v33, 0 :: v_dual_lshlrev_b32 v32, 2, v0
	s_mov_b32 s24, exec_lo
	s_delay_alu instid0(VALU_DEP_1)
	v_cmpx_lt_i64_e64 v[32:33], v[30:31]
	s_cbranch_execz .LBB40_12
; %bb.2:
	s_wait_kmcnt 0x0
	v_cmp_neq_f64_e64 s20, s[4:5], 1.0
	v_cmp_neq_f64_e64 s21, s[6:7], 0
	s_load_b32 s16, s[0:1], 0xc6c
	v_dual_mov_b32 v1, v33 :: v_dual_lshlrev_b32 v32, 6, v0
	s_mov_b32 s17, 0
	s_mov_b64 s[22:23], s[2:3]
	s_mov_b32 s19, s17
	s_delay_alu instid0(VALU_DEP_1) | instskip(SKIP_3) | instid1(SALU_CYCLE_1)
	v_mov_b64_e32 v[34:35], v[0:1]
	s_mov_b32 s26, s17
	s_wait_kmcnt 0x0
	s_and_b32 s16, s16, 0xffff
	s_lshl_b32 s18, s16, 6
	s_or_b32 s25, s20, s21
	s_mov_b64 s[20:21], s[12:13]
	s_branch .LBB40_4
.LBB40_3:                               ;   in Loop: Header=BB40_4 Depth=1
	v_add_f64_e32 v[12:13], v[12:13], v[38:39]
	v_add_f64_e32 v[10:11], v[10:11], v[40:41]
	;; [unrolled: 1-line block ×8, first 2 shown]
	v_add_nc_u64_e32 v[34:35], s[16:17], v[34:35]
	s_add_nc_u64 s[22:23], s[22:23], s[18:19]
	s_add_nc_u64 s[20:21], s[20:21], s[18:19]
	s_clause 0x3
	global_store_b128 v[36:37], v[10:13], off
	global_store_b128 v[36:37], v[6:9], off offset:16
	global_store_b128 v[36:37], v[14:17], off offset:32
	;; [unrolled: 1-line block ×3, first 2 shown]
	v_lshlrev_b64_e32 v[18:19], 2, v[34:35]
	s_delay_alu instid0(VALU_DEP_1)
	v_cmp_ge_i64_e32 vcc_lo, v[18:19], v[30:31]
	s_or_b32 s26, vcc_lo, s26
	s_wait_xcnt 0x0
	s_and_not1_b32 exec_lo, exec_lo, s26
	s_cbranch_execz .LBB40_12
.LBB40_4:                               ; =>This Inner Loop Header: Depth=1
	v_add_nc_u64_e32 v[38:39], s[22:23], v[32:33]
	v_add_nc_u64_e32 v[36:37], s[20:21], v[32:33]
	s_and_not1_b32 vcc_lo, exec_lo, s25
	s_clause 0x1
	global_load_b128 v[42:45], v[38:39], off
	global_load_b128 v[26:29], v[38:39], off offset:16
	s_clause 0x3
	global_load_b128 v[2:5], v[36:37], off offset:48
	global_load_b128 v[14:17], v[36:37], off offset:32
	global_load_b128 v[6:9], v[36:37], off offset:16
	global_load_b128 v[10:13], v[36:37], off
	s_clause 0x1
	global_load_b128 v[18:21], v[38:39], off offset:48
	global_load_b128 v[22:25], v[38:39], off offset:32
	s_wait_loadcnt 0x7
	v_mul_f64_e32 v[40:41], s[10:11], v[44:45]
	s_wait_xcnt 0x0
	v_mul_f64_e32 v[38:39], s[8:9], v[44:45]
	s_delay_alu instid0(VALU_DEP_2) | instskip(NEXT) | instid1(VALU_DEP_2)
	v_fma_f64 v[40:41], s[8:9], v[42:43], -v[40:41]
	v_fmac_f64_e32 v[38:39], s[10:11], v[42:43]
	s_cbranch_vccnz .LBB40_6
; %bb.5:                                ;   in Loop: Header=BB40_4 Depth=1
	s_delay_alu instid0(VALU_DEP_2) | instskip(NEXT) | instid1(VALU_DEP_2)
	v_mul_f64_e32 v[44:45], s[6:7], v[40:41]
	v_mul_f64_e32 v[42:43], s[6:7], v[38:39]
	s_delay_alu instid0(VALU_DEP_2) | instskip(NEXT) | instid1(VALU_DEP_2)
	v_fmac_f64_e32 v[44:45], s[4:5], v[38:39]
	v_fma_f64 v[40:41], s[4:5], v[40:41], -v[42:43]
	s_delay_alu instid0(VALU_DEP_2)
	v_mov_b64_e32 v[38:39], v[44:45]
.LBB40_6:                               ;   in Loop: Header=BB40_4 Depth=1
	s_wait_loadcnt 0x6
	v_mul_f64_e32 v[44:45], s[10:11], v[28:29]
	v_mul_f64_e32 v[42:43], s[8:9], v[28:29]
	s_and_not1_b32 vcc_lo, exec_lo, s25
	s_delay_alu instid0(VALU_DEP_2) | instskip(NEXT) | instid1(VALU_DEP_2)
	v_fma_f64 v[28:29], s[8:9], v[26:27], -v[44:45]
	v_fmac_f64_e32 v[42:43], s[10:11], v[26:27]
	s_cbranch_vccnz .LBB40_8
; %bb.7:                                ;   in Loop: Header=BB40_4 Depth=1
	s_delay_alu instid0(VALU_DEP_2) | instskip(NEXT) | instid1(VALU_DEP_2)
	v_mul_f64_e32 v[44:45], s[6:7], v[28:29]
	v_mul_f64_e32 v[26:27], s[6:7], v[42:43]
	s_delay_alu instid0(VALU_DEP_2) | instskip(NEXT) | instid1(VALU_DEP_2)
	v_fmac_f64_e32 v[44:45], s[4:5], v[42:43]
	v_fma_f64 v[28:29], s[4:5], v[28:29], -v[26:27]
	s_delay_alu instid0(VALU_DEP_2)
	v_mov_b64_e32 v[42:43], v[44:45]
.LBB40_8:                               ;   in Loop: Header=BB40_4 Depth=1
	s_wait_loadcnt 0x0
	v_mul_f64_e32 v[26:27], s[10:11], v[24:25]
	v_mul_f64_e32 v[24:25], s[8:9], v[24:25]
	s_and_not1_b32 vcc_lo, exec_lo, s25
	s_delay_alu instid0(VALU_DEP_2) | instskip(NEXT) | instid1(VALU_DEP_2)
	v_fma_f64 v[26:27], s[8:9], v[22:23], -v[26:27]
	v_fmac_f64_e32 v[24:25], s[10:11], v[22:23]
	s_cbranch_vccnz .LBB40_10
; %bb.9:                                ;   in Loop: Header=BB40_4 Depth=1
	s_delay_alu instid0(VALU_DEP_2) | instskip(NEXT) | instid1(VALU_DEP_2)
	v_mul_f64_e32 v[44:45], s[6:7], v[26:27]
	v_mul_f64_e32 v[22:23], s[6:7], v[24:25]
	s_delay_alu instid0(VALU_DEP_2) | instskip(NEXT) | instid1(VALU_DEP_2)
	v_fmac_f64_e32 v[44:45], s[4:5], v[24:25]
	v_fma_f64 v[26:27], s[4:5], v[26:27], -v[22:23]
	s_delay_alu instid0(VALU_DEP_2)
	v_mov_b64_e32 v[24:25], v[44:45]
.LBB40_10:                              ;   in Loop: Header=BB40_4 Depth=1
	v_mul_f64_e32 v[22:23], s[10:11], v[20:21]
	v_mul_f64_e32 v[20:21], s[8:9], v[20:21]
	s_and_not1_b32 vcc_lo, exec_lo, s25
	s_delay_alu instid0(VALU_DEP_2) | instskip(NEXT) | instid1(VALU_DEP_2)
	v_fma_f64 v[22:23], s[8:9], v[18:19], -v[22:23]
	v_fmac_f64_e32 v[20:21], s[10:11], v[18:19]
	s_cbranch_vccnz .LBB40_3
; %bb.11:                               ;   in Loop: Header=BB40_4 Depth=1
	s_delay_alu instid0(VALU_DEP_2) | instskip(NEXT) | instid1(VALU_DEP_2)
	v_mul_f64_e32 v[44:45], s[6:7], v[22:23]
	v_mul_f64_e32 v[18:19], s[6:7], v[20:21]
	s_delay_alu instid0(VALU_DEP_2) | instskip(NEXT) | instid1(VALU_DEP_2)
	v_fmac_f64_e32 v[44:45], s[4:5], v[20:21]
	v_fma_f64 v[22:23], s[4:5], v[22:23], -v[18:19]
	s_delay_alu instid0(VALU_DEP_2)
	v_mov_b64_e32 v[20:21], v[44:45]
	s_branch .LBB40_3
.LBB40_12:
	s_or_b32 exec_lo, exec_lo, s24
	s_mov_b32 s16, 0
.LBB40_13:
	s_delay_alu instid0(SALU_CYCLE_1)
	s_and_not1_b32 vcc_lo, exec_lo, s16
	s_cbranch_vccnz .LBB40_41
; %bb.14:
	v_cmp_lt_i64_e64 s16, s[14:15], 1
	s_and_b32 vcc_lo, exec_lo, s16
	s_cbranch_vccnz .LBB40_41
; %bb.15:
	s_wait_kmcnt 0x0
	v_cmp_neq_f64_e64 s21, s[4:5], 1.0
	v_cmp_neq_f64_e64 s22, s[6:7], 0
	v_min_i64 v[34:35], 0x10000, s[14:15]
	v_min_u64 v[36:37], 0x10000, s[14:15]
	s_load_b32 s0, s[0:1], 0xc6c
	v_mov_b32_e32 v1, 0
	s_wait_xcnt 0x0
	s_mov_b32 s1, 0
	s_mov_b64 s[14:15], 0
	s_mov_b32 s17, s1
	s_mov_b32 s19, s1
	s_wait_kmcnt 0x0
	s_and_b32 s0, s0, 0xffff
	s_delay_alu instid0(SALU_CYCLE_1)
	s_lshl_b32 s16, s0, 1
	s_mul_i32 s18, s0, 3
	s_lshl_b32 s20, s0, 2
	s_or_b32 s22, s21, s22
	s_mov_b32 s21, s1
	s_branch .LBB40_17
.LBB40_16:                              ;   in Loop: Header=BB40_17 Depth=1
	s_wait_xcnt 0x0
	s_or_b32 exec_lo, exec_lo, s23
	s_add_nc_u64 s[14:15], s[14:15], s[20:21]
	s_delay_alu instid0(SALU_CYCLE_1)
	v_cmp_ge_i64_e32 vcc_lo, s[14:15], v[34:35]
	s_cbranch_vccnz .LBB40_41
.LBB40_17:                              ; =>This Inner Loop Header: Depth=1
	v_add_nc_u64_e32 v[38:39], s[14:15], v[0:1]
	v_mov_b64_e32 v[20:21], 0
	v_mov_b64_e32 v[24:25], 0
	;; [unrolled: 1-line block ×5, first 2 shown]
	s_mov_b32 s23, exec_lo
	v_cmpx_lt_i64_e64 v[38:39], v[34:35]
	s_cbranch_execz .LBB40_19
; %bb.18:                               ;   in Loop: Header=BB40_17 Depth=1
	v_lshlrev_b64_e32 v[2:3], 4, v[38:39]
	s_delay_alu instid0(VALU_DEP_1)
	v_add_nc_u64_e32 v[6:7], s[12:13], v[2:3]
	v_add_nc_u64_e32 v[8:9], s[2:3], v[2:3]
	global_load_b128 v[2:5], v[6:7], off
	global_load_b128 v[22:25], v[8:9], off
.LBB40_19:                              ;   in Loop: Header=BB40_17 Depth=1
	s_wait_xcnt 0x0
	s_or_b32 exec_lo, exec_lo, s23
	v_add_nc_u64_e32 v[40:41], s[0:1], v[38:39]
	v_mov_b64_e32 v[18:19], 0
	v_mov_b64_e32 v[8:9], 0
	;; [unrolled: 1-line block ×3, first 2 shown]
	s_mov_b32 s23, exec_lo
	s_delay_alu instid0(VALU_DEP_4)
	v_cmpx_lt_i64_e64 v[40:41], v[34:35]
	s_cbranch_execz .LBB40_21
; %bb.20:                               ;   in Loop: Header=BB40_17 Depth=1
	v_lshlrev_b64_e32 v[6:7], 4, v[40:41]
	s_delay_alu instid0(VALU_DEP_1)
	v_add_nc_u64_e32 v[10:11], s[12:13], v[6:7]
	v_add_nc_u64_e32 v[12:13], s[2:3], v[6:7]
	global_load_b128 v[6:9], v[10:11], off
	global_load_b128 v[18:21], v[12:13], off
.LBB40_21:                              ;   in Loop: Header=BB40_17 Depth=1
	s_wait_xcnt 0x0
	s_or_b32 exec_lo, exec_lo, s23
	v_add_nc_u64_e32 v[42:43], s[16:17], v[38:39]
	v_mov_b64_e32 v[28:29], 0
	v_mov_b64_e32 v[32:33], 0
	;; [unrolled: 1-line block ×5, first 2 shown]
	s_mov_b32 s23, exec_lo
	v_cmpx_lt_i64_e64 v[42:43], v[34:35]
	s_cbranch_execz .LBB40_23
; %bb.22:                               ;   in Loop: Header=BB40_17 Depth=1
	v_lshlrev_b64_e32 v[10:11], 4, v[42:43]
	s_delay_alu instid0(VALU_DEP_1)
	v_add_nc_u64_e32 v[14:15], s[12:13], v[10:11]
	v_add_nc_u64_e32 v[16:17], s[2:3], v[10:11]
	global_load_b128 v[10:13], v[14:15], off
	global_load_b128 v[30:33], v[16:17], off
.LBB40_23:                              ;   in Loop: Header=BB40_17 Depth=1
	s_wait_xcnt 0x0
	s_or_b32 exec_lo, exec_lo, s23
	v_add_nc_u64_e32 v[44:45], s[18:19], v[38:39]
	v_mov_b64_e32 v[26:27], 0
	v_mov_b64_e32 v[16:17], 0
	;; [unrolled: 1-line block ×3, first 2 shown]
	s_mov_b32 s23, exec_lo
	s_delay_alu instid0(VALU_DEP_4)
	v_cmpx_lt_i64_e64 v[44:45], v[34:35]
	s_cbranch_execz .LBB40_25
; %bb.24:                               ;   in Loop: Header=BB40_17 Depth=1
	v_lshlrev_b64_e32 v[14:15], 4, v[44:45]
	s_delay_alu instid0(VALU_DEP_1)
	v_add_nc_u64_e32 v[46:47], s[12:13], v[14:15]
	v_add_nc_u64_e32 v[48:49], s[2:3], v[14:15]
	global_load_b128 v[14:17], v[46:47], off
	global_load_b128 v[26:29], v[48:49], off
.LBB40_25:                              ;   in Loop: Header=BB40_17 Depth=1
	s_wait_xcnt 0x0
	s_or_b32 exec_lo, exec_lo, s23
	s_wait_loadcnt 0x0
	v_mul_f64_e32 v[48:49], s[10:11], v[24:25]
	v_mul_f64_e32 v[46:47], s[10:11], v[22:23]
	s_and_b32 vcc_lo, exec_lo, s22
	s_delay_alu instid0(VALU_DEP_2) | instskip(NEXT) | instid1(VALU_DEP_2)
	v_fma_f64 v[22:23], s[8:9], v[22:23], -v[48:49]
	v_fmac_f64_e32 v[46:47], s[8:9], v[24:25]
	s_cbranch_vccz .LBB40_27
; %bb.26:                               ;   in Loop: Header=BB40_17 Depth=1
	s_delay_alu instid0(VALU_DEP_2) | instskip(NEXT) | instid1(VALU_DEP_2)
	v_mul_f64_e32 v[48:49], s[6:7], v[22:23]
	v_mul_f64_e32 v[24:25], s[6:7], v[46:47]
	s_delay_alu instid0(VALU_DEP_2) | instskip(NEXT) | instid1(VALU_DEP_2)
	v_fmac_f64_e32 v[48:49], s[4:5], v[46:47]
	v_fma_f64 v[22:23], s[4:5], v[22:23], -v[24:25]
	s_delay_alu instid0(VALU_DEP_2)
	v_mov_b64_e32 v[46:47], v[48:49]
.LBB40_27:                              ;   in Loop: Header=BB40_17 Depth=1
	v_mul_f64_e32 v[48:49], s[10:11], v[20:21]
	v_mul_f64_e32 v[24:25], s[10:11], v[18:19]
	s_and_not1_b32 vcc_lo, exec_lo, s22
	s_delay_alu instid0(VALU_DEP_2) | instskip(NEXT) | instid1(VALU_DEP_2)
	v_fma_f64 v[18:19], s[8:9], v[18:19], -v[48:49]
	v_fmac_f64_e32 v[24:25], s[8:9], v[20:21]
	s_cbranch_vccnz .LBB40_29
; %bb.28:                               ;   in Loop: Header=BB40_17 Depth=1
	s_delay_alu instid0(VALU_DEP_2) | instskip(NEXT) | instid1(VALU_DEP_2)
	v_mul_f64_e32 v[48:49], s[6:7], v[18:19]
	v_mul_f64_e32 v[20:21], s[6:7], v[24:25]
	s_delay_alu instid0(VALU_DEP_2) | instskip(NEXT) | instid1(VALU_DEP_2)
	v_fmac_f64_e32 v[48:49], s[4:5], v[24:25]
	v_fma_f64 v[18:19], s[4:5], v[18:19], -v[20:21]
	s_delay_alu instid0(VALU_DEP_2)
	v_mov_b64_e32 v[24:25], v[48:49]
.LBB40_29:                              ;   in Loop: Header=BB40_17 Depth=1
	v_mul_f64_e32 v[48:49], s[10:11], v[32:33]
	v_mul_f64_e32 v[20:21], s[10:11], v[30:31]
	s_and_not1_b32 vcc_lo, exec_lo, s22
	s_delay_alu instid0(VALU_DEP_2) | instskip(NEXT) | instid1(VALU_DEP_2)
	v_fma_f64 v[30:31], s[8:9], v[30:31], -v[48:49]
	v_fmac_f64_e32 v[20:21], s[8:9], v[32:33]
	s_cbranch_vccnz .LBB40_31
; %bb.30:                               ;   in Loop: Header=BB40_17 Depth=1
	s_delay_alu instid0(VALU_DEP_2) | instskip(NEXT) | instid1(VALU_DEP_2)
	v_mul_f64_e32 v[48:49], s[6:7], v[30:31]
	v_mul_f64_e32 v[32:33], s[6:7], v[20:21]
	s_delay_alu instid0(VALU_DEP_2) | instskip(NEXT) | instid1(VALU_DEP_2)
	v_fmac_f64_e32 v[48:49], s[4:5], v[20:21]
	v_fma_f64 v[30:31], s[4:5], v[30:31], -v[32:33]
	s_delay_alu instid0(VALU_DEP_2)
	v_mov_b64_e32 v[20:21], v[48:49]
.LBB40_31:                              ;   in Loop: Header=BB40_17 Depth=1
	v_mul_f64_e32 v[48:49], s[10:11], v[28:29]
	v_mul_f64_e32 v[32:33], s[10:11], v[26:27]
	s_and_not1_b32 vcc_lo, exec_lo, s22
	s_delay_alu instid0(VALU_DEP_2) | instskip(NEXT) | instid1(VALU_DEP_2)
	v_fma_f64 v[26:27], s[8:9], v[26:27], -v[48:49]
	v_fmac_f64_e32 v[32:33], s[8:9], v[28:29]
	s_cbranch_vccz .LBB40_36
; %bb.32:                               ;   in Loop: Header=BB40_17 Depth=1
	s_mov_b32 s23, exec_lo
	v_cmpx_lt_u64_e64 v[38:39], v[36:37]
	s_xor_b32 s23, exec_lo, s23
	s_cbranch_execnz .LBB40_37
.LBB40_33:                              ;   in Loop: Header=BB40_17 Depth=1
	s_or_b32 exec_lo, exec_lo, s23
	s_delay_alu instid0(SALU_CYCLE_1)
	s_mov_b32 s23, exec_lo
	v_cmpx_lt_u64_e64 v[40:41], v[36:37]
	s_cbranch_execnz .LBB40_38
.LBB40_34:                              ;   in Loop: Header=BB40_17 Depth=1
	s_or_b32 exec_lo, exec_lo, s23
	s_delay_alu instid0(SALU_CYCLE_1)
	s_mov_b32 s23, exec_lo
	v_cmpx_lt_u64_e64 v[42:43], v[36:37]
	s_cbranch_execnz .LBB40_39
.LBB40_35:                              ;   in Loop: Header=BB40_17 Depth=1
	s_or_b32 exec_lo, exec_lo, s23
	s_delay_alu instid0(SALU_CYCLE_1)
	s_mov_b32 s23, exec_lo
	v_cmpx_lt_u64_e64 v[44:45], v[36:37]
	s_cbranch_execz .LBB40_16
	s_branch .LBB40_40
.LBB40_36:                              ;   in Loop: Header=BB40_17 Depth=1
	s_delay_alu instid0(VALU_DEP_2) | instskip(NEXT) | instid1(VALU_DEP_2)
	v_mul_f64_e32 v[48:49], s[6:7], v[26:27]
	v_mul_f64_e32 v[28:29], s[6:7], v[32:33]
	s_delay_alu instid0(VALU_DEP_2) | instskip(NEXT) | instid1(VALU_DEP_2)
	v_fmac_f64_e32 v[48:49], s[4:5], v[32:33]
	v_fma_f64 v[26:27], s[4:5], v[26:27], -v[28:29]
	s_delay_alu instid0(VALU_DEP_2)
	v_mov_b64_e32 v[32:33], v[48:49]
	s_mov_b32 s23, exec_lo
	v_cmpx_lt_u64_e64 v[38:39], v[36:37]
	s_xor_b32 s23, exec_lo, s23
	s_cbranch_execz .LBB40_33
.LBB40_37:                              ;   in Loop: Header=BB40_17 Depth=1
	v_add_f64_e32 v[4:5], v[4:5], v[46:47]
	v_add_f64_e32 v[2:3], v[2:3], v[22:23]
	v_lshl_add_u64 v[22:23], v[38:39], 4, s[12:13]
	global_store_b128 v[22:23], v[2:5], off
	s_wait_xcnt 0x0
	s_or_b32 exec_lo, exec_lo, s23
	s_delay_alu instid0(SALU_CYCLE_1)
	s_mov_b32 s23, exec_lo
	v_cmpx_lt_u64_e64 v[40:41], v[36:37]
	s_cbranch_execz .LBB40_34
.LBB40_38:                              ;   in Loop: Header=BB40_17 Depth=1
	v_add_f64_e32 v[4:5], v[8:9], v[24:25]
	v_add_f64_e32 v[2:3], v[6:7], v[18:19]
	v_lshl_add_u64 v[6:7], v[40:41], 4, s[12:13]
	global_store_b128 v[6:7], v[2:5], off
	s_wait_xcnt 0x0
	s_or_b32 exec_lo, exec_lo, s23
	s_delay_alu instid0(SALU_CYCLE_1)
	s_mov_b32 s23, exec_lo
	v_cmpx_lt_u64_e64 v[42:43], v[36:37]
	s_cbranch_execz .LBB40_35
.LBB40_39:                              ;   in Loop: Header=BB40_17 Depth=1
	v_add_f64_e32 v[4:5], v[12:13], v[20:21]
	v_add_f64_e32 v[2:3], v[10:11], v[30:31]
	v_lshl_add_u64 v[6:7], v[42:43], 4, s[12:13]
	global_store_b128 v[6:7], v[2:5], off
	s_wait_xcnt 0x0
	s_or_b32 exec_lo, exec_lo, s23
	s_delay_alu instid0(SALU_CYCLE_1)
	s_mov_b32 s23, exec_lo
	v_cmpx_lt_u64_e64 v[44:45], v[36:37]
	s_cbranch_execz .LBB40_16
.LBB40_40:                              ;   in Loop: Header=BB40_17 Depth=1
	v_add_f64_e32 v[4:5], v[16:17], v[32:33]
	v_add_f64_e32 v[2:3], v[14:15], v[26:27]
	v_lshl_add_u64 v[6:7], v[44:45], 4, s[12:13]
	global_store_b128 v[6:7], v[2:5], off
	s_branch .LBB40_16
.LBB40_41:
	s_endpgm
	.section	.rodata,"a",@progbits
	.p2align	6, 0x0
	.amdhsa_kernel _ZN2at6native12_GLOBAL__N_125multi_tensor_apply_kernelINS1_18TensorListMetadataILi3EEENS1_32PointwiseOpScalar0dTensorFunctorIN3c107complexIdEELi3ELi2ELi0EEEJSt10multipliesIS8_ES8_EEEvT_T0_DpT1_
		.amdhsa_group_segment_fixed_size 0
		.amdhsa_private_segment_fixed_size 0
		.amdhsa_kernarg_size 3424
		.amdhsa_user_sgpr_count 2
		.amdhsa_user_sgpr_dispatch_ptr 0
		.amdhsa_user_sgpr_queue_ptr 0
		.amdhsa_user_sgpr_kernarg_segment_ptr 1
		.amdhsa_user_sgpr_dispatch_id 0
		.amdhsa_user_sgpr_kernarg_preload_length 0
		.amdhsa_user_sgpr_kernarg_preload_offset 0
		.amdhsa_user_sgpr_private_segment_size 0
		.amdhsa_wavefront_size32 1
		.amdhsa_uses_dynamic_stack 0
		.amdhsa_enable_private_segment 0
		.amdhsa_system_sgpr_workgroup_id_x 1
		.amdhsa_system_sgpr_workgroup_id_y 0
		.amdhsa_system_sgpr_workgroup_id_z 0
		.amdhsa_system_sgpr_workgroup_info 0
		.amdhsa_system_vgpr_workitem_id 0
		.amdhsa_next_free_vgpr 50
		.amdhsa_next_free_sgpr 27
		.amdhsa_named_barrier_count 0
		.amdhsa_reserve_vcc 1
		.amdhsa_float_round_mode_32 0
		.amdhsa_float_round_mode_16_64 0
		.amdhsa_float_denorm_mode_32 3
		.amdhsa_float_denorm_mode_16_64 3
		.amdhsa_fp16_overflow 0
		.amdhsa_memory_ordered 1
		.amdhsa_forward_progress 1
		.amdhsa_inst_pref_size 16
		.amdhsa_round_robin_scheduling 0
		.amdhsa_exception_fp_ieee_invalid_op 0
		.amdhsa_exception_fp_denorm_src 0
		.amdhsa_exception_fp_ieee_div_zero 0
		.amdhsa_exception_fp_ieee_overflow 0
		.amdhsa_exception_fp_ieee_underflow 0
		.amdhsa_exception_fp_ieee_inexact 0
		.amdhsa_exception_int_div_zero 0
	.end_amdhsa_kernel
	.section	.text._ZN2at6native12_GLOBAL__N_125multi_tensor_apply_kernelINS1_18TensorListMetadataILi3EEENS1_32PointwiseOpScalar0dTensorFunctorIN3c107complexIdEELi3ELi2ELi0EEEJSt10multipliesIS8_ES8_EEEvT_T0_DpT1_,"axG",@progbits,_ZN2at6native12_GLOBAL__N_125multi_tensor_apply_kernelINS1_18TensorListMetadataILi3EEENS1_32PointwiseOpScalar0dTensorFunctorIN3c107complexIdEELi3ELi2ELi0EEEJSt10multipliesIS8_ES8_EEEvT_T0_DpT1_,comdat
.Lfunc_end40:
	.size	_ZN2at6native12_GLOBAL__N_125multi_tensor_apply_kernelINS1_18TensorListMetadataILi3EEENS1_32PointwiseOpScalar0dTensorFunctorIN3c107complexIdEELi3ELi2ELi0EEEJSt10multipliesIS8_ES8_EEEvT_T0_DpT1_, .Lfunc_end40-_ZN2at6native12_GLOBAL__N_125multi_tensor_apply_kernelINS1_18TensorListMetadataILi3EEENS1_32PointwiseOpScalar0dTensorFunctorIN3c107complexIdEELi3ELi2ELi0EEEJSt10multipliesIS8_ES8_EEEvT_T0_DpT1_
                                        ; -- End function
	.set _ZN2at6native12_GLOBAL__N_125multi_tensor_apply_kernelINS1_18TensorListMetadataILi3EEENS1_32PointwiseOpScalar0dTensorFunctorIN3c107complexIdEELi3ELi2ELi0EEEJSt10multipliesIS8_ES8_EEEvT_T0_DpT1_.num_vgpr, 50
	.set _ZN2at6native12_GLOBAL__N_125multi_tensor_apply_kernelINS1_18TensorListMetadataILi3EEENS1_32PointwiseOpScalar0dTensorFunctorIN3c107complexIdEELi3ELi2ELi0EEEJSt10multipliesIS8_ES8_EEEvT_T0_DpT1_.num_agpr, 0
	.set _ZN2at6native12_GLOBAL__N_125multi_tensor_apply_kernelINS1_18TensorListMetadataILi3EEENS1_32PointwiseOpScalar0dTensorFunctorIN3c107complexIdEELi3ELi2ELi0EEEJSt10multipliesIS8_ES8_EEEvT_T0_DpT1_.numbered_sgpr, 27
	.set _ZN2at6native12_GLOBAL__N_125multi_tensor_apply_kernelINS1_18TensorListMetadataILi3EEENS1_32PointwiseOpScalar0dTensorFunctorIN3c107complexIdEELi3ELi2ELi0EEEJSt10multipliesIS8_ES8_EEEvT_T0_DpT1_.num_named_barrier, 0
	.set _ZN2at6native12_GLOBAL__N_125multi_tensor_apply_kernelINS1_18TensorListMetadataILi3EEENS1_32PointwiseOpScalar0dTensorFunctorIN3c107complexIdEELi3ELi2ELi0EEEJSt10multipliesIS8_ES8_EEEvT_T0_DpT1_.private_seg_size, 0
	.set _ZN2at6native12_GLOBAL__N_125multi_tensor_apply_kernelINS1_18TensorListMetadataILi3EEENS1_32PointwiseOpScalar0dTensorFunctorIN3c107complexIdEELi3ELi2ELi0EEEJSt10multipliesIS8_ES8_EEEvT_T0_DpT1_.uses_vcc, 1
	.set _ZN2at6native12_GLOBAL__N_125multi_tensor_apply_kernelINS1_18TensorListMetadataILi3EEENS1_32PointwiseOpScalar0dTensorFunctorIN3c107complexIdEELi3ELi2ELi0EEEJSt10multipliesIS8_ES8_EEEvT_T0_DpT1_.uses_flat_scratch, 0
	.set _ZN2at6native12_GLOBAL__N_125multi_tensor_apply_kernelINS1_18TensorListMetadataILi3EEENS1_32PointwiseOpScalar0dTensorFunctorIN3c107complexIdEELi3ELi2ELi0EEEJSt10multipliesIS8_ES8_EEEvT_T0_DpT1_.has_dyn_sized_stack, 0
	.set _ZN2at6native12_GLOBAL__N_125multi_tensor_apply_kernelINS1_18TensorListMetadataILi3EEENS1_32PointwiseOpScalar0dTensorFunctorIN3c107complexIdEELi3ELi2ELi0EEEJSt10multipliesIS8_ES8_EEEvT_T0_DpT1_.has_recursion, 0
	.set _ZN2at6native12_GLOBAL__N_125multi_tensor_apply_kernelINS1_18TensorListMetadataILi3EEENS1_32PointwiseOpScalar0dTensorFunctorIN3c107complexIdEELi3ELi2ELi0EEEJSt10multipliesIS8_ES8_EEEvT_T0_DpT1_.has_indirect_call, 0
	.section	.AMDGPU.csdata,"",@progbits
; Kernel info:
; codeLenInByte = 2008
; TotalNumSgprs: 29
; NumVgprs: 50
; ScratchSize: 0
; MemoryBound: 1
; FloatMode: 240
; IeeeMode: 1
; LDSByteSize: 0 bytes/workgroup (compile time only)
; SGPRBlocks: 0
; VGPRBlocks: 3
; NumSGPRsForWavesPerEU: 29
; NumVGPRsForWavesPerEU: 50
; NamedBarCnt: 0
; Occupancy: 16
; WaveLimiterHint : 0
; COMPUTE_PGM_RSRC2:SCRATCH_EN: 0
; COMPUTE_PGM_RSRC2:USER_SGPR: 2
; COMPUTE_PGM_RSRC2:TRAP_HANDLER: 0
; COMPUTE_PGM_RSRC2:TGID_X_EN: 1
; COMPUTE_PGM_RSRC2:TGID_Y_EN: 0
; COMPUTE_PGM_RSRC2:TGID_Z_EN: 0
; COMPUTE_PGM_RSRC2:TIDIG_COMP_CNT: 0
	.section	.text._ZN2at6native12_GLOBAL__N_125multi_tensor_apply_kernelINS1_18TensorListMetadataILi3EEENS1_32PointwiseOpScalar0dTensorFunctorIN3c107complexIfEELi3ELi2ELi0EEEJSt10multipliesIS8_ES8_EEEvT_T0_DpT1_,"axG",@progbits,_ZN2at6native12_GLOBAL__N_125multi_tensor_apply_kernelINS1_18TensorListMetadataILi3EEENS1_32PointwiseOpScalar0dTensorFunctorIN3c107complexIfEELi3ELi2ELi0EEEJSt10multipliesIS8_ES8_EEEvT_T0_DpT1_,comdat
	.globl	_ZN2at6native12_GLOBAL__N_125multi_tensor_apply_kernelINS1_18TensorListMetadataILi3EEENS1_32PointwiseOpScalar0dTensorFunctorIN3c107complexIfEELi3ELi2ELi0EEEJSt10multipliesIS8_ES8_EEEvT_T0_DpT1_ ; -- Begin function _ZN2at6native12_GLOBAL__N_125multi_tensor_apply_kernelINS1_18TensorListMetadataILi3EEENS1_32PointwiseOpScalar0dTensorFunctorIN3c107complexIfEELi3ELi2ELi0EEEJSt10multipliesIS8_ES8_EEEvT_T0_DpT1_
	.p2align	8
	.type	_ZN2at6native12_GLOBAL__N_125multi_tensor_apply_kernelINS1_18TensorListMetadataILi3EEENS1_32PointwiseOpScalar0dTensorFunctorIN3c107complexIfEELi3ELi2ELi0EEEJSt10multipliesIS8_ES8_EEEvT_T0_DpT1_,@function
_ZN2at6native12_GLOBAL__N_125multi_tensor_apply_kernelINS1_18TensorListMetadataILi3EEENS1_32PointwiseOpScalar0dTensorFunctorIN3c107complexIfEELi3ELi2ELi0EEEJSt10multipliesIS8_ES8_EEEvT_T0_DpT1_: ; @_ZN2at6native12_GLOBAL__N_125multi_tensor_apply_kernelINS1_18TensorListMetadataILi3EEENS1_32PointwiseOpScalar0dTensorFunctorIN3c107complexIfEELi3ELi2ELi0EEEJSt10multipliesIS8_ES8_EEEvT_T0_DpT1_
; %bb.0:
	s_bfe_u32 s2, ttmp6, 0x4000c
	s_and_b32 s3, ttmp6, 15
	s_add_co_i32 s2, s2, 1
	s_getreg_b32 s4, hwreg(HW_REG_IB_STS2, 6, 4)
	s_mul_i32 s2, ttmp9, s2
	s_mov_b32 s13, 0
	s_add_co_i32 s3, s3, s2
	s_cmp_eq_u32 s4, 0
	s_cselect_b32 s12, ttmp9, s3
	s_delay_alu instid0(SALU_CYCLE_1) | instskip(SKIP_1) | instid1(SALU_CYCLE_1)
	s_add_nc_u64 s[2:3], s[0:1], s[12:13]
	s_mul_u64 s[4:5], s[12:13], 3
	s_add_nc_u64 s[2:3], s[2:3], s[4:5]
	s_clause 0x1
	s_load_b32 s6, s[2:3], 0x740
	s_load_u8 s4, s[0:1], s12 offset:0x600
	s_wait_kmcnt 0x0
	s_clause 0x3
	s_load_b64 s[10:11], s[0:1], s4 offset:0x180 scale_offset
	s_load_b64 s[14:15], s[0:1], s4 offset:0x300 scale_offset
	;; [unrolled: 1-line block ×4, first 2 shown]
	s_ashr_i32 s7, s6, 31
	s_delay_alu instid0(SALU_CYCLE_1)
	s_lshl_b64 s[2:3], s[6:7], 19
	s_lshl_b64 s[20:21], s[6:7], 16
	s_wait_kmcnt 0x0
	s_add_nc_u64 s[8:9], s[10:11], s[2:3]
	s_add_nc_u64 s[4:5], s[14:15], s[2:3]
	;; [unrolled: 1-line block ×3, first 2 shown]
	s_or_b32 s8, s4, s8
	s_and_b64 s[22:23], s[6:7], 31
	s_and_b32 s8, s8, 31
	s_load_b64 s[10:11], s[10:11], 0x0
	s_cmp_lg_u32 s8, 0
	s_load_b64 s[8:9], s[0:1], 0xc50
	s_cselect_b32 s24, -1, 0
	s_and_b32 s12, s18, 3
	s_delay_alu instid0(SALU_CYCLE_1) | instskip(NEXT) | instid1(SALU_CYCLE_1)
	s_or_b64 s[12:13], s[22:23], s[12:13]
	s_cmp_lg_u64 s[12:13], 0
	s_cselect_b32 s12, -1, 0
	s_delay_alu instid0(SALU_CYCLE_1)
	s_or_b32 s22, s24, s12
	s_sub_nc_u64 s[12:13], s[18:19], s[20:21]
	s_and_not1_b32 vcc_lo, exec_lo, s22
	s_mov_b32 s18, -1
	s_cbranch_vccz .LBB41_5
; %bb.1:
	v_min_i64 v[2:3], 0x10000, s[12:13]
	v_dual_mov_b32 v11, 0 :: v_dual_lshlrev_b32 v10, 2, v0
	s_mov_b32 s22, exec_lo
	s_delay_alu instid0(VALU_DEP_1)
	v_cmpx_lt_i64_e64 v[10:11], v[2:3]
	s_cbranch_execz .LBB41_4
; %bb.2:
	s_load_b32 s18, s[0:1], 0xc64
	v_dual_mov_b32 v1, v11 :: v_dual_lshlrev_b32 v10, 5, v0
	s_wait_kmcnt 0x0
	s_and_b32 s23, s9, 0x7fffffff
	s_mov_b32 s20, s10
	s_cmp_eq_u32 s23, 0
	s_mov_b32 s21, s10
	s_mov_b32 s24, s11
	;; [unrolled: 1-line block ×5, first 2 shown]
	s_cselect_b32 s23, -1, 0
	s_cmp_eq_f32 s8, 1.0
	v_mov_b64_e32 v[4:5], s[24:25]
	v_mov_b64_e32 v[6:7], s[20:21]
	v_mov_b64_e32 v[8:9], s[26:27]
	v_add_nc_u64_e32 v[10:11], s[2:3], v[10:11]
	v_mov_b64_e32 v[12:13], s[8:9]
	v_mov_b64_e32 v[14:15], v[0:1]
	s_mov_b32 s19, 0
	s_cselect_b32 s20, -1, 0
	s_and_b32 s18, s18, 0xffff
	s_and_b32 vcc_lo, s20, s23
	s_lshl_b32 s20, s18, 5
	s_mov_b32 s21, s19
	s_mov_b32 s3, s19
.LBB41_3:                               ; =>This Inner Loop Header: Depth=1
	v_add_nc_u64_e32 v[24:25], s[14:15], v[10:11]
	v_add_nc_u64_e32 v[32:33], s[16:17], v[10:11]
	;; [unrolled: 1-line block ×4, first 2 shown]
	s_clause 0x1
	global_load_b128 v[16:19], v[24:25], off
	global_load_b128 v[20:23], v[24:25], off offset:16
	s_clause 0x1
	global_load_b128 v[24:27], v[32:33], off
	global_load_b128 v[28:31], v[32:33], off offset:16
	v_lshlrev_b64_e32 v[34:35], 2, v[14:15]
	s_delay_alu instid0(VALU_DEP_1)
	v_cmp_ge_i64_e64 s2, v[34:35], v[2:3]
	s_or_b32 s3, s2, s3
	s_wait_loadcnt 0x3
	v_pk_mul_f32 v[36:37], v[16:17], v[4:5]
	v_pk_mul_f32 v[38:39], v[18:19], v[4:5]
	s_wait_loadcnt 0x2
	v_pk_mul_f32 v[40:41], v[20:21], v[4:5]
	v_pk_mul_f32 v[42:43], v[22:23], v[4:5]
	v_pk_fma_f32 v[44:45], v[16:17], v[6:7], v[36:37] op_sel:[0,0,1] op_sel_hi:[1,1,0] neg_lo:[0,0,1] neg_hi:[0,0,1]
	v_pk_fma_f32 v[16:17], v[16:17], v[6:7], v[36:37] op_sel:[0,0,1] op_sel_hi:[1,1,0]
	v_pk_fma_f32 v[36:37], v[18:19], v[6:7], v[38:39] op_sel:[0,0,1] op_sel_hi:[1,1,0] neg_lo:[0,0,1] neg_hi:[0,0,1]
	v_pk_fma_f32 v[18:19], v[18:19], v[6:7], v[38:39] op_sel:[0,0,1] op_sel_hi:[1,1,0]
	;; [unrolled: 2-line block ×4, first 2 shown]
	v_pk_mul_f32 v[42:43], v[16:17], v[8:9] op_sel:[1,0]
	v_pk_mul_f32 v[46:47], v[18:19], v[8:9] op_sel:[1,0]
	;; [unrolled: 1-line block ×3, first 2 shown]
	s_delay_alu instid0(VALU_DEP_4) | instskip(NEXT) | instid1(VALU_DEP_4)
	v_pk_mul_f32 v[50:51], v[22:23], v[8:9] op_sel:[1,0]
	v_pk_fma_f32 v[52:53], v[44:45], v[12:13], v[42:43] neg_lo:[0,0,1] neg_hi:[0,0,1]
	v_pk_fma_f32 v[42:43], v[44:45], v[12:13], v[42:43] op_sel_hi:[0,1,1]
	v_pk_fma_f32 v[54:55], v[36:37], v[12:13], v[46:47] neg_lo:[0,0,1] neg_hi:[0,0,1]
	v_pk_fma_f32 v[46:47], v[36:37], v[12:13], v[46:47] op_sel_hi:[0,1,1]
	;; [unrolled: 2-line block ×4, first 2 shown]
	v_dual_cndmask_b32 v17, v43, v17 :: v_dual_cndmask_b32 v16, v52, v44
	v_dual_cndmask_b32 v19, v47, v19 :: v_dual_cndmask_b32 v18, v54, v36
	;; [unrolled: 1-line block ×3, first 2 shown]
	s_delay_alu instid0(VALU_DEP_4)
	v_dual_cndmask_b32 v23, v51, v23 :: v_dual_cndmask_b32 v22, v58, v40
	s_wait_loadcnt 0x1
	v_pk_add_f32 v[16:17], v[24:25], v[16:17]
	v_pk_add_f32 v[18:19], v[26:27], v[18:19]
	s_wait_loadcnt 0x0
	v_pk_add_f32 v[20:21], v[28:29], v[20:21]
	v_pk_add_f32 v[22:23], v[30:31], v[22:23]
	s_clause 0x1
	global_store_b128 v[32:33], v[16:19], off
	global_store_b128 v[32:33], v[20:23], off offset:16
	s_wait_xcnt 0x0
	s_and_not1_b32 exec_lo, exec_lo, s3
	s_cbranch_execnz .LBB41_3
.LBB41_4:
	s_or_b32 exec_lo, exec_lo, s22
	s_mov_b32 s18, 0
.LBB41_5:
	s_delay_alu instid0(SALU_CYCLE_1)
	s_and_not1_b32 vcc_lo, exec_lo, s18
	s_cbranch_vccnz .LBB41_25
; %bb.6:
	v_cmp_lt_i64_e64 s2, s[12:13], 1
	s_and_b32 vcc_lo, exec_lo, s2
	s_cbranch_vccnz .LBB41_25
; %bb.7:
	s_wait_xcnt 0x0
	s_load_b32 s0, s[0:1], 0xc64
	v_min_i64 v[2:3], 0x10000, s[12:13]
	v_min_u64 v[4:5], 0x10000, s[12:13]
	v_mov_b32_e32 v1, 0
	s_mov_b32 s3, 0
	s_wait_kmcnt 0x0
	s_mov_b32 s12, s10
	s_mov_b32 s13, s10
	;; [unrolled: 1-line block ×8, first 2 shown]
	s_mov_b64 s[22:23], 0
	s_and_b32 s2, s0, 0xffff
	s_cmp_eq_f32 s8, 1.0
	s_mul_i32 s18, s2, 3
	s_cselect_b32 s0, -1, 0
	s_and_b32 s1, s9, 0x7fffffff
	s_delay_alu instid0(SALU_CYCLE_1)
	s_cmp_eq_u32 s1, 0
	s_cselect_b32 s1, -1, 0
	s_lshl_b32 s16, s2, 1
	s_lshl_b32 s20, s2, 2
	s_and_b32 s0, s0, s1
	s_branch .LBB41_9
.LBB41_8:                               ;   in Loop: Header=BB41_9 Depth=1
	s_wait_xcnt 0x0
	s_or_b32 exec_lo, exec_lo, s1
	s_add_nc_u64 s[22:23], s[22:23], s[20:21]
	s_delay_alu instid0(SALU_CYCLE_1)
	v_cmp_ge_i64_e32 vcc_lo, s[22:23], v[2:3]
	s_cbranch_vccnz .LBB41_25
.LBB41_9:                               ; =>This Inner Loop Header: Depth=1
	v_add_nc_u64_e32 v[14:15], s[22:23], v[0:1]
	s_wait_loadcnt 0x1
	v_dual_mov_b32 v16, 0 :: v_dual_mov_b32 v17, 0
	s_wait_loadcnt 0x0
	v_dual_mov_b32 v24, 0 :: v_dual_mov_b32 v25, 0
	s_mov_b32 s1, exec_lo
	s_delay_alu instid0(VALU_DEP_3)
	v_cmpx_lt_i64_e64 v[14:15], v[2:3]
	s_cbranch_execz .LBB41_11
; %bb.10:                               ;   in Loop: Header=BB41_9 Depth=1
	v_lshlrev_b64_e32 v[6:7], 3, v[14:15]
	s_delay_alu instid0(VALU_DEP_1)
	v_add_nc_u64_e32 v[8:9], s[6:7], v[6:7]
	v_add_nc_u64_e32 v[6:7], s[4:5], v[6:7]
	global_load_b64 v[16:17], v[8:9], off
	global_load_b64 v[24:25], v[6:7], off
.LBB41_11:                              ;   in Loop: Header=BB41_9 Depth=1
	s_wait_xcnt 0x0
	s_or_b32 exec_lo, exec_lo, s1
	v_add_nc_u64_e32 v[8:9], s[2:3], v[14:15]
	v_dual_mov_b32 v6, 0 :: v_dual_mov_b32 v20, 0
	v_dual_mov_b32 v21, 0 :: v_dual_mov_b32 v28, 0
	v_mov_b32_e32 v29, 0
	s_mov_b32 s1, exec_lo
	s_delay_alu instid0(VALU_DEP_4)
	v_cmpx_lt_i64_e64 v[8:9], v[2:3]
	s_cbranch_execz .LBB41_13
; %bb.12:                               ;   in Loop: Header=BB41_9 Depth=1
	v_lshlrev_b64_e32 v[10:11], 3, v[8:9]
	s_delay_alu instid0(VALU_DEP_1)
	v_add_nc_u64_e32 v[12:13], s[6:7], v[10:11]
	v_add_nc_u64_e32 v[10:11], s[4:5], v[10:11]
	global_load_b64 v[20:21], v[12:13], off
	global_load_b64 v[28:29], v[10:11], off
.LBB41_13:                              ;   in Loop: Header=BB41_9 Depth=1
	s_wait_xcnt 0x0
	s_or_b32 exec_lo, exec_lo, s1
	v_add_nc_u64_e32 v[12:13], s[16:17], v[14:15]
	v_dual_mov_b32 v7, 0 :: v_dual_mov_b32 v22, 0
	v_mov_b32_e32 v23, 0
	s_mov_b32 s1, exec_lo
	s_delay_alu instid0(VALU_DEP_3)
	v_cmpx_lt_i64_e64 v[12:13], v[2:3]
	s_cbranch_execz .LBB41_15
; %bb.14:                               ;   in Loop: Header=BB41_9 Depth=1
	v_lshlrev_b64_e32 v[6:7], 3, v[12:13]
	s_delay_alu instid0(VALU_DEP_1)
	v_add_nc_u64_e32 v[10:11], s[6:7], v[6:7]
	v_add_nc_u64_e32 v[18:19], s[4:5], v[6:7]
	global_load_b64 v[6:7], v[10:11], off
	global_load_b64 v[22:23], v[18:19], off
.LBB41_15:                              ;   in Loop: Header=BB41_9 Depth=1
	s_wait_xcnt 0x0
	s_or_b32 exec_lo, exec_lo, s1
	v_add_nc_u64_e32 v[10:11], s[18:19], v[14:15]
	v_dual_mov_b32 v18, 0 :: v_dual_mov_b32 v19, 0
	v_dual_mov_b32 v26, 0 :: v_dual_mov_b32 v27, 0
	s_mov_b32 s1, exec_lo
	s_delay_alu instid0(VALU_DEP_3)
	v_cmpx_lt_i64_e64 v[10:11], v[2:3]
	s_cbranch_execnz .LBB41_20
; %bb.16:                               ;   in Loop: Header=BB41_9 Depth=1
	s_or_b32 exec_lo, exec_lo, s1
	s_delay_alu instid0(SALU_CYCLE_1)
	s_mov_b32 s1, exec_lo
	v_cmpx_lt_u64_e64 v[14:15], v[4:5]
	s_cbranch_execnz .LBB41_21
.LBB41_17:                              ;   in Loop: Header=BB41_9 Depth=1
	s_or_b32 exec_lo, exec_lo, s1
	s_delay_alu instid0(SALU_CYCLE_1)
	s_mov_b32 s1, exec_lo
	v_cmpx_lt_u64_e64 v[8:9], v[4:5]
	s_cbranch_execnz .LBB41_22
.LBB41_18:                              ;   in Loop: Header=BB41_9 Depth=1
	s_or_b32 exec_lo, exec_lo, s1
	s_delay_alu instid0(SALU_CYCLE_1)
	s_mov_b32 s1, exec_lo
	v_cmpx_lt_u64_e64 v[12:13], v[4:5]
	s_cbranch_execnz .LBB41_23
.LBB41_19:                              ;   in Loop: Header=BB41_9 Depth=1
	s_or_b32 exec_lo, exec_lo, s1
	s_delay_alu instid0(SALU_CYCLE_1)
	s_mov_b32 s1, exec_lo
	v_cmpx_lt_u64_e64 v[10:11], v[4:5]
	s_cbranch_execz .LBB41_8
	s_branch .LBB41_24
.LBB41_20:                              ;   in Loop: Header=BB41_9 Depth=1
	v_lshlrev_b64_e32 v[18:19], 3, v[10:11]
	s_delay_alu instid0(VALU_DEP_1)
	v_add_nc_u64_e32 v[30:31], s[6:7], v[18:19]
	v_add_nc_u64_e32 v[32:33], s[4:5], v[18:19]
	global_load_b64 v[18:19], v[30:31], off
	global_load_b64 v[26:27], v[32:33], off
	s_wait_xcnt 0x0
	s_or_b32 exec_lo, exec_lo, s1
	s_delay_alu instid0(SALU_CYCLE_1)
	s_mov_b32 s1, exec_lo
	v_cmpx_lt_u64_e64 v[14:15], v[4:5]
	s_cbranch_execz .LBB41_17
.LBB41_21:                              ;   in Loop: Header=BB41_9 Depth=1
	v_mov_b64_e32 v[30:31], s[10:11]
	v_mov_b64_e32 v[32:33], s[12:13]
	;; [unrolled: 1-line block ×4, first 2 shown]
	v_lshl_add_u64 v[14:15], v[14:15], 3, s[6:7]
	s_wait_loadcnt 0x0
	v_pk_mul_f32 v[30:31], v[24:25], v[30:31]
	s_delay_alu instid0(VALU_DEP_1) | instskip(SKIP_1) | instid1(VALU_DEP_2)
	v_pk_fma_f32 v[36:37], v[24:25], v[32:33], v[30:31] op_sel:[0,0,1] op_sel_hi:[1,1,0]
	v_pk_fma_f32 v[24:25], v[24:25], v[32:33], v[30:31] op_sel:[0,0,1] op_sel_hi:[1,1,0] neg_lo:[0,0,1] neg_hi:[0,0,1]
	v_pk_mul_f32 v[30:31], v[36:37], v[34:35] op_sel:[1,0]
	s_delay_alu instid0(VALU_DEP_1) | instskip(SKIP_1) | instid1(VALU_DEP_1)
	v_pk_fma_f32 v[32:33], v[24:25], v[38:39], v[30:31] op_sel_hi:[0,1,1]
	v_pk_fma_f32 v[30:31], v[24:25], v[38:39], v[30:31] neg_lo:[0,0,1] neg_hi:[0,0,1]
	v_dual_cndmask_b32 v25, v33, v37, s0 :: v_dual_cndmask_b32 v24, v30, v24, s0
	s_delay_alu instid0(VALU_DEP_1) | instskip(SKIP_3) | instid1(SALU_CYCLE_1)
	v_pk_add_f32 v[16:17], v[16:17], v[24:25]
	global_store_b64 v[14:15], v[16:17], off
	s_wait_xcnt 0x0
	s_or_b32 exec_lo, exec_lo, s1
	s_mov_b32 s1, exec_lo
	v_cmpx_lt_u64_e64 v[8:9], v[4:5]
	s_cbranch_execz .LBB41_18
.LBB41_22:                              ;   in Loop: Header=BB41_9 Depth=1
	v_mov_b64_e32 v[14:15], s[10:11]
	s_wait_loadcnt 0x1
	v_mov_b64_e32 v[16:17], s[12:13]
	s_wait_loadcnt 0x0
	v_mov_b64_e32 v[24:25], s[14:15]
	v_mov_b64_e32 v[32:33], s[8:9]
	v_lshl_add_u64 v[8:9], v[8:9], 3, s[6:7]
	v_pk_mul_f32 v[14:15], v[28:29], v[14:15]
	s_delay_alu instid0(VALU_DEP_1) | instskip(SKIP_1) | instid1(VALU_DEP_2)
	v_pk_fma_f32 v[30:31], v[28:29], v[16:17], v[14:15] op_sel:[0,0,1] op_sel_hi:[1,1,0]
	v_pk_fma_f32 v[14:15], v[28:29], v[16:17], v[14:15] op_sel:[0,0,1] op_sel_hi:[1,1,0] neg_lo:[0,0,1] neg_hi:[0,0,1]
	v_pk_mul_f32 v[16:17], v[30:31], v[24:25] op_sel:[1,0]
	s_delay_alu instid0(VALU_DEP_1) | instskip(SKIP_1) | instid1(VALU_DEP_1)
	v_pk_fma_f32 v[24:25], v[14:15], v[32:33], v[16:17] op_sel_hi:[0,1,1]
	v_pk_fma_f32 v[16:17], v[14:15], v[32:33], v[16:17] neg_lo:[0,0,1] neg_hi:[0,0,1]
	v_dual_cndmask_b32 v15, v25, v31, s0 :: v_dual_cndmask_b32 v14, v16, v14, s0
	s_delay_alu instid0(VALU_DEP_1) | instskip(SKIP_3) | instid1(SALU_CYCLE_1)
	v_pk_add_f32 v[14:15], v[20:21], v[14:15]
	global_store_b64 v[8:9], v[14:15], off
	s_wait_xcnt 0x0
	s_or_b32 exec_lo, exec_lo, s1
	s_mov_b32 s1, exec_lo
	v_cmpx_lt_u64_e64 v[12:13], v[4:5]
	s_cbranch_execz .LBB41_19
.LBB41_23:                              ;   in Loop: Header=BB41_9 Depth=1
	v_mov_b64_e32 v[8:9], s[10:11]
	v_mov_b64_e32 v[14:15], s[12:13]
	s_wait_loadcnt 0x1
	v_mov_b64_e32 v[16:17], s[14:15]
	s_wait_loadcnt 0x0
	v_mov_b64_e32 v[24:25], s[8:9]
	s_delay_alu instid0(VALU_DEP_4) | instskip(NEXT) | instid1(VALU_DEP_1)
	v_pk_mul_f32 v[8:9], v[22:23], v[8:9]
	v_pk_fma_f32 v[20:21], v[22:23], v[14:15], v[8:9] op_sel:[0,0,1] op_sel_hi:[1,1,0]
	v_pk_fma_f32 v[8:9], v[22:23], v[14:15], v[8:9] op_sel:[0,0,1] op_sel_hi:[1,1,0] neg_lo:[0,0,1] neg_hi:[0,0,1]
	s_delay_alu instid0(VALU_DEP_2) | instskip(NEXT) | instid1(VALU_DEP_1)
	v_pk_mul_f32 v[14:15], v[20:21], v[16:17] op_sel:[1,0]
	v_pk_fma_f32 v[16:17], v[8:9], v[24:25], v[14:15] op_sel_hi:[0,1,1]
	v_pk_fma_f32 v[14:15], v[8:9], v[24:25], v[14:15] neg_lo:[0,0,1] neg_hi:[0,0,1]
	s_delay_alu instid0(VALU_DEP_1) | instskip(NEXT) | instid1(VALU_DEP_1)
	v_dual_cndmask_b32 v9, v17, v21, s0 :: v_dual_cndmask_b32 v8, v14, v8, s0
	v_pk_add_f32 v[6:7], v[6:7], v[8:9]
	v_lshl_add_u64 v[8:9], v[12:13], 3, s[6:7]
	global_store_b64 v[8:9], v[6:7], off
	s_wait_xcnt 0x0
	s_or_b32 exec_lo, exec_lo, s1
	s_delay_alu instid0(SALU_CYCLE_1)
	s_mov_b32 s1, exec_lo
	v_cmpx_lt_u64_e64 v[10:11], v[4:5]
	s_cbranch_execz .LBB41_8
.LBB41_24:                              ;   in Loop: Header=BB41_9 Depth=1
	s_wait_loadcnt 0x1
	v_mov_b64_e32 v[6:7], s[10:11]
	v_mov_b64_e32 v[8:9], s[12:13]
	;; [unrolled: 1-line block ×4, first 2 shown]
	s_wait_loadcnt 0x0
	s_delay_alu instid0(VALU_DEP_4) | instskip(NEXT) | instid1(VALU_DEP_1)
	v_pk_mul_f32 v[6:7], v[26:27], v[6:7]
	v_pk_fma_f32 v[14:15], v[26:27], v[8:9], v[6:7] op_sel:[0,0,1] op_sel_hi:[1,1,0]
	v_pk_fma_f32 v[6:7], v[26:27], v[8:9], v[6:7] op_sel:[0,0,1] op_sel_hi:[1,1,0] neg_lo:[0,0,1] neg_hi:[0,0,1]
	s_delay_alu instid0(VALU_DEP_2) | instskip(NEXT) | instid1(VALU_DEP_1)
	v_pk_mul_f32 v[8:9], v[14:15], v[12:13] op_sel:[1,0]
	v_pk_fma_f32 v[12:13], v[6:7], v[16:17], v[8:9] op_sel_hi:[0,1,1]
	v_pk_fma_f32 v[8:9], v[6:7], v[16:17], v[8:9] neg_lo:[0,0,1] neg_hi:[0,0,1]
	s_delay_alu instid0(VALU_DEP_1) | instskip(SKIP_1) | instid1(VALU_DEP_2)
	v_dual_cndmask_b32 v7, v13, v15, s0 :: v_dual_cndmask_b32 v6, v8, v6, s0
	v_lshl_add_u64 v[8:9], v[10:11], 3, s[6:7]
	v_pk_add_f32 v[6:7], v[18:19], v[6:7]
	global_store_b64 v[8:9], v[6:7], off
	s_branch .LBB41_8
.LBB41_25:
	s_endpgm
	.section	.rodata,"a",@progbits
	.p2align	6, 0x0
	.amdhsa_kernel _ZN2at6native12_GLOBAL__N_125multi_tensor_apply_kernelINS1_18TensorListMetadataILi3EEENS1_32PointwiseOpScalar0dTensorFunctorIN3c107complexIfEELi3ELi2ELi0EEEJSt10multipliesIS8_ES8_EEEvT_T0_DpT1_
		.amdhsa_group_segment_fixed_size 0
		.amdhsa_private_segment_fixed_size 0
		.amdhsa_kernarg_size 3416
		.amdhsa_user_sgpr_count 2
		.amdhsa_user_sgpr_dispatch_ptr 0
		.amdhsa_user_sgpr_queue_ptr 0
		.amdhsa_user_sgpr_kernarg_segment_ptr 1
		.amdhsa_user_sgpr_dispatch_id 0
		.amdhsa_user_sgpr_kernarg_preload_length 0
		.amdhsa_user_sgpr_kernarg_preload_offset 0
		.amdhsa_user_sgpr_private_segment_size 0
		.amdhsa_wavefront_size32 1
		.amdhsa_uses_dynamic_stack 0
		.amdhsa_enable_private_segment 0
		.amdhsa_system_sgpr_workgroup_id_x 1
		.amdhsa_system_sgpr_workgroup_id_y 0
		.amdhsa_system_sgpr_workgroup_id_z 0
		.amdhsa_system_sgpr_workgroup_info 0
		.amdhsa_system_vgpr_workitem_id 0
		.amdhsa_next_free_vgpr 60
		.amdhsa_next_free_sgpr 28
		.amdhsa_named_barrier_count 0
		.amdhsa_reserve_vcc 1
		.amdhsa_float_round_mode_32 0
		.amdhsa_float_round_mode_16_64 0
		.amdhsa_float_denorm_mode_32 3
		.amdhsa_float_denorm_mode_16_64 3
		.amdhsa_fp16_overflow 0
		.amdhsa_memory_ordered 1
		.amdhsa_forward_progress 1
		.amdhsa_inst_pref_size 17
		.amdhsa_round_robin_scheduling 0
		.amdhsa_exception_fp_ieee_invalid_op 0
		.amdhsa_exception_fp_denorm_src 0
		.amdhsa_exception_fp_ieee_div_zero 0
		.amdhsa_exception_fp_ieee_overflow 0
		.amdhsa_exception_fp_ieee_underflow 0
		.amdhsa_exception_fp_ieee_inexact 0
		.amdhsa_exception_int_div_zero 0
	.end_amdhsa_kernel
	.section	.text._ZN2at6native12_GLOBAL__N_125multi_tensor_apply_kernelINS1_18TensorListMetadataILi3EEENS1_32PointwiseOpScalar0dTensorFunctorIN3c107complexIfEELi3ELi2ELi0EEEJSt10multipliesIS8_ES8_EEEvT_T0_DpT1_,"axG",@progbits,_ZN2at6native12_GLOBAL__N_125multi_tensor_apply_kernelINS1_18TensorListMetadataILi3EEENS1_32PointwiseOpScalar0dTensorFunctorIN3c107complexIfEELi3ELi2ELi0EEEJSt10multipliesIS8_ES8_EEEvT_T0_DpT1_,comdat
.Lfunc_end41:
	.size	_ZN2at6native12_GLOBAL__N_125multi_tensor_apply_kernelINS1_18TensorListMetadataILi3EEENS1_32PointwiseOpScalar0dTensorFunctorIN3c107complexIfEELi3ELi2ELi0EEEJSt10multipliesIS8_ES8_EEEvT_T0_DpT1_, .Lfunc_end41-_ZN2at6native12_GLOBAL__N_125multi_tensor_apply_kernelINS1_18TensorListMetadataILi3EEENS1_32PointwiseOpScalar0dTensorFunctorIN3c107complexIfEELi3ELi2ELi0EEEJSt10multipliesIS8_ES8_EEEvT_T0_DpT1_
                                        ; -- End function
	.set _ZN2at6native12_GLOBAL__N_125multi_tensor_apply_kernelINS1_18TensorListMetadataILi3EEENS1_32PointwiseOpScalar0dTensorFunctorIN3c107complexIfEELi3ELi2ELi0EEEJSt10multipliesIS8_ES8_EEEvT_T0_DpT1_.num_vgpr, 60
	.set _ZN2at6native12_GLOBAL__N_125multi_tensor_apply_kernelINS1_18TensorListMetadataILi3EEENS1_32PointwiseOpScalar0dTensorFunctorIN3c107complexIfEELi3ELi2ELi0EEEJSt10multipliesIS8_ES8_EEEvT_T0_DpT1_.num_agpr, 0
	.set _ZN2at6native12_GLOBAL__N_125multi_tensor_apply_kernelINS1_18TensorListMetadataILi3EEENS1_32PointwiseOpScalar0dTensorFunctorIN3c107complexIfEELi3ELi2ELi0EEEJSt10multipliesIS8_ES8_EEEvT_T0_DpT1_.numbered_sgpr, 28
	.set _ZN2at6native12_GLOBAL__N_125multi_tensor_apply_kernelINS1_18TensorListMetadataILi3EEENS1_32PointwiseOpScalar0dTensorFunctorIN3c107complexIfEELi3ELi2ELi0EEEJSt10multipliesIS8_ES8_EEEvT_T0_DpT1_.num_named_barrier, 0
	.set _ZN2at6native12_GLOBAL__N_125multi_tensor_apply_kernelINS1_18TensorListMetadataILi3EEENS1_32PointwiseOpScalar0dTensorFunctorIN3c107complexIfEELi3ELi2ELi0EEEJSt10multipliesIS8_ES8_EEEvT_T0_DpT1_.private_seg_size, 0
	.set _ZN2at6native12_GLOBAL__N_125multi_tensor_apply_kernelINS1_18TensorListMetadataILi3EEENS1_32PointwiseOpScalar0dTensorFunctorIN3c107complexIfEELi3ELi2ELi0EEEJSt10multipliesIS8_ES8_EEEvT_T0_DpT1_.uses_vcc, 1
	.set _ZN2at6native12_GLOBAL__N_125multi_tensor_apply_kernelINS1_18TensorListMetadataILi3EEENS1_32PointwiseOpScalar0dTensorFunctorIN3c107complexIfEELi3ELi2ELi0EEEJSt10multipliesIS8_ES8_EEEvT_T0_DpT1_.uses_flat_scratch, 0
	.set _ZN2at6native12_GLOBAL__N_125multi_tensor_apply_kernelINS1_18TensorListMetadataILi3EEENS1_32PointwiseOpScalar0dTensorFunctorIN3c107complexIfEELi3ELi2ELi0EEEJSt10multipliesIS8_ES8_EEEvT_T0_DpT1_.has_dyn_sized_stack, 0
	.set _ZN2at6native12_GLOBAL__N_125multi_tensor_apply_kernelINS1_18TensorListMetadataILi3EEENS1_32PointwiseOpScalar0dTensorFunctorIN3c107complexIfEELi3ELi2ELi0EEEJSt10multipliesIS8_ES8_EEEvT_T0_DpT1_.has_recursion, 0
	.set _ZN2at6native12_GLOBAL__N_125multi_tensor_apply_kernelINS1_18TensorListMetadataILi3EEENS1_32PointwiseOpScalar0dTensorFunctorIN3c107complexIfEELi3ELi2ELi0EEEJSt10multipliesIS8_ES8_EEEvT_T0_DpT1_.has_indirect_call, 0
	.section	.AMDGPU.csdata,"",@progbits
; Kernel info:
; codeLenInByte = 2060
; TotalNumSgprs: 30
; NumVgprs: 60
; ScratchSize: 0
; MemoryBound: 0
; FloatMode: 240
; IeeeMode: 1
; LDSByteSize: 0 bytes/workgroup (compile time only)
; SGPRBlocks: 0
; VGPRBlocks: 3
; NumSGPRsForWavesPerEU: 30
; NumVGPRsForWavesPerEU: 60
; NamedBarCnt: 0
; Occupancy: 16
; WaveLimiterHint : 0
; COMPUTE_PGM_RSRC2:SCRATCH_EN: 0
; COMPUTE_PGM_RSRC2:USER_SGPR: 2
; COMPUTE_PGM_RSRC2:TRAP_HANDLER: 0
; COMPUTE_PGM_RSRC2:TGID_X_EN: 1
; COMPUTE_PGM_RSRC2:TGID_Y_EN: 0
; COMPUTE_PGM_RSRC2:TGID_Z_EN: 0
; COMPUTE_PGM_RSRC2:TIDIG_COMP_CNT: 0
	.section	.text._ZN2at6native12_GLOBAL__N_125multi_tensor_apply_kernelINS1_18TensorListMetadataILi3EEENS1_32PointwiseOpScalar0dTensorFunctorIN3c104HalfELi3ELi2ELi0EEEJSt10multipliesIfEfEEEvT_T0_DpT1_,"axG",@progbits,_ZN2at6native12_GLOBAL__N_125multi_tensor_apply_kernelINS1_18TensorListMetadataILi3EEENS1_32PointwiseOpScalar0dTensorFunctorIN3c104HalfELi3ELi2ELi0EEEJSt10multipliesIfEfEEEvT_T0_DpT1_,comdat
	.globl	_ZN2at6native12_GLOBAL__N_125multi_tensor_apply_kernelINS1_18TensorListMetadataILi3EEENS1_32PointwiseOpScalar0dTensorFunctorIN3c104HalfELi3ELi2ELi0EEEJSt10multipliesIfEfEEEvT_T0_DpT1_ ; -- Begin function _ZN2at6native12_GLOBAL__N_125multi_tensor_apply_kernelINS1_18TensorListMetadataILi3EEENS1_32PointwiseOpScalar0dTensorFunctorIN3c104HalfELi3ELi2ELi0EEEJSt10multipliesIfEfEEEvT_T0_DpT1_
	.p2align	8
	.type	_ZN2at6native12_GLOBAL__N_125multi_tensor_apply_kernelINS1_18TensorListMetadataILi3EEENS1_32PointwiseOpScalar0dTensorFunctorIN3c104HalfELi3ELi2ELi0EEEJSt10multipliesIfEfEEEvT_T0_DpT1_,@function
_ZN2at6native12_GLOBAL__N_125multi_tensor_apply_kernelINS1_18TensorListMetadataILi3EEENS1_32PointwiseOpScalar0dTensorFunctorIN3c104HalfELi3ELi2ELi0EEEJSt10multipliesIfEfEEEvT_T0_DpT1_: ; @_ZN2at6native12_GLOBAL__N_125multi_tensor_apply_kernelINS1_18TensorListMetadataILi3EEENS1_32PointwiseOpScalar0dTensorFunctorIN3c104HalfELi3ELi2ELi0EEEJSt10multipliesIfEfEEEvT_T0_DpT1_
; %bb.0:
	s_bfe_u32 s2, ttmp6, 0x4000c
	s_and_b32 s3, ttmp6, 15
	s_add_co_i32 s2, s2, 1
	s_getreg_b32 s4, hwreg(HW_REG_IB_STS2, 6, 4)
	s_mul_i32 s2, ttmp9, s2
	s_mov_b32 s15, 0
	s_add_co_i32 s3, s3, s2
	s_cmp_eq_u32 s4, 0
	v_mov_b32_e32 v7, 0
	s_cselect_b32 s14, ttmp9, s3
	s_delay_alu instid0(SALU_CYCLE_1) | instskip(SKIP_1) | instid1(SALU_CYCLE_1)
	s_add_nc_u64 s[2:3], s[0:1], s[14:15]
	s_mul_u64 s[4:5], s[14:15], 3
	s_add_nc_u64 s[2:3], s[2:3], s[4:5]
	s_clause 0x1
	s_load_b32 s16, s[2:3], 0x740
	s_load_u8 s6, s[0:1], s14 offset:0x600
	s_wait_kmcnt 0x0
	s_ashr_i32 s17, s16, 31
	s_clause 0x1
	s_load_b64 s[4:5], s[0:1], s6 offset:0x180 scale_offset
	s_load_b64 s[10:11], s[0:1], s6 offset:0x300 scale_offset
	s_lshl_b64 s[2:3], s[16:17], 17
	s_wait_kmcnt 0x0
	global_load_u16 v1, v7, s[4:5]
	s_clause 0x1
	s_load_b64 s[12:13], s[0:1], s6 offset:0x0 scale_offset
	s_load_b64 s[18:19], s[0:1], s6 offset:0x480 scale_offset
	s_wait_xcnt 0x0
	s_add_nc_u64 s[6:7], s[4:5], s[2:3]
	s_add_nc_u64 s[4:5], s[10:11], s[2:3]
	s_delay_alu instid0(SALU_CYCLE_1) | instskip(NEXT) | instid1(SALU_CYCLE_1)
	s_or_b32 s8, s4, s6
	s_and_b32 s8, s8, 7
	s_wait_kmcnt 0x0
	s_add_nc_u64 s[6:7], s[12:13], s[2:3]
	s_delay_alu instid0(SALU_CYCLE_1)
	s_and_b64 s[20:21], s[6:7], 7
	s_cmp_lg_u32 s8, 0
	s_load_b32 s8, s[0:1], 0xc4c
	s_cselect_b32 s9, -1, 0
	s_and_b32 s14, s18, 3
	s_lshl_b64 s[16:17], s[16:17], 16
	s_or_b64 s[14:15], s[20:21], s[14:15]
	s_delay_alu instid0(SALU_CYCLE_1) | instskip(SKIP_1) | instid1(SALU_CYCLE_1)
	s_cmp_lg_u64 s[14:15], 0
	s_cselect_b32 s14, -1, 0
	s_or_b32 s9, s9, s14
	s_sub_nc_u64 s[14:15], s[18:19], s[16:17]
	s_and_not1_b32 vcc_lo, exec_lo, s9
	s_mov_b32 s9, -1
	s_wait_loadcnt 0x0
	v_cvt_f32_f16_e32 v2, v1
	s_cbranch_vccz .LBB42_5
; %bb.1:
	v_min_i64 v[4:5], 0x10000, s[14:15]
	v_lshlrev_b32_e32 v6, 2, v0
	s_mov_b32 s20, exec_lo
	s_delay_alu instid0(VALU_DEP_1)
	v_cmpx_lt_i64_e64 v[6:7], v[4:5]
	s_cbranch_execz .LBB42_4
; %bb.2:
	s_load_b32 s16, s[0:1], 0xc5c
	v_dual_mov_b32 v1, v7 :: v_dual_mov_b32 v3, v2
	v_dual_mov_b32 v13, 0 :: v_dual_lshlrev_b32 v12, 3, v0
	s_wait_kmcnt 0x0
	s_mov_b32 s9, s8
	s_cmp_eq_f32 s8, 1.0
	v_mov_b64_e32 v[10:11], s[8:9]
	v_mov_b64_e32 v[14:15], v[0:1]
	v_add_nc_u64_e32 v[12:13], s[2:3], v[12:13]
	v_dual_mov_b32 v6, v2 :: v_dual_mov_b32 v7, v2
	v_dual_mov_b32 v8, s8 :: v_dual_mov_b32 v9, s8
	s_mov_b32 s17, 0
	s_cselect_b32 vcc_lo, -1, 0
	s_mov_b32 s19, s17
	s_mov_b32 s3, s17
	s_and_b32 s16, s16, 0xffff
	s_delay_alu instid0(SALU_CYCLE_1)
	s_lshl_b32 s18, s16, 3
.LBB42_3:                               ; =>This Inner Loop Header: Depth=1
	v_add_nc_u64_e32 v[16:17], s[10:11], v[12:13]
	v_add_nc_u64_e32 v[18:19], s[12:13], v[12:13]
	;; [unrolled: 1-line block ×4, first 2 shown]
	global_load_b64 v[20:21], v[16:17], off
	global_load_b64 v[22:23], v[18:19], off
	s_wait_xcnt 0x1
	v_lshlrev_b64_e32 v[16:17], 2, v[14:15]
	s_delay_alu instid0(VALU_DEP_1)
	v_cmp_ge_i64_e64 s2, v[16:17], v[4:5]
	s_or_b32 s3, s2, s3
	s_wait_loadcnt 0x0
	v_dual_lshrrev_b32 v27, 16, v21 :: v_dual_lshrrev_b32 v1, 16, v22
	v_lshrrev_b32_e32 v25, 16, v20
	v_cvt_f32_f16_e32 v24, v22
	v_cvt_f32_f16_e32 v22, v23
	v_lshrrev_b32_e32 v23, 16, v23
	v_cvt_f32_f16_e32 v20, v20
	v_cvt_f32_f16_e32 v26, v21
	;; [unrolled: 1-line block ×6, first 2 shown]
	s_delay_alu instid0(VALU_DEP_4) | instskip(NEXT) | instid1(VALU_DEP_4)
	v_pk_mul_f32 v[28:29], v[2:3], v[20:21]
	v_pk_mul_f32 v[30:31], v[6:7], v[26:27]
	s_delay_alu instid0(VALU_DEP_4) | instskip(NEXT) | instid1(VALU_DEP_4)
	v_pk_fma_f32 v[26:27], v[6:7], v[26:27], v[22:23]
	v_pk_fma_f32 v[20:21], v[2:3], v[20:21], v[24:25]
	s_delay_alu instid0(VALU_DEP_4) | instskip(NEXT) | instid1(VALU_DEP_4)
	v_pk_fma_f32 v[24:25], v[10:11], v[28:29], v[24:25]
	v_pk_fma_f32 v[22:23], v[8:9], v[30:31], v[22:23]
	s_delay_alu instid0(VALU_DEP_1) | instskip(NEXT) | instid1(VALU_DEP_2)
	v_dual_cndmask_b32 v1, v25, v21, vcc_lo :: v_dual_cndmask_b32 v21, v23, v27, vcc_lo
	v_dual_cndmask_b32 v22, v22, v26, vcc_lo :: v_dual_cndmask_b32 v20, v24, v20, vcc_lo
	s_delay_alu instid0(VALU_DEP_1) | instskip(NEXT) | instid1(VALU_DEP_2)
	v_cvt_pk_f16_f32 v17, v22, v21
	v_cvt_pk_f16_f32 v16, v20, v1
	global_store_b64 v[18:19], v[16:17], off
	s_wait_xcnt 0x0
	s_and_not1_b32 exec_lo, exec_lo, s3
	s_cbranch_execnz .LBB42_3
.LBB42_4:
	s_or_b32 exec_lo, exec_lo, s20
	s_mov_b32 s9, 0
.LBB42_5:
	s_delay_alu instid0(SALU_CYCLE_1)
	s_and_not1_b32 vcc_lo, exec_lo, s9
	s_cbranch_vccnz .LBB42_25
; %bb.6:
	v_cmp_lt_i64_e64 s2, s[14:15], 1
	s_and_b32 vcc_lo, exec_lo, s2
	s_cbranch_vccnz .LBB42_25
; %bb.7:
	v_min_i64 v[4:5], 0x10000, s[14:15]
	v_min_u64 v[6:7], 0x10000, s[14:15]
	s_wait_xcnt 0x0
	s_load_b32 s0, s[0:1], 0xc5c
	v_mov_b32_e32 v1, 0
	s_mov_b32 s3, 0
	s_mov_b64 s[16:17], 0
	s_mov_b32 s11, s3
	s_mov_b32 s13, s3
	;; [unrolled: 1-line block ×3, first 2 shown]
	s_wait_kmcnt 0x0
	s_and_b32 s2, s0, 0xffff
	s_cmp_eq_f32 s8, 1.0
	s_mul_i32 s12, s2, 3
	s_cselect_b32 s0, -1, 0
	s_lshl_b32 s10, s2, 1
	s_lshl_b32 s14, s2, 2
	s_branch .LBB42_9
.LBB42_8:                               ;   in Loop: Header=BB42_9 Depth=1
	s_wait_xcnt 0x0
	s_or_b32 exec_lo, exec_lo, s1
	s_add_nc_u64 s[16:17], s[16:17], s[14:15]
	s_delay_alu instid0(SALU_CYCLE_1)
	v_cmp_ge_i64_e32 vcc_lo, s[16:17], v[4:5]
	s_cbranch_vccnz .LBB42_25
.LBB42_9:                               ; =>This Inner Loop Header: Depth=1
	v_add_nc_u64_e32 v[8:9], s[16:17], v[0:1]
	v_dual_mov_b32 v17, 0 :: v_dual_mov_b32 v16, 0
	s_mov_b32 s1, exec_lo
	s_delay_alu instid0(VALU_DEP_2)
	v_cmpx_lt_i64_e64 v[8:9], v[4:5]
	s_cbranch_execz .LBB42_11
; %bb.10:                               ;   in Loop: Header=BB42_9 Depth=1
	v_lshlrev_b64_e32 v[10:11], 1, v[8:9]
	s_delay_alu instid0(VALU_DEP_1)
	v_add_nc_u64_e32 v[12:13], s[6:7], v[10:11]
	v_add_nc_u64_e32 v[10:11], s[4:5], v[10:11]
	global_load_u16 v3, v[12:13], off
	global_load_u16 v14, v[10:11], off
	s_wait_loadcnt 0x1
	v_cvt_f32_f16_e32 v16, v3
	s_wait_loadcnt 0x0
	v_cvt_f32_f16_e32 v17, v14
.LBB42_11:                              ;   in Loop: Header=BB42_9 Depth=1
	s_wait_xcnt 0x0
	s_or_b32 exec_lo, exec_lo, s1
	v_add_nc_u64_e32 v[10:11], s[2:3], v[8:9]
	v_dual_mov_b32 v3, 0 :: v_dual_mov_b32 v19, 0
	v_mov_b32_e32 v18, 0
	s_mov_b32 s1, exec_lo
	s_delay_alu instid0(VALU_DEP_3)
	v_cmpx_lt_i64_e64 v[10:11], v[4:5]
	s_cbranch_execz .LBB42_13
; %bb.12:                               ;   in Loop: Header=BB42_9 Depth=1
	v_lshlrev_b64_e32 v[12:13], 1, v[10:11]
	s_delay_alu instid0(VALU_DEP_1)
	v_add_nc_u64_e32 v[14:15], s[6:7], v[12:13]
	v_add_nc_u64_e32 v[12:13], s[4:5], v[12:13]
	global_load_u16 v18, v[14:15], off
	global_load_u16 v19, v[12:13], off
	s_wait_loadcnt 0x1
	v_cvt_f32_f16_e32 v18, v18
	s_wait_loadcnt 0x0
	v_cvt_f32_f16_e32 v19, v19
.LBB42_13:                              ;   in Loop: Header=BB42_9 Depth=1
	s_wait_xcnt 0x0
	s_or_b32 exec_lo, exec_lo, s1
	v_add_nc_u64_e32 v[12:13], s[10:11], v[8:9]
	v_mov_b32_e32 v20, 0
	s_mov_b32 s1, exec_lo
	s_delay_alu instid0(VALU_DEP_2)
	v_cmpx_lt_i64_e64 v[12:13], v[4:5]
	s_cbranch_execz .LBB42_15
; %bb.14:                               ;   in Loop: Header=BB42_9 Depth=1
	v_lshlrev_b64_e32 v[14:15], 1, v[12:13]
	s_delay_alu instid0(VALU_DEP_1)
	v_add_nc_u64_e32 v[20:21], s[6:7], v[14:15]
	v_add_nc_u64_e32 v[14:15], s[4:5], v[14:15]
	global_load_u16 v3, v[20:21], off
	global_load_u16 v22, v[14:15], off
	s_wait_loadcnt 0x1
	s_wait_xcnt 0x1
	v_cvt_f32_f16_e32 v20, v3
	s_wait_loadcnt 0x0
	v_cvt_f32_f16_e32 v3, v22
.LBB42_15:                              ;   in Loop: Header=BB42_9 Depth=1
	s_wait_xcnt 0x0
	s_or_b32 exec_lo, exec_lo, s1
	v_add_nc_u64_e32 v[14:15], s[12:13], v[8:9]
	v_dual_mov_b32 v22, 0 :: v_dual_mov_b32 v21, 0
	s_mov_b32 s1, exec_lo
	s_delay_alu instid0(VALU_DEP_2)
	v_cmpx_lt_i64_e64 v[14:15], v[4:5]
	s_cbranch_execnz .LBB42_20
; %bb.16:                               ;   in Loop: Header=BB42_9 Depth=1
	s_or_b32 exec_lo, exec_lo, s1
	s_delay_alu instid0(SALU_CYCLE_1)
	s_mov_b32 s1, exec_lo
	v_cmpx_lt_u64_e64 v[8:9], v[6:7]
	s_cbranch_execnz .LBB42_21
.LBB42_17:                              ;   in Loop: Header=BB42_9 Depth=1
	s_or_b32 exec_lo, exec_lo, s1
	s_delay_alu instid0(SALU_CYCLE_1)
	s_mov_b32 s1, exec_lo
	v_cmpx_lt_u64_e64 v[10:11], v[6:7]
	s_cbranch_execnz .LBB42_22
.LBB42_18:                              ;   in Loop: Header=BB42_9 Depth=1
	s_or_b32 exec_lo, exec_lo, s1
	s_delay_alu instid0(SALU_CYCLE_1)
	s_mov_b32 s1, exec_lo
	v_cmpx_lt_u64_e64 v[12:13], v[6:7]
	s_cbranch_execnz .LBB42_23
.LBB42_19:                              ;   in Loop: Header=BB42_9 Depth=1
	s_or_b32 exec_lo, exec_lo, s1
	s_delay_alu instid0(SALU_CYCLE_1)
	s_mov_b32 s1, exec_lo
	v_cmpx_lt_u64_e64 v[14:15], v[6:7]
	s_cbranch_execz .LBB42_8
	s_branch .LBB42_24
.LBB42_20:                              ;   in Loop: Header=BB42_9 Depth=1
	v_lshlrev_b64_e32 v[22:23], 1, v[14:15]
	s_delay_alu instid0(VALU_DEP_1)
	v_add_nc_u64_e32 v[24:25], s[6:7], v[22:23]
	v_add_nc_u64_e32 v[22:23], s[4:5], v[22:23]
	global_load_u16 v21, v[24:25], off
	global_load_u16 v26, v[22:23], off
	s_wait_loadcnt 0x1
	v_cvt_f32_f16_e32 v21, v21
	s_wait_loadcnt 0x0
	v_cvt_f32_f16_e32 v22, v26
	s_or_b32 exec_lo, exec_lo, s1
	s_delay_alu instid0(SALU_CYCLE_1)
	s_mov_b32 s1, exec_lo
	v_cmpx_lt_u64_e64 v[8:9], v[6:7]
	s_cbranch_execz .LBB42_17
.LBB42_21:                              ;   in Loop: Header=BB42_9 Depth=1
	v_dual_mul_f32 v23, v17, v2 :: v_dual_fma_f32 v17, v2, v17, v16
	v_lshl_add_u64 v[8:9], v[8:9], 1, s[6:7]
	s_delay_alu instid0(VALU_DEP_2) | instskip(NEXT) | instid1(VALU_DEP_1)
	v_fmac_f32_e32 v16, s8, v23
	v_cndmask_b32_e64 v16, v16, v17, s0
	s_delay_alu instid0(VALU_DEP_1) | instskip(SKIP_3) | instid1(SALU_CYCLE_1)
	v_cvt_f16_f32_e32 v16, v16
	global_store_b16 v[8:9], v16, off
	s_wait_xcnt 0x0
	s_or_b32 exec_lo, exec_lo, s1
	s_mov_b32 s1, exec_lo
	v_cmpx_lt_u64_e64 v[10:11], v[6:7]
	s_cbranch_execz .LBB42_18
.LBB42_22:                              ;   in Loop: Header=BB42_9 Depth=1
	v_dual_mul_f32 v8, v19, v2 :: v_dual_fma_f32 v9, v2, v19, v18
	s_delay_alu instid0(VALU_DEP_1) | instskip(NEXT) | instid1(VALU_DEP_1)
	v_fmac_f32_e32 v18, s8, v8
	v_cndmask_b32_e64 v8, v18, v9, s0
	s_delay_alu instid0(VALU_DEP_1) | instskip(SKIP_4) | instid1(SALU_CYCLE_1)
	v_cvt_f16_f32_e32 v16, v8
	v_lshl_add_u64 v[8:9], v[10:11], 1, s[6:7]
	global_store_b16 v[8:9], v16, off
	s_wait_xcnt 0x0
	s_or_b32 exec_lo, exec_lo, s1
	s_mov_b32 s1, exec_lo
	v_cmpx_lt_u64_e64 v[12:13], v[6:7]
	s_cbranch_execz .LBB42_19
.LBB42_23:                              ;   in Loop: Header=BB42_9 Depth=1
	v_dual_mul_f32 v8, v3, v2 :: v_dual_fma_f32 v3, v2, v3, v20
	s_delay_alu instid0(VALU_DEP_1) | instskip(SKIP_1) | instid1(VALU_DEP_2)
	v_fmac_f32_e32 v20, s8, v8
	v_lshl_add_u64 v[8:9], v[12:13], 1, s[6:7]
	v_cndmask_b32_e64 v3, v20, v3, s0
	s_delay_alu instid0(VALU_DEP_1) | instskip(SKIP_3) | instid1(SALU_CYCLE_1)
	v_cvt_f16_f32_e32 v3, v3
	global_store_b16 v[8:9], v3, off
	s_wait_xcnt 0x0
	s_or_b32 exec_lo, exec_lo, s1
	s_mov_b32 s1, exec_lo
	v_cmpx_lt_u64_e64 v[14:15], v[6:7]
	s_cbranch_execz .LBB42_8
.LBB42_24:                              ;   in Loop: Header=BB42_9 Depth=1
	v_mul_f32_e32 v3, v22, v2
	s_delay_alu instid0(VALU_DEP_1) | instskip(NEXT) | instid1(VALU_DEP_1)
	v_dual_fma_f32 v8, v2, v22, v21 :: v_dual_fmac_f32 v21, s8, v3
	v_cndmask_b32_e64 v3, v21, v8, s0
	v_lshl_add_u64 v[8:9], v[14:15], 1, s[6:7]
	s_delay_alu instid0(VALU_DEP_2)
	v_cvt_f16_f32_e32 v3, v3
	global_store_b16 v[8:9], v3, off
	s_branch .LBB42_8
.LBB42_25:
	s_endpgm
	.section	.rodata,"a",@progbits
	.p2align	6, 0x0
	.amdhsa_kernel _ZN2at6native12_GLOBAL__N_125multi_tensor_apply_kernelINS1_18TensorListMetadataILi3EEENS1_32PointwiseOpScalar0dTensorFunctorIN3c104HalfELi3ELi2ELi0EEEJSt10multipliesIfEfEEEvT_T0_DpT1_
		.amdhsa_group_segment_fixed_size 0
		.amdhsa_private_segment_fixed_size 0
		.amdhsa_kernarg_size 3408
		.amdhsa_user_sgpr_count 2
		.amdhsa_user_sgpr_dispatch_ptr 0
		.amdhsa_user_sgpr_queue_ptr 0
		.amdhsa_user_sgpr_kernarg_segment_ptr 1
		.amdhsa_user_sgpr_dispatch_id 0
		.amdhsa_user_sgpr_kernarg_preload_length 0
		.amdhsa_user_sgpr_kernarg_preload_offset 0
		.amdhsa_user_sgpr_private_segment_size 0
		.amdhsa_wavefront_size32 1
		.amdhsa_uses_dynamic_stack 0
		.amdhsa_enable_private_segment 0
		.amdhsa_system_sgpr_workgroup_id_x 1
		.amdhsa_system_sgpr_workgroup_id_y 0
		.amdhsa_system_sgpr_workgroup_id_z 0
		.amdhsa_system_sgpr_workgroup_info 0
		.amdhsa_system_vgpr_workitem_id 0
		.amdhsa_next_free_vgpr 32
		.amdhsa_next_free_sgpr 22
		.amdhsa_named_barrier_count 0
		.amdhsa_reserve_vcc 1
		.amdhsa_float_round_mode_32 0
		.amdhsa_float_round_mode_16_64 0
		.amdhsa_float_denorm_mode_32 3
		.amdhsa_float_denorm_mode_16_64 3
		.amdhsa_fp16_overflow 0
		.amdhsa_memory_ordered 1
		.amdhsa_forward_progress 1
		.amdhsa_inst_pref_size 13
		.amdhsa_round_robin_scheduling 0
		.amdhsa_exception_fp_ieee_invalid_op 0
		.amdhsa_exception_fp_denorm_src 0
		.amdhsa_exception_fp_ieee_div_zero 0
		.amdhsa_exception_fp_ieee_overflow 0
		.amdhsa_exception_fp_ieee_underflow 0
		.amdhsa_exception_fp_ieee_inexact 0
		.amdhsa_exception_int_div_zero 0
	.end_amdhsa_kernel
	.section	.text._ZN2at6native12_GLOBAL__N_125multi_tensor_apply_kernelINS1_18TensorListMetadataILi3EEENS1_32PointwiseOpScalar0dTensorFunctorIN3c104HalfELi3ELi2ELi0EEEJSt10multipliesIfEfEEEvT_T0_DpT1_,"axG",@progbits,_ZN2at6native12_GLOBAL__N_125multi_tensor_apply_kernelINS1_18TensorListMetadataILi3EEENS1_32PointwiseOpScalar0dTensorFunctorIN3c104HalfELi3ELi2ELi0EEEJSt10multipliesIfEfEEEvT_T0_DpT1_,comdat
.Lfunc_end42:
	.size	_ZN2at6native12_GLOBAL__N_125multi_tensor_apply_kernelINS1_18TensorListMetadataILi3EEENS1_32PointwiseOpScalar0dTensorFunctorIN3c104HalfELi3ELi2ELi0EEEJSt10multipliesIfEfEEEvT_T0_DpT1_, .Lfunc_end42-_ZN2at6native12_GLOBAL__N_125multi_tensor_apply_kernelINS1_18TensorListMetadataILi3EEENS1_32PointwiseOpScalar0dTensorFunctorIN3c104HalfELi3ELi2ELi0EEEJSt10multipliesIfEfEEEvT_T0_DpT1_
                                        ; -- End function
	.set _ZN2at6native12_GLOBAL__N_125multi_tensor_apply_kernelINS1_18TensorListMetadataILi3EEENS1_32PointwiseOpScalar0dTensorFunctorIN3c104HalfELi3ELi2ELi0EEEJSt10multipliesIfEfEEEvT_T0_DpT1_.num_vgpr, 32
	.set _ZN2at6native12_GLOBAL__N_125multi_tensor_apply_kernelINS1_18TensorListMetadataILi3EEENS1_32PointwiseOpScalar0dTensorFunctorIN3c104HalfELi3ELi2ELi0EEEJSt10multipliesIfEfEEEvT_T0_DpT1_.num_agpr, 0
	.set _ZN2at6native12_GLOBAL__N_125multi_tensor_apply_kernelINS1_18TensorListMetadataILi3EEENS1_32PointwiseOpScalar0dTensorFunctorIN3c104HalfELi3ELi2ELi0EEEJSt10multipliesIfEfEEEvT_T0_DpT1_.numbered_sgpr, 22
	.set _ZN2at6native12_GLOBAL__N_125multi_tensor_apply_kernelINS1_18TensorListMetadataILi3EEENS1_32PointwiseOpScalar0dTensorFunctorIN3c104HalfELi3ELi2ELi0EEEJSt10multipliesIfEfEEEvT_T0_DpT1_.num_named_barrier, 0
	.set _ZN2at6native12_GLOBAL__N_125multi_tensor_apply_kernelINS1_18TensorListMetadataILi3EEENS1_32PointwiseOpScalar0dTensorFunctorIN3c104HalfELi3ELi2ELi0EEEJSt10multipliesIfEfEEEvT_T0_DpT1_.private_seg_size, 0
	.set _ZN2at6native12_GLOBAL__N_125multi_tensor_apply_kernelINS1_18TensorListMetadataILi3EEENS1_32PointwiseOpScalar0dTensorFunctorIN3c104HalfELi3ELi2ELi0EEEJSt10multipliesIfEfEEEvT_T0_DpT1_.uses_vcc, 1
	.set _ZN2at6native12_GLOBAL__N_125multi_tensor_apply_kernelINS1_18TensorListMetadataILi3EEENS1_32PointwiseOpScalar0dTensorFunctorIN3c104HalfELi3ELi2ELi0EEEJSt10multipliesIfEfEEEvT_T0_DpT1_.uses_flat_scratch, 0
	.set _ZN2at6native12_GLOBAL__N_125multi_tensor_apply_kernelINS1_18TensorListMetadataILi3EEENS1_32PointwiseOpScalar0dTensorFunctorIN3c104HalfELi3ELi2ELi0EEEJSt10multipliesIfEfEEEvT_T0_DpT1_.has_dyn_sized_stack, 0
	.set _ZN2at6native12_GLOBAL__N_125multi_tensor_apply_kernelINS1_18TensorListMetadataILi3EEENS1_32PointwiseOpScalar0dTensorFunctorIN3c104HalfELi3ELi2ELi0EEEJSt10multipliesIfEfEEEvT_T0_DpT1_.has_recursion, 0
	.set _ZN2at6native12_GLOBAL__N_125multi_tensor_apply_kernelINS1_18TensorListMetadataILi3EEENS1_32PointwiseOpScalar0dTensorFunctorIN3c104HalfELi3ELi2ELi0EEEJSt10multipliesIfEfEEEvT_T0_DpT1_.has_indirect_call, 0
	.section	.AMDGPU.csdata,"",@progbits
; Kernel info:
; codeLenInByte = 1612
; TotalNumSgprs: 24
; NumVgprs: 32
; ScratchSize: 0
; MemoryBound: 0
; FloatMode: 240
; IeeeMode: 1
; LDSByteSize: 0 bytes/workgroup (compile time only)
; SGPRBlocks: 0
; VGPRBlocks: 1
; NumSGPRsForWavesPerEU: 24
; NumVGPRsForWavesPerEU: 32
; NamedBarCnt: 0
; Occupancy: 16
; WaveLimiterHint : 0
; COMPUTE_PGM_RSRC2:SCRATCH_EN: 0
; COMPUTE_PGM_RSRC2:USER_SGPR: 2
; COMPUTE_PGM_RSRC2:TRAP_HANDLER: 0
; COMPUTE_PGM_RSRC2:TGID_X_EN: 1
; COMPUTE_PGM_RSRC2:TGID_Y_EN: 0
; COMPUTE_PGM_RSRC2:TGID_Z_EN: 0
; COMPUTE_PGM_RSRC2:TIDIG_COMP_CNT: 0
	.section	.text._ZN2at6native12_GLOBAL__N_125multi_tensor_apply_kernelINS1_18TensorListMetadataILi3EEENS1_32PointwiseOpScalar0dTensorFunctorIN3c108BFloat16ELi3ELi2ELi0EEEJSt10multipliesIfEfEEEvT_T0_DpT1_,"axG",@progbits,_ZN2at6native12_GLOBAL__N_125multi_tensor_apply_kernelINS1_18TensorListMetadataILi3EEENS1_32PointwiseOpScalar0dTensorFunctorIN3c108BFloat16ELi3ELi2ELi0EEEJSt10multipliesIfEfEEEvT_T0_DpT1_,comdat
	.globl	_ZN2at6native12_GLOBAL__N_125multi_tensor_apply_kernelINS1_18TensorListMetadataILi3EEENS1_32PointwiseOpScalar0dTensorFunctorIN3c108BFloat16ELi3ELi2ELi0EEEJSt10multipliesIfEfEEEvT_T0_DpT1_ ; -- Begin function _ZN2at6native12_GLOBAL__N_125multi_tensor_apply_kernelINS1_18TensorListMetadataILi3EEENS1_32PointwiseOpScalar0dTensorFunctorIN3c108BFloat16ELi3ELi2ELi0EEEJSt10multipliesIfEfEEEvT_T0_DpT1_
	.p2align	8
	.type	_ZN2at6native12_GLOBAL__N_125multi_tensor_apply_kernelINS1_18TensorListMetadataILi3EEENS1_32PointwiseOpScalar0dTensorFunctorIN3c108BFloat16ELi3ELi2ELi0EEEJSt10multipliesIfEfEEEvT_T0_DpT1_,@function
_ZN2at6native12_GLOBAL__N_125multi_tensor_apply_kernelINS1_18TensorListMetadataILi3EEENS1_32PointwiseOpScalar0dTensorFunctorIN3c108BFloat16ELi3ELi2ELi0EEEJSt10multipliesIfEfEEEvT_T0_DpT1_: ; @_ZN2at6native12_GLOBAL__N_125multi_tensor_apply_kernelINS1_18TensorListMetadataILi3EEENS1_32PointwiseOpScalar0dTensorFunctorIN3c108BFloat16ELi3ELi2ELi0EEEJSt10multipliesIfEfEEEvT_T0_DpT1_
; %bb.0:
	s_bfe_u32 s2, ttmp6, 0x4000c
	s_and_b32 s3, ttmp6, 15
	s_add_co_i32 s2, s2, 1
	s_getreg_b32 s4, hwreg(HW_REG_IB_STS2, 6, 4)
	s_mul_i32 s2, ttmp9, s2
	s_mov_b32 s11, 0
	s_add_co_i32 s3, s3, s2
	s_cmp_eq_u32 s4, 0
	s_cselect_b32 s10, ttmp9, s3
	s_delay_alu instid0(SALU_CYCLE_1) | instskip(SKIP_1) | instid1(SALU_CYCLE_1)
	s_add_nc_u64 s[2:3], s[0:1], s[10:11]
	s_mul_u64 s[4:5], s[10:11], 3
	s_add_nc_u64 s[2:3], s[2:3], s[4:5]
	s_clause 0x1
	s_load_b32 s16, s[2:3], 0x740
	s_load_u8 s6, s[0:1], s10 offset:0x600
	s_wait_kmcnt 0x0
	s_clause 0x3
	s_load_b64 s[4:5], s[0:1], s6 offset:0x180 scale_offset
	s_load_b64 s[12:13], s[0:1], s6 offset:0x300 scale_offset
	;; [unrolled: 1-line block ×4, first 2 shown]
	s_ashr_i32 s17, s16, 31
	s_delay_alu instid0(SALU_CYCLE_1)
	s_lshl_b64 s[2:3], s[16:17], 17
	s_wait_kmcnt 0x0
	s_load_u16 s9, s[4:5], 0x0
	s_add_nc_u64 s[6:7], s[4:5], s[2:3]
	s_wait_xcnt 0x0
	s_add_nc_u64 s[4:5], s[12:13], s[2:3]
	s_delay_alu instid0(SALU_CYCLE_1)
	s_or_b32 s8, s4, s6
	s_add_nc_u64 s[6:7], s[14:15], s[2:3]
	s_and_b32 s8, s8, 7
	s_and_b64 s[20:21], s[6:7], 7
	s_cmp_lg_u32 s8, 0
	s_load_b32 s8, s[0:1], 0xc4c
	s_cselect_b32 s22, -1, 0
	s_and_b32 s10, s18, 3
	s_lshl_b64 s[16:17], s[16:17], 16
	s_or_b64 s[20:21], s[20:21], s[10:11]
	s_sub_nc_u64 s[16:17], s[18:19], s[16:17]
	s_wait_kmcnt 0x0
	s_lshl_b32 s10, s9, 16
	s_cmp_lg_u64 s[20:21], 0
	s_cselect_b32 s9, -1, 0
	s_delay_alu instid0(SALU_CYCLE_1) | instskip(NEXT) | instid1(SALU_CYCLE_1)
	s_or_b32 s9, s22, s9
	s_and_not1_b32 vcc_lo, exec_lo, s9
	s_mov_b32 s9, -1
	s_cbranch_vccz .LBB43_5
; %bb.1:
	v_min_i64 v[2:3], 0x10000, s[16:17]
	v_dual_mov_b32 v9, 0 :: v_dual_lshlrev_b32 v8, 2, v0
	s_mov_b32 s22, exec_lo
	s_delay_alu instid0(VALU_DEP_1)
	v_cmpx_lt_i64_e64 v[8:9], v[2:3]
	s_cbranch_execz .LBB43_4
; %bb.2:
	s_load_b32 s18, s[0:1], 0xc5c
	v_dual_mov_b32 v1, v9 :: v_dual_lshlrev_b32 v8, 3, v0
	s_mov_b32 s11, s10
	s_mov_b32 s9, s8
	s_cmp_eq_f32 s8, 1.0
	v_mov_b64_e32 v[4:5], s[10:11]
	v_mov_b64_e32 v[6:7], s[8:9]
	v_add_nc_u64_e32 v[8:9], s[2:3], v[8:9]
	v_mov_b64_e32 v[10:11], v[0:1]
	s_mov_b32 s19, 0
	s_cselect_b32 vcc_lo, -1, 0
	s_mov_b32 s21, s19
	s_mov_b32 s9, s19
	s_wait_kmcnt 0x0
	s_and_b32 s18, s18, 0xffff
	s_delay_alu instid0(SALU_CYCLE_1)
	s_lshl_b32 s20, s18, 3
.LBB43_3:                               ; =>This Inner Loop Header: Depth=1
	v_add_nc_u64_e32 v[12:13], s[12:13], v[8:9]
	v_add_nc_u64_e32 v[14:15], s[14:15], v[8:9]
	;; [unrolled: 1-line block ×4, first 2 shown]
	global_load_b64 v[16:17], v[12:13], off
	global_load_b64 v[18:19], v[14:15], off
	s_wait_xcnt 0x1
	v_lshlrev_b64_e32 v[12:13], 2, v[10:11]
	s_wait_loadcnt 0x1
	v_and_b32_e32 v22, 0xffff0000, v16
	s_wait_loadcnt 0x0
	v_dual_lshlrev_b32 v21, 16, v18 :: v_dual_lshlrev_b32 v23, 16, v16
	v_and_b32_e32 v20, 0xffff0000, v18
	v_alignbit_b32 v26, v17, v16, 16
	v_alignbit_b32 v1, v19, v18, 16
	v_and_b32_e32 v16, 0xffff0000, v19
	v_pk_mul_f32 v[24:25], v[4:5], v[22:23]
	v_and_b32_e32 v18, 0xffff0000, v17
	v_and_b32_e32 v19, 0xffff0000, v26
	v_pk_fma_f32 v[22:23], v[4:5], v[22:23], v[20:21]
	v_and_b32_e32 v17, 0xffff0000, v1
	v_pk_fma_f32 v[20:21], v[6:7], v[24:25], v[20:21]
	s_delay_alu instid0(VALU_DEP_4) | instskip(NEXT) | instid1(VALU_DEP_3)
	v_pk_mul_f32 v[24:25], v[4:5], v[18:19]
	v_pk_fma_f32 v[18:19], v[4:5], v[18:19], v[16:17]
	s_delay_alu instid0(VALU_DEP_3) | instskip(NEXT) | instid1(VALU_DEP_3)
	v_dual_cndmask_b32 v1, v21, v23 :: v_dual_cndmask_b32 v20, v20, v22
	v_pk_fma_f32 v[16:17], v[6:7], v[24:25], v[16:17]
	s_delay_alu instid0(VALU_DEP_2) | instskip(NEXT) | instid1(VALU_DEP_3)
	v_bfe_u32 v21, v1, 16, 1
	v_bfe_u32 v22, v20, 16, 1
	s_delay_alu instid0(VALU_DEP_3) | instskip(SKIP_1) | instid1(VALU_DEP_4)
	v_dual_cndmask_b32 v17, v17, v19 :: v_dual_cndmask_b32 v16, v16, v18
	v_cmp_o_f32_e64 s2, v20, v20
	v_add3_u32 v18, v1, v21, 0x7fff
	s_delay_alu instid0(VALU_DEP_4) | instskip(NEXT) | instid1(VALU_DEP_4)
	v_add3_u32 v19, v20, v22, 0x7fff
	v_bfe_u32 v21, v17, 16, 1
	v_bfe_u32 v22, v16, 16, 1
	v_cmp_o_f32_e64 s3, v1, v1
	s_delay_alu instid0(VALU_DEP_4) | instskip(NEXT) | instid1(VALU_DEP_4)
	v_and_b32_e32 v19, 0xffff0000, v19
	v_add3_u32 v21, v17, v21, 0x7fff
	s_delay_alu instid0(VALU_DEP_4) | instskip(NEXT) | instid1(VALU_DEP_3)
	v_add3_u32 v22, v16, v22, 0x7fff
	v_cndmask_b32_e64 v19, 0x7fc00000, v19, s2
	v_lshrrev_b32_e32 v18, 16, v18
	s_delay_alu instid0(VALU_DEP_3) | instskip(SKIP_1) | instid1(VALU_DEP_3)
	v_and_b32_e32 v20, 0xffff0000, v22
	v_cmp_o_f32_e64 s2, v16, v16
	v_cndmask_b32_e64 v1, 0x7fc0, v18, s3
	v_lshrrev_b32_e32 v18, 16, v21
	v_cmp_o_f32_e64 s3, v17, v17
	s_delay_alu instid0(VALU_DEP_4) | instskip(SKIP_2) | instid1(VALU_DEP_4)
	v_cndmask_b32_e64 v17, 0x7fc00000, v20, s2
	v_cmp_ge_i64_e64 s2, v[12:13], v[2:3]
	v_or_b32_e32 v1, v1, v19
	v_cndmask_b32_e64 v16, 0x7fc0, v18, s3
	s_delay_alu instid0(VALU_DEP_2) | instskip(SKIP_1) | instid1(VALU_DEP_2)
	v_or3_b32 v12, v1, 0, 0
	s_or_b32 s9, s2, s9
	v_or3_b32 v13, 0, v16, v17
	global_store_b64 v[14:15], v[12:13], off
	s_wait_xcnt 0x0
	s_and_not1_b32 exec_lo, exec_lo, s9
	s_cbranch_execnz .LBB43_3
.LBB43_4:
	s_or_b32 exec_lo, exec_lo, s22
	s_mov_b32 s9, 0
.LBB43_5:
	s_delay_alu instid0(SALU_CYCLE_1)
	s_and_not1_b32 vcc_lo, exec_lo, s9
	s_cbranch_vccnz .LBB43_25
; %bb.6:
	v_cmp_lt_i64_e64 s2, s[16:17], 1
	s_and_b32 vcc_lo, exec_lo, s2
	s_cbranch_vccnz .LBB43_25
; %bb.7:
	v_min_i64 v[2:3], 0x10000, s[16:17]
	v_min_u64 v[4:5], 0x10000, s[16:17]
	s_load_b32 s0, s[0:1], 0xc5c
	v_mov_b32_e32 v1, 0
	s_mov_b32 s3, 0
	s_mov_b64 s[18:19], 0
	s_mov_b32 s13, s3
	s_mov_b32 s15, s3
	;; [unrolled: 1-line block ×3, first 2 shown]
	s_wait_kmcnt 0x0
	s_and_b32 s2, s0, 0xffff
	s_cmp_eq_f32 s8, 1.0
	s_mul_i32 s14, s2, 3
	s_cselect_b32 s0, -1, 0
	s_lshl_b32 s12, s2, 1
	s_lshl_b32 s16, s2, 2
	s_branch .LBB43_9
.LBB43_8:                               ;   in Loop: Header=BB43_9 Depth=1
	s_wait_xcnt 0x0
	s_or_b32 exec_lo, exec_lo, s1
	s_add_nc_u64 s[18:19], s[18:19], s[16:17]
	s_delay_alu instid0(SALU_CYCLE_1)
	v_cmp_ge_i64_e32 vcc_lo, s[18:19], v[2:3]
	s_cbranch_vccnz .LBB43_25
.LBB43_9:                               ; =>This Inner Loop Header: Depth=1
	v_add_nc_u64_e32 v[10:11], s[18:19], v[0:1]
	v_mov_b64_e32 v[8:9], 0
	v_mov_b64_e32 v[6:7], 0
	s_mov_b32 s1, exec_lo
	s_delay_alu instid0(VALU_DEP_3)
	v_cmpx_lt_i64_e64 v[10:11], v[2:3]
	s_cbranch_execz .LBB43_11
; %bb.10:                               ;   in Loop: Header=BB43_9 Depth=1
	v_lshlrev_b64_e32 v[6:7], 1, v[10:11]
	s_delay_alu instid0(VALU_DEP_1)
	v_add_nc_u64_e32 v[8:9], s[6:7], v[6:7]
	v_add_nc_u64_e32 v[6:7], s[4:5], v[6:7]
	global_load_u16 v12, v[8:9], off
	global_load_u16 v13, v[6:7], off
	s_wait_xcnt 0x0
	v_dual_mov_b32 v7, s3 :: v_dual_mov_b32 v9, s3
	s_wait_loadcnt 0x1
	v_and_b32_e32 v6, 0xffff, v12
	s_wait_loadcnt 0x0
	v_and_b32_e32 v8, 0xffff, v13
.LBB43_11:                              ;   in Loop: Header=BB43_9 Depth=1
	s_or_b32 exec_lo, exec_lo, s1
	v_add_nc_u64_e32 v[12:13], s[2:3], v[10:11]
	s_mov_b32 s1, exec_lo
	s_delay_alu instid0(VALU_DEP_1)
	v_cmpx_lt_i64_e64 v[12:13], v[2:3]
	s_cbranch_execz .LBB43_13
; %bb.12:                               ;   in Loop: Header=BB43_9 Depth=1
	v_lshlrev_b64_e32 v[14:15], 1, v[12:13]
	s_delay_alu instid0(VALU_DEP_1)
	v_add_nc_u64_e32 v[16:17], s[6:7], v[14:15]
	v_add_nc_u64_e32 v[14:15], s[4:5], v[14:15]
	global_load_u16 v18, v[16:17], off
	global_load_u16 v19, v[14:15], off
	s_wait_loadcnt 0x1
	v_lshl_or_b32 v6, v18, 16, v6
	s_wait_loadcnt 0x0
	v_lshl_or_b32 v8, v19, 16, v8
.LBB43_13:                              ;   in Loop: Header=BB43_9 Depth=1
	s_wait_xcnt 0x0
	s_or_b32 exec_lo, exec_lo, s1
	v_add_nc_u64_e32 v[14:15], s[12:13], v[10:11]
	s_mov_b32 s1, exec_lo
	s_delay_alu instid0(VALU_DEP_1)
	v_cmpx_lt_i64_e64 v[14:15], v[2:3]
	s_cbranch_execz .LBB43_15
; %bb.14:                               ;   in Loop: Header=BB43_9 Depth=1
	v_lshlrev_b64_e32 v[16:17], 1, v[14:15]
	s_delay_alu instid0(VALU_DEP_1)
	v_add_nc_u64_e32 v[18:19], s[6:7], v[16:17]
	v_add_nc_u64_e32 v[16:17], s[4:5], v[16:17]
	global_load_u16 v20, v[18:19], off
	global_load_u16 v21, v[16:17], off
	s_wait_loadcnt 0x1
	v_or_b32_e32 v7, v20, v7
	s_wait_loadcnt 0x0
	v_or_b32_e32 v9, v21, v9
.LBB43_15:                              ;   in Loop: Header=BB43_9 Depth=1
	s_wait_xcnt 0x0
	s_or_b32 exec_lo, exec_lo, s1
	v_add_nc_u64_e32 v[16:17], s[14:15], v[10:11]
	s_mov_b32 s1, exec_lo
	s_delay_alu instid0(VALU_DEP_1)
	v_cmpx_lt_i64_e64 v[16:17], v[2:3]
	s_cbranch_execnz .LBB43_20
; %bb.16:                               ;   in Loop: Header=BB43_9 Depth=1
	s_or_b32 exec_lo, exec_lo, s1
	s_delay_alu instid0(SALU_CYCLE_1)
	s_mov_b32 s1, exec_lo
	v_cmpx_lt_u64_e64 v[10:11], v[4:5]
	s_cbranch_execnz .LBB43_21
.LBB43_17:                              ;   in Loop: Header=BB43_9 Depth=1
	s_or_b32 exec_lo, exec_lo, s1
	s_delay_alu instid0(SALU_CYCLE_1)
	s_mov_b32 s1, exec_lo
	v_cmpx_lt_u64_e64 v[12:13], v[4:5]
	s_cbranch_execnz .LBB43_22
.LBB43_18:                              ;   in Loop: Header=BB43_9 Depth=1
	s_or_b32 exec_lo, exec_lo, s1
	s_delay_alu instid0(SALU_CYCLE_1)
	s_mov_b32 s1, exec_lo
	v_cmpx_lt_u64_e64 v[14:15], v[4:5]
	s_cbranch_execnz .LBB43_23
.LBB43_19:                              ;   in Loop: Header=BB43_9 Depth=1
	s_or_b32 exec_lo, exec_lo, s1
	s_delay_alu instid0(SALU_CYCLE_1)
	s_mov_b32 s1, exec_lo
	v_cmpx_lt_u64_e64 v[16:17], v[4:5]
	s_cbranch_execz .LBB43_8
	s_branch .LBB43_24
.LBB43_20:                              ;   in Loop: Header=BB43_9 Depth=1
	v_lshlrev_b64_e32 v[18:19], 1, v[16:17]
	s_delay_alu instid0(VALU_DEP_1)
	v_add_nc_u64_e32 v[20:21], s[6:7], v[18:19]
	v_add_nc_u64_e32 v[18:19], s[4:5], v[18:19]
	global_load_u16 v22, v[20:21], off
	global_load_u16 v23, v[18:19], off
	s_wait_loadcnt 0x0
	v_dual_lshlrev_b32 v18, 16, v22 :: v_dual_lshlrev_b32 v19, 16, v23
	s_delay_alu instid0(VALU_DEP_1) | instskip(NEXT) | instid1(VALU_DEP_2)
	v_or_b32_e32 v7, v18, v7
	v_or_b32_e32 v9, v19, v9
	s_or_b32 exec_lo, exec_lo, s1
	s_delay_alu instid0(SALU_CYCLE_1)
	s_mov_b32 s1, exec_lo
	v_cmpx_lt_u64_e64 v[10:11], v[4:5]
	s_cbranch_execz .LBB43_17
.LBB43_21:                              ;   in Loop: Header=BB43_9 Depth=1
	v_lshlrev_b32_e32 v18, 16, v8
	v_fma_mix_f32_bf16 v19, s10, v8, v6 op_sel_hi:[0,1,1]
	v_lshl_add_u64 v[10:11], v[10:11], 1, s[6:7]
	s_delay_alu instid0(VALU_DEP_3) | instskip(NEXT) | instid1(VALU_DEP_1)
	v_mul_f32_e32 v18, s10, v18
	v_fma_mix_f32_bf16 v18, s8, v18, v6 op_sel_hi:[0,0,1]
	s_delay_alu instid0(VALU_DEP_1) | instskip(NEXT) | instid1(VALU_DEP_1)
	v_cndmask_b32_e64 v18, v18, v19, s0
	v_bfe_u32 v19, v18, 16, 1
	v_cmp_o_f32_e32 vcc_lo, v18, v18
	s_delay_alu instid0(VALU_DEP_2) | instskip(NEXT) | instid1(VALU_DEP_1)
	v_add3_u32 v19, v18, v19, 0x7fff
	v_lshrrev_b32_e32 v19, 16, v19
	s_delay_alu instid0(VALU_DEP_1) | instskip(SKIP_3) | instid1(SALU_CYCLE_1)
	v_cndmask_b32_e32 v18, 0x7fc0, v19, vcc_lo
	global_store_b16 v[10:11], v18, off
	s_wait_xcnt 0x0
	s_or_b32 exec_lo, exec_lo, s1
	s_mov_b32 s1, exec_lo
	v_cmpx_lt_u64_e64 v[12:13], v[4:5]
	s_cbranch_execz .LBB43_18
.LBB43_22:                              ;   in Loop: Header=BB43_9 Depth=1
	v_and_b32_e32 v10, 0xffff0000, v8
	v_fma_mix_f32_bf16 v11, s10, v8, v6 op_sel:[0,1,1] op_sel_hi:[0,1,1]
	s_delay_alu instid0(VALU_DEP_2) | instskip(NEXT) | instid1(VALU_DEP_1)
	v_mul_f32_e32 v10, s10, v10
	v_fma_mix_f32_bf16 v10, s8, v10, v6 op_sel:[0,0,1] op_sel_hi:[0,0,1]
	s_delay_alu instid0(VALU_DEP_1) | instskip(NEXT) | instid1(VALU_DEP_1)
	v_cndmask_b32_e64 v10, v10, v11, s0
	v_bfe_u32 v11, v10, 16, 1
	v_cmp_o_f32_e32 vcc_lo, v10, v10
	s_delay_alu instid0(VALU_DEP_2) | instskip(NEXT) | instid1(VALU_DEP_1)
	v_add3_u32 v11, v10, v11, 0x7fff
	v_lshrrev_b32_e32 v11, 16, v11
	s_delay_alu instid0(VALU_DEP_1) | instskip(SKIP_4) | instid1(SALU_CYCLE_1)
	v_cndmask_b32_e32 v18, 0x7fc0, v11, vcc_lo
	v_lshl_add_u64 v[10:11], v[12:13], 1, s[6:7]
	global_store_b16 v[10:11], v18, off
	s_wait_xcnt 0x0
	s_or_b32 exec_lo, exec_lo, s1
	s_mov_b32 s1, exec_lo
	v_cmpx_lt_u64_e64 v[14:15], v[4:5]
	s_cbranch_execz .LBB43_19
.LBB43_23:                              ;   in Loop: Header=BB43_9 Depth=1
	v_alignbit_b32 v8, v9, v8, 16
	v_alignbit_b32 v6, v7, v6, 16
	s_delay_alu instid0(VALU_DEP_2) | instskip(NEXT) | instid1(VALU_DEP_2)
	v_and_b32_e32 v10, 0xffff0000, v8
	v_fma_mix_f32_bf16 v8, s10, v8, v6 op_sel:[0,1,1] op_sel_hi:[0,1,1]
	s_delay_alu instid0(VALU_DEP_2) | instskip(NEXT) | instid1(VALU_DEP_1)
	v_mul_f32_e32 v10, s10, v10
	v_fma_mix_f32_bf16 v6, s8, v10, v6 op_sel:[0,0,1] op_sel_hi:[0,0,1]
	v_lshl_add_u64 v[10:11], v[14:15], 1, s[6:7]
	s_delay_alu instid0(VALU_DEP_2) | instskip(NEXT) | instid1(VALU_DEP_1)
	v_cndmask_b32_e64 v6, v6, v8, s0
	v_bfe_u32 v8, v6, 16, 1
	v_cmp_o_f32_e32 vcc_lo, v6, v6
	s_delay_alu instid0(VALU_DEP_2) | instskip(NEXT) | instid1(VALU_DEP_1)
	v_add3_u32 v8, v6, v8, 0x7fff
	v_lshrrev_b32_e32 v8, 16, v8
	s_delay_alu instid0(VALU_DEP_1) | instskip(SKIP_3) | instid1(SALU_CYCLE_1)
	v_cndmask_b32_e32 v6, 0x7fc0, v8, vcc_lo
	global_store_b16 v[10:11], v6, off
	s_wait_xcnt 0x0
	s_or_b32 exec_lo, exec_lo, s1
	s_mov_b32 s1, exec_lo
	v_cmpx_lt_u64_e64 v[16:17], v[4:5]
	s_cbranch_execz .LBB43_8
.LBB43_24:                              ;   in Loop: Header=BB43_9 Depth=1
	v_and_b32_e32 v6, 0xffff0000, v9
	v_fma_mix_f32_bf16 v8, s10, v9, v7 op_sel:[0,1,1] op_sel_hi:[0,1,1]
	s_delay_alu instid0(VALU_DEP_2) | instskip(NEXT) | instid1(VALU_DEP_1)
	v_mul_f32_e32 v6, s10, v6
	v_fma_mix_f32_bf16 v6, s8, v6, v7 op_sel:[0,0,1] op_sel_hi:[0,0,1]
	s_delay_alu instid0(VALU_DEP_1) | instskip(NEXT) | instid1(VALU_DEP_1)
	v_cndmask_b32_e64 v6, v6, v8, s0
	v_bfe_u32 v7, v6, 16, 1
	v_cmp_o_f32_e32 vcc_lo, v6, v6
	s_delay_alu instid0(VALU_DEP_2) | instskip(NEXT) | instid1(VALU_DEP_1)
	v_add3_u32 v7, v6, v7, 0x7fff
	v_lshrrev_b32_e32 v7, 16, v7
	s_delay_alu instid0(VALU_DEP_1)
	v_cndmask_b32_e32 v8, 0x7fc0, v7, vcc_lo
	v_lshl_add_u64 v[6:7], v[16:17], 1, s[6:7]
	global_store_b16 v[6:7], v8, off
	s_branch .LBB43_8
.LBB43_25:
	s_endpgm
	.section	.rodata,"a",@progbits
	.p2align	6, 0x0
	.amdhsa_kernel _ZN2at6native12_GLOBAL__N_125multi_tensor_apply_kernelINS1_18TensorListMetadataILi3EEENS1_32PointwiseOpScalar0dTensorFunctorIN3c108BFloat16ELi3ELi2ELi0EEEJSt10multipliesIfEfEEEvT_T0_DpT1_
		.amdhsa_group_segment_fixed_size 0
		.amdhsa_private_segment_fixed_size 0
		.amdhsa_kernarg_size 3408
		.amdhsa_user_sgpr_count 2
		.amdhsa_user_sgpr_dispatch_ptr 0
		.amdhsa_user_sgpr_queue_ptr 0
		.amdhsa_user_sgpr_kernarg_segment_ptr 1
		.amdhsa_user_sgpr_dispatch_id 0
		.amdhsa_user_sgpr_kernarg_preload_length 0
		.amdhsa_user_sgpr_kernarg_preload_offset 0
		.amdhsa_user_sgpr_private_segment_size 0
		.amdhsa_wavefront_size32 1
		.amdhsa_uses_dynamic_stack 0
		.amdhsa_enable_private_segment 0
		.amdhsa_system_sgpr_workgroup_id_x 1
		.amdhsa_system_sgpr_workgroup_id_y 0
		.amdhsa_system_sgpr_workgroup_id_z 0
		.amdhsa_system_sgpr_workgroup_info 0
		.amdhsa_system_vgpr_workitem_id 0
		.amdhsa_next_free_vgpr 27
		.amdhsa_next_free_sgpr 23
		.amdhsa_named_barrier_count 0
		.amdhsa_reserve_vcc 1
		.amdhsa_float_round_mode_32 0
		.amdhsa_float_round_mode_16_64 0
		.amdhsa_float_denorm_mode_32 3
		.amdhsa_float_denorm_mode_16_64 3
		.amdhsa_fp16_overflow 0
		.amdhsa_memory_ordered 1
		.amdhsa_forward_progress 1
		.amdhsa_inst_pref_size 16
		.amdhsa_round_robin_scheduling 0
		.amdhsa_exception_fp_ieee_invalid_op 0
		.amdhsa_exception_fp_denorm_src 0
		.amdhsa_exception_fp_ieee_div_zero 0
		.amdhsa_exception_fp_ieee_overflow 0
		.amdhsa_exception_fp_ieee_underflow 0
		.amdhsa_exception_fp_ieee_inexact 0
		.amdhsa_exception_int_div_zero 0
	.end_amdhsa_kernel
	.section	.text._ZN2at6native12_GLOBAL__N_125multi_tensor_apply_kernelINS1_18TensorListMetadataILi3EEENS1_32PointwiseOpScalar0dTensorFunctorIN3c108BFloat16ELi3ELi2ELi0EEEJSt10multipliesIfEfEEEvT_T0_DpT1_,"axG",@progbits,_ZN2at6native12_GLOBAL__N_125multi_tensor_apply_kernelINS1_18TensorListMetadataILi3EEENS1_32PointwiseOpScalar0dTensorFunctorIN3c108BFloat16ELi3ELi2ELi0EEEJSt10multipliesIfEfEEEvT_T0_DpT1_,comdat
.Lfunc_end43:
	.size	_ZN2at6native12_GLOBAL__N_125multi_tensor_apply_kernelINS1_18TensorListMetadataILi3EEENS1_32PointwiseOpScalar0dTensorFunctorIN3c108BFloat16ELi3ELi2ELi0EEEJSt10multipliesIfEfEEEvT_T0_DpT1_, .Lfunc_end43-_ZN2at6native12_GLOBAL__N_125multi_tensor_apply_kernelINS1_18TensorListMetadataILi3EEENS1_32PointwiseOpScalar0dTensorFunctorIN3c108BFloat16ELi3ELi2ELi0EEEJSt10multipliesIfEfEEEvT_T0_DpT1_
                                        ; -- End function
	.set _ZN2at6native12_GLOBAL__N_125multi_tensor_apply_kernelINS1_18TensorListMetadataILi3EEENS1_32PointwiseOpScalar0dTensorFunctorIN3c108BFloat16ELi3ELi2ELi0EEEJSt10multipliesIfEfEEEvT_T0_DpT1_.num_vgpr, 27
	.set _ZN2at6native12_GLOBAL__N_125multi_tensor_apply_kernelINS1_18TensorListMetadataILi3EEENS1_32PointwiseOpScalar0dTensorFunctorIN3c108BFloat16ELi3ELi2ELi0EEEJSt10multipliesIfEfEEEvT_T0_DpT1_.num_agpr, 0
	.set _ZN2at6native12_GLOBAL__N_125multi_tensor_apply_kernelINS1_18TensorListMetadataILi3EEENS1_32PointwiseOpScalar0dTensorFunctorIN3c108BFloat16ELi3ELi2ELi0EEEJSt10multipliesIfEfEEEvT_T0_DpT1_.numbered_sgpr, 23
	.set _ZN2at6native12_GLOBAL__N_125multi_tensor_apply_kernelINS1_18TensorListMetadataILi3EEENS1_32PointwiseOpScalar0dTensorFunctorIN3c108BFloat16ELi3ELi2ELi0EEEJSt10multipliesIfEfEEEvT_T0_DpT1_.num_named_barrier, 0
	.set _ZN2at6native12_GLOBAL__N_125multi_tensor_apply_kernelINS1_18TensorListMetadataILi3EEENS1_32PointwiseOpScalar0dTensorFunctorIN3c108BFloat16ELi3ELi2ELi0EEEJSt10multipliesIfEfEEEvT_T0_DpT1_.private_seg_size, 0
	.set _ZN2at6native12_GLOBAL__N_125multi_tensor_apply_kernelINS1_18TensorListMetadataILi3EEENS1_32PointwiseOpScalar0dTensorFunctorIN3c108BFloat16ELi3ELi2ELi0EEEJSt10multipliesIfEfEEEvT_T0_DpT1_.uses_vcc, 1
	.set _ZN2at6native12_GLOBAL__N_125multi_tensor_apply_kernelINS1_18TensorListMetadataILi3EEENS1_32PointwiseOpScalar0dTensorFunctorIN3c108BFloat16ELi3ELi2ELi0EEEJSt10multipliesIfEfEEEvT_T0_DpT1_.uses_flat_scratch, 0
	.set _ZN2at6native12_GLOBAL__N_125multi_tensor_apply_kernelINS1_18TensorListMetadataILi3EEENS1_32PointwiseOpScalar0dTensorFunctorIN3c108BFloat16ELi3ELi2ELi0EEEJSt10multipliesIfEfEEEvT_T0_DpT1_.has_dyn_sized_stack, 0
	.set _ZN2at6native12_GLOBAL__N_125multi_tensor_apply_kernelINS1_18TensorListMetadataILi3EEENS1_32PointwiseOpScalar0dTensorFunctorIN3c108BFloat16ELi3ELi2ELi0EEEJSt10multipliesIfEfEEEvT_T0_DpT1_.has_recursion, 0
	.set _ZN2at6native12_GLOBAL__N_125multi_tensor_apply_kernelINS1_18TensorListMetadataILi3EEENS1_32PointwiseOpScalar0dTensorFunctorIN3c108BFloat16ELi3ELi2ELi0EEEJSt10multipliesIfEfEEEvT_T0_DpT1_.has_indirect_call, 0
	.section	.AMDGPU.csdata,"",@progbits
; Kernel info:
; codeLenInByte = 2032
; TotalNumSgprs: 25
; NumVgprs: 27
; ScratchSize: 0
; MemoryBound: 0
; FloatMode: 240
; IeeeMode: 1
; LDSByteSize: 0 bytes/workgroup (compile time only)
; SGPRBlocks: 0
; VGPRBlocks: 1
; NumSGPRsForWavesPerEU: 25
; NumVGPRsForWavesPerEU: 27
; NamedBarCnt: 0
; Occupancy: 16
; WaveLimiterHint : 0
; COMPUTE_PGM_RSRC2:SCRATCH_EN: 0
; COMPUTE_PGM_RSRC2:USER_SGPR: 2
; COMPUTE_PGM_RSRC2:TRAP_HANDLER: 0
; COMPUTE_PGM_RSRC2:TGID_X_EN: 1
; COMPUTE_PGM_RSRC2:TGID_Y_EN: 0
; COMPUTE_PGM_RSRC2:TGID_Z_EN: 0
; COMPUTE_PGM_RSRC2:TIDIG_COMP_CNT: 0
	.section	.text._ZN2at6native12_GLOBAL__N_125multi_tensor_apply_kernelINS1_18TensorListMetadataILi4EEENS1_24PointwiseOpScalarFunctorIhLi4ELi3ELi3EEEJSt7dividesIhEhEEEvT_T0_DpT1_,"axG",@progbits,_ZN2at6native12_GLOBAL__N_125multi_tensor_apply_kernelINS1_18TensorListMetadataILi4EEENS1_24PointwiseOpScalarFunctorIhLi4ELi3ELi3EEEJSt7dividesIhEhEEEvT_T0_DpT1_,comdat
	.globl	_ZN2at6native12_GLOBAL__N_125multi_tensor_apply_kernelINS1_18TensorListMetadataILi4EEENS1_24PointwiseOpScalarFunctorIhLi4ELi3ELi3EEEJSt7dividesIhEhEEEvT_T0_DpT1_ ; -- Begin function _ZN2at6native12_GLOBAL__N_125multi_tensor_apply_kernelINS1_18TensorListMetadataILi4EEENS1_24PointwiseOpScalarFunctorIhLi4ELi3ELi3EEEJSt7dividesIhEhEEEvT_T0_DpT1_
	.p2align	8
	.type	_ZN2at6native12_GLOBAL__N_125multi_tensor_apply_kernelINS1_18TensorListMetadataILi4EEENS1_24PointwiseOpScalarFunctorIhLi4ELi3ELi3EEEJSt7dividesIhEhEEEvT_T0_DpT1_,@function
_ZN2at6native12_GLOBAL__N_125multi_tensor_apply_kernelINS1_18TensorListMetadataILi4EEENS1_24PointwiseOpScalarFunctorIhLi4ELi3ELi3EEEJSt7dividesIhEhEEEvT_T0_DpT1_: ; @_ZN2at6native12_GLOBAL__N_125multi_tensor_apply_kernelINS1_18TensorListMetadataILi4EEENS1_24PointwiseOpScalarFunctorIhLi4ELi3ELi3EEEJSt7dividesIhEhEEEvT_T0_DpT1_
; %bb.0:
	s_bfe_u32 s2, ttmp6, 0x4000c
	s_and_b32 s3, ttmp6, 15
	s_add_co_i32 s2, s2, 1
	s_getreg_b32 s4, hwreg(HW_REG_IB_STS2, 6, 4)
	s_mul_i32 s2, ttmp9, s2
	s_mov_b32 s13, 0
	s_add_co_i32 s3, s3, s2
	s_cmp_eq_u32 s4, 0
	s_load_b32 s18, s[0:1], 0xbe8
	s_cselect_b32 s12, ttmp9, s3
	s_load_u8 s15, s[0:1], s12 offset:0x5a0
	s_add_nc_u64 s[2:3], s[0:1], s[12:13]
	s_mul_u64 s[4:5], s[12:13], 3
	s_delay_alu instid0(SALU_CYCLE_1)
	s_add_nc_u64 s[10:11], s[2:3], s[4:5]
	s_load_b32 s14, s[10:11], 0x6e0
	s_wait_kmcnt 0x0
	s_clause 0x4
	s_load_b64 s[2:3], s[0:1], s15 offset:0x120 scale_offset
	s_load_b64 s[4:5], s[0:1], s15 offset:0x240 scale_offset
	;; [unrolled: 1-line block ×5, first 2 shown]
	s_wait_xcnt 0x0
	s_ashr_i32 s15, s14, 31
	s_delay_alu instid0(SALU_CYCLE_1) | instskip(SKIP_2) | instid1(SALU_CYCLE_1)
	s_lshl_b64 s[10:11], s[14:15], 16
	s_wait_kmcnt 0x0
	s_add_nc_u64 s[14:15], s[2:3], s[10:11]
	s_and_b32 s12, s14, 3
	s_add_nc_u64 s[14:15], s[4:5], s[10:11]
	s_cmp_eq_u64 s[12:13], 0
	s_cselect_b32 s19, -1, 0
	s_or_b32 s12, s6, s14
	s_add_nc_u64 s[14:15], s[8:9], s[10:11]
	s_and_b32 s12, s12, 3
	s_delay_alu instid0(SALU_CYCLE_1) | instskip(SKIP_2) | instid1(SALU_CYCLE_1)
	s_cmp_eq_u32 s12, 0
	s_cselect_b32 s20, -1, 0
	s_or_b64 s[14:15], s[16:17], s[14:15]
	s_and_b32 s12, s14, 3
	s_and_b32 s14, s20, s19
	s_cmp_eq_u64 s[12:13], 0
	s_cselect_b32 s12, -1, 0
	s_delay_alu instid0(SALU_CYCLE_1)
	s_and_b32 s14, s14, s12
	s_sub_nc_u64 s[12:13], s[16:17], s[10:11]
	s_and_b32 vcc_lo, exec_lo, s14
	s_mov_b32 s14, -1
	s_cbranch_vccnz .LBB44_19
; %bb.1:
	v_cmp_lt_i64_e64 s14, s[12:13], 1
	s_and_b32 vcc_lo, exec_lo, s14
	s_cbranch_vccnz .LBB44_18
; %bb.2:
	s_load_b32 s14, s[0:1], 0xbfc
	v_min_i64 v[2:3], 0x10000, s[12:13]
	v_min_u64 v[4:5], 0x10000, s[12:13]
	v_mov_b32_e32 v1, 0
	s_mov_b32 s15, 0
	s_lshr_b32 s19, s18, 16
	s_mov_b32 s17, s15
	s_mov_b32 s21, s15
	v_add_nc_u64_e32 v[14:15], s[10:11], v[0:1]
	s_delay_alu instid0(VALU_DEP_1)
	v_add_nc_u64_e32 v[6:7], s[8:9], v[14:15]
	v_add_nc_u64_e32 v[8:9], s[2:3], v[14:15]
	;; [unrolled: 1-line block ×4, first 2 shown]
	s_wait_kmcnt 0x0
	s_and_b32 s14, s14, 0xffff
	s_delay_alu instid0(SALU_CYCLE_1)
	s_lshl_b32 s16, s14, 1
	s_mul_i32 s20, s14, 3
	s_add_nc_u64 s[24:25], s[10:11], s[16:17]
	s_add_nc_u64 s[22:23], s[10:11], s[20:21]
	v_add_nc_u64_e32 v[24:25], s[14:15], v[14:15]
	v_add_nc_u64_e32 v[34:35], s[22:23], v[0:1]
	;; [unrolled: 1-line block ×6, first 2 shown]
	s_lshl_b32 s14, s14, 2
	v_add_nc_u64_e32 v[18:19], s[6:7], v[24:25]
	v_add_nc_u64_e32 v[20:21], s[8:9], v[24:25]
	;; [unrolled: 1-line block ×12, first 2 shown]
	s_mov_b64 s[16:17], 0
	s_branch .LBB44_4
.LBB44_3:                               ;   in Loop: Header=BB44_4 Depth=1
	s_wait_xcnt 0x0
	s_or_b32 exec_lo, exec_lo, s20
	v_add_nc_u64_e32 v[56:57], s[16:17], v[34:35]
	s_wait_loadcnt 0x0
	v_cvt_f32_ubyte0_e32 v51, v51
	v_cvt_f32_ubyte0_e32 v47, v47
	;; [unrolled: 1-line block ×4, first 2 shown]
	global_load_u8 v55, v[56:57], off
	s_wait_xcnt 0x0
	v_rcp_iflag_f32_e32 v56, v51
	v_nop
	s_delay_alu instid0(TRANS32_DEP_1) | instskip(NEXT) | instid1(VALU_DEP_1)
	v_mul_f32_e32 v56, v47, v56
	v_trunc_f32_e32 v56, v56
	s_delay_alu instid0(VALU_DEP_1) | instskip(SKIP_1) | instid1(VALU_DEP_2)
	v_fma_f32 v47, -v56, v51, v47
	v_cvt_u32_f32_e32 v56, v56
	v_cmp_ge_f32_e64 vcc_lo, |v47|, v51
	s_delay_alu instid0(VALU_DEP_1) | instskip(NEXT) | instid1(VALU_DEP_1)
	v_add_co_ci_u32_e64 v47, null, 0, v56, vcc_lo
	v_mad_u16 v47, v47, s19, v48
	v_cvt_f32_ubyte0_e32 v48, v49
	v_cvt_f32_ubyte0_e32 v49, v53
	s_delay_alu instid0(VALU_DEP_1) | instskip(SKIP_1) | instid1(TRANS32_DEP_1)
	v_rcp_iflag_f32_e32 v51, v49
	v_nop
	v_mul_f32_e32 v51, v48, v51
	s_delay_alu instid0(VALU_DEP_1) | instskip(NEXT) | instid1(VALU_DEP_1)
	v_trunc_f32_e32 v51, v51
	v_fma_f32 v48, -v51, v49, v48
	v_cvt_u32_f32_e32 v51, v51
	s_delay_alu instid0(VALU_DEP_2) | instskip(SKIP_1) | instid1(VALU_DEP_2)
	v_cmp_ge_f32_e64 vcc_lo, |v48|, v49
	v_cvt_f32_ubyte0_e32 v49, v52
	v_add_co_ci_u32_e64 v48, null, 0, v51, vcc_lo
	s_delay_alu instid0(VALU_DEP_1) | instskip(SKIP_2) | instid1(VALU_DEP_1)
	v_mad_u16 v48, v48, s19, v50
	s_wait_loadcnt 0x0
	v_cvt_f32_ubyte0_e32 v50, v55
	v_rcp_iflag_f32_e32 v51, v50
	v_nop
	s_delay_alu instid0(TRANS32_DEP_1) | instskip(NEXT) | instid1(VALU_DEP_1)
	v_mul_f32_e32 v51, v49, v51
	v_trunc_f32_e32 v51, v51
	s_delay_alu instid0(VALU_DEP_1) | instskip(SKIP_1) | instid1(VALU_DEP_2)
	v_fma_f32 v49, -v51, v50, v49
	v_cvt_u32_f32_e32 v51, v51
	v_cmp_ge_f32_e64 vcc_lo, |v49|, v50
	v_rcp_iflag_f32_e32 v50, v46
	s_delay_alu instid0(VALU_DEP_1) | instskip(NEXT) | instid1(TRANS32_DEP_1)
	v_add_co_ci_u32_e64 v49, null, 0, v51, vcc_lo
	v_mul_f32_e32 v50, v45, v50
	s_delay_alu instid0(VALU_DEP_2) | instskip(NEXT) | instid1(VALU_DEP_2)
	v_mad_u16 v49, v49, s19, v54
	v_trunc_f32_e32 v50, v50
	s_delay_alu instid0(VALU_DEP_1) | instskip(SKIP_1) | instid1(VALU_DEP_2)
	v_fma_f32 v45, -v50, v46, v45
	v_cvt_u32_f32_e32 v50, v50
	v_cmp_ge_f32_e64 vcc_lo, |v45|, v46
	s_delay_alu instid0(VALU_DEP_1) | instskip(NEXT) | instid1(VALU_DEP_1)
	v_add_co_ci_u32_e64 v45, null, 0, v50, vcc_lo
	v_mad_u16 v46, v45, s19, v44
	v_add_nc_u64_e32 v[44:45], s[16:17], v[12:13]
	global_store_b8 v[44:45], v46, off
	s_wait_xcnt 0x0
	v_add_nc_u64_e32 v[44:45], s[16:17], v[18:19]
	global_store_b8 v[44:45], v47, off
	s_wait_xcnt 0x0
	;; [unrolled: 3-line block ×3, first 2 shown]
	v_add_nc_u64_e32 v[44:45], s[16:17], v[26:27]
	s_add_nc_u64 s[16:17], s[16:17], s[14:15]
	s_delay_alu instid0(SALU_CYCLE_1)
	v_cmp_lt_i64_e32 vcc_lo, s[16:17], v[2:3]
	global_store_b8 v[44:45], v49, off
	s_cbranch_vccz .LBB44_18
.LBB44_4:                               ; =>This Inner Loop Header: Depth=1
	s_wait_xcnt 0x0
	v_add_nc_u64_e32 v[44:45], s[16:17], v[0:1]
	s_delay_alu instid0(VALU_DEP_1)
	v_cmp_lt_u64_e32 vcc_lo, v[44:45], v[4:5]
	v_dual_mov_b32 v45, 0 :: v_dual_mov_b32 v44, 0
	s_and_saveexec_b32 s20, vcc_lo
	s_cbranch_execz .LBB44_6
; %bb.5:                                ;   in Loop: Header=BB44_4 Depth=1
	v_add_nc_u64_e32 v[46:47], s[16:17], v[6:7]
	v_add_nc_u64_e32 v[48:49], s[16:17], v[8:9]
	global_load_u8 v44, v[46:47], off
	global_load_u8 v45, v[48:49], off
.LBB44_6:                               ;   in Loop: Header=BB44_4 Depth=1
	s_wait_xcnt 0x0
	s_or_b32 exec_lo, exec_lo, s20
	v_dual_mov_b32 v47, 0 :: v_dual_mov_b32 v46, 0
	s_and_saveexec_b32 s20, vcc_lo
	s_cbranch_execz .LBB44_8
; %bb.7:                                ;   in Loop: Header=BB44_4 Depth=1
	v_add_nc_u64_e32 v[48:49], s[16:17], v[10:11]
	global_load_u8 v46, v[48:49], off
.LBB44_8:                               ;   in Loop: Header=BB44_4 Depth=1
	s_wait_xcnt 0x0
	s_or_b32 exec_lo, exec_lo, s20
	v_add_nc_u64_e32 v[48:49], s[16:17], v[42:43]
	s_delay_alu instid0(VALU_DEP_1)
	v_cmp_lt_u64_e32 vcc_lo, v[48:49], v[4:5]
	v_mov_b32_e32 v48, 0
	s_and_saveexec_b32 s20, vcc_lo
	s_cbranch_execz .LBB44_10
; %bb.9:                                ;   in Loop: Header=BB44_4 Depth=1
	v_add_nc_u64_e32 v[50:51], s[16:17], v[20:21]
	v_add_nc_u64_e32 v[52:53], s[16:17], v[22:23]
	global_load_u8 v48, v[50:51], off
	global_load_u8 v47, v[52:53], off
.LBB44_10:                              ;   in Loop: Header=BB44_4 Depth=1
	s_wait_xcnt 0x0
	s_or_b32 exec_lo, exec_lo, s20
	v_dual_mov_b32 v49, 0 :: v_dual_mov_b32 v51, 0
	s_and_saveexec_b32 s20, vcc_lo
	s_cbranch_execz .LBB44_12
; %bb.11:                               ;   in Loop: Header=BB44_4 Depth=1
	v_add_nc_u64_e32 v[50:51], s[16:17], v[24:25]
	global_load_u8 v51, v[50:51], off
.LBB44_12:                              ;   in Loop: Header=BB44_4 Depth=1
	s_wait_xcnt 0x0
	s_or_b32 exec_lo, exec_lo, s20
	v_add_nc_u64_e32 v[52:53], s[16:17], v[16:17]
	v_mov_b32_e32 v50, 0
	s_delay_alu instid0(VALU_DEP_2)
	v_cmp_lt_u64_e32 vcc_lo, v[52:53], v[4:5]
	s_and_saveexec_b32 s20, vcc_lo
	s_cbranch_execz .LBB44_14
; %bb.13:                               ;   in Loop: Header=BB44_4 Depth=1
	v_add_nc_u64_e32 v[52:53], s[16:17], v[36:37]
	v_add_nc_u64_e32 v[54:55], s[16:17], v[38:39]
	global_load_u8 v50, v[52:53], off
	global_load_u8 v49, v[54:55], off
.LBB44_14:                              ;   in Loop: Header=BB44_4 Depth=1
	s_wait_xcnt 0x0
	s_or_b32 exec_lo, exec_lo, s20
	v_dual_mov_b32 v52, 0 :: v_dual_mov_b32 v53, 0
	s_and_saveexec_b32 s20, vcc_lo
	s_cbranch_execz .LBB44_16
; %bb.15:                               ;   in Loop: Header=BB44_4 Depth=1
	v_add_nc_u64_e32 v[54:55], s[16:17], v[40:41]
	global_load_u8 v53, v[54:55], off
.LBB44_16:                              ;   in Loop: Header=BB44_4 Depth=1
	s_wait_xcnt 0x0
	s_or_b32 exec_lo, exec_lo, s20
	v_add_nc_u64_e32 v[54:55], s[16:17], v[14:15]
	s_delay_alu instid0(VALU_DEP_1)
	v_cmp_lt_u64_e32 vcc_lo, v[54:55], v[4:5]
	v_mov_b32_e32 v54, 0
	s_and_saveexec_b32 s20, vcc_lo
	s_cbranch_execz .LBB44_3
; %bb.17:                               ;   in Loop: Header=BB44_4 Depth=1
	v_add_nc_u64_e32 v[56:57], s[16:17], v[30:31]
	v_add_nc_u64_e32 v[58:59], s[16:17], v[32:33]
	global_load_u8 v54, v[56:57], off
	global_load_u8 v52, v[58:59], off
	s_branch .LBB44_3
.LBB44_18:
	s_mov_b32 s14, 0
.LBB44_19:
	s_delay_alu instid0(SALU_CYCLE_1)
	s_and_not1_b32 vcc_lo, exec_lo, s14
	s_cbranch_vccnz .LBB44_23
; %bb.20:
	v_min_i64 v[2:3], 0x10000, s[12:13]
	v_dual_mov_b32 v5, 0 :: v_dual_lshlrev_b32 v4, 2, v0
	s_mov_b32 s12, exec_lo
	s_wait_xcnt 0x0
	s_delay_alu instid0(VALU_DEP_1)
	v_cmpx_lt_i64_e64 v[4:5], v[2:3]
	s_cbranch_execz .LBB44_23
; %bb.21:
	s_load_b32 s0, s[0:1], 0xbfc
	v_mov_b32_e32 v1, v5
	v_add_nc_u64_e32 v[4:5], s[10:11], v[4:5]
	s_wait_xcnt 0x0
	s_mov_b32 s1, 0
	s_lshr_b32 s12, s18, 16
	s_mov_b32 s11, s1
	s_mov_b32 s13, s1
	s_wait_kmcnt 0x0
	s_and_b32 s0, s0, 0xffff
	s_delay_alu instid0(SALU_CYCLE_1)
	s_lshl_b32 s10, s0, 2
.LBB44_22:                              ; =>This Inner Loop Header: Depth=1
	v_add_nc_u64_e32 v[6:7], s[2:3], v[4:5]
	v_add_nc_u64_e32 v[8:9], s[4:5], v[4:5]
	;; [unrolled: 1-line block ×4, first 2 shown]
	global_load_b32 v12, v[6:7], off
	global_load_b32 v13, v[8:9], off
	;; [unrolled: 1-line block ×3, first 2 shown]
	s_wait_loadcnt 0x2
	s_wait_xcnt 0x2
	v_cvt_f32_ubyte0_e32 v6, v12
	s_wait_loadcnt 0x1
	v_cvt_f32_ubyte0_e32 v7, v13
	s_wait_xcnt 0x0
	v_cvt_f32_ubyte1_e32 v10, v13
	v_cvt_f32_ubyte2_e32 v16, v13
	v_cvt_f32_ubyte3_e32 v13, v13
	v_cvt_f32_ubyte1_e32 v9, v12
	v_rcp_iflag_f32_e32 v18, v7
	v_rcp_iflag_f32_e32 v19, v10
	;; [unrolled: 1-line block ×3, first 2 shown]
	v_cvt_f32_ubyte2_e32 v15, v12
	v_rcp_iflag_f32_e32 v21, v13
	s_wait_loadcnt 0x0
	v_lshrrev_b32_e32 v17, 24, v14
	v_cvt_f32_ubyte3_e32 v12, v12
	v_dual_mul_f32 v18, v6, v18 :: v_dual_mul_f32 v19, v9, v19
	v_dual_mul_f32 v20, v15, v20 :: v_dual_lshrrev_b32 v8, 8, v14
	v_lshrrev_b32_e32 v11, 16, v14
	s_delay_alu instid0(VALU_DEP_3) | instskip(SKIP_3) | instid1(VALU_DEP_4)
	v_trunc_f32_e32 v18, v18
	v_mul_f32_e32 v21, v12, v21
	v_trunc_f32_e32 v19, v19
	v_trunc_f32_e32 v20, v20
	v_fma_f32 v6, -v18, v7, v6
	v_cvt_u32_f32_e32 v18, v18
	s_delay_alu instid0(VALU_DEP_3) | instskip(SKIP_1) | instid1(VALU_DEP_4)
	v_dual_fma_f32 v9, -v19, v10, v9 :: v_dual_fma_f32 v15, -v20, v16, v15
	v_cvt_u32_f32_e32 v19, v19
	v_cmp_ge_f32_e64 vcc_lo, |v6|, v7
	v_cvt_u32_f32_e32 v20, v20
	v_trunc_f32_e32 v21, v21
	s_delay_alu instid0(VALU_DEP_3) | instskip(SKIP_1) | instid1(VALU_DEP_1)
	v_add_co_ci_u32_e64 v18, null, 0, v18, vcc_lo
	v_cmp_ge_f32_e64 vcc_lo, |v9|, v10
	v_add_co_ci_u32_e64 v6, null, 0, v19, vcc_lo
	v_cmp_ge_f32_e64 vcc_lo, |v15|, v16
	s_delay_alu instid0(VALU_DEP_2) | instskip(NEXT) | instid1(VALU_DEP_2)
	v_mad_u16 v8, v6, s12, v8
	v_add_co_ci_u32_e64 v7, null, 0, v20, vcc_lo
	s_delay_alu instid0(VALU_DEP_2) | instskip(NEXT) | instid1(VALU_DEP_2)
	v_and_b32_e32 v8, 0xff, v8
	v_mad_u16 v10, v7, s12, v11
	v_lshlrev_b64_e32 v[6:7], 2, v[0:1]
	v_mad_u16 v11, v18, s12, v14
	s_delay_alu instid0(VALU_DEP_3) | instskip(SKIP_2) | instid1(VALU_DEP_4)
	v_and_b32_e32 v10, 0xff, v10
	v_fma_f32 v12, -v21, v13, v12
	v_cvt_u32_f32_e32 v21, v21
	v_perm_b32 v8, v8, v11, 0x6050400
	s_delay_alu instid0(VALU_DEP_4) | instskip(NEXT) | instid1(VALU_DEP_4)
	v_lshlrev_b32_e32 v10, 16, v10
	v_cmp_ge_f32_e64 vcc_lo, |v12|, v13
	s_delay_alu instid0(VALU_DEP_1) | instskip(SKIP_3) | instid1(VALU_DEP_4)
	v_add_co_ci_u32_e64 v9, null, 0, v21, vcc_lo
	v_cmp_ge_i64_e32 vcc_lo, v[6:7], v[2:3]
	v_add_nc_u64_e32 v[6:7], s[6:7], v[4:5]
	v_add_nc_u64_e32 v[4:5], s[10:11], v[4:5]
	v_mad_u16 v9, v9, s12, v17
	s_or_b32 s13, vcc_lo, s13
	s_delay_alu instid0(VALU_DEP_1) | instskip(NEXT) | instid1(VALU_DEP_1)
	v_lshlrev_b32_e32 v9, 24, v9
	v_or3_b32 v8, v8, v10, v9
	global_store_b32 v[6:7], v8, off
	s_wait_xcnt 0x0
	s_and_not1_b32 exec_lo, exec_lo, s13
	s_cbranch_execnz .LBB44_22
.LBB44_23:
	s_endpgm
	.section	.rodata,"a",@progbits
	.p2align	6, 0x0
	.amdhsa_kernel _ZN2at6native12_GLOBAL__N_125multi_tensor_apply_kernelINS1_18TensorListMetadataILi4EEENS1_24PointwiseOpScalarFunctorIhLi4ELi3ELi3EEEJSt7dividesIhEhEEEvT_T0_DpT1_
		.amdhsa_group_segment_fixed_size 0
		.amdhsa_private_segment_fixed_size 0
		.amdhsa_kernarg_size 3312
		.amdhsa_user_sgpr_count 2
		.amdhsa_user_sgpr_dispatch_ptr 0
		.amdhsa_user_sgpr_queue_ptr 0
		.amdhsa_user_sgpr_kernarg_segment_ptr 1
		.amdhsa_user_sgpr_dispatch_id 0
		.amdhsa_user_sgpr_kernarg_preload_length 0
		.amdhsa_user_sgpr_kernarg_preload_offset 0
		.amdhsa_user_sgpr_private_segment_size 0
		.amdhsa_wavefront_size32 1
		.amdhsa_uses_dynamic_stack 0
		.amdhsa_enable_private_segment 0
		.amdhsa_system_sgpr_workgroup_id_x 1
		.amdhsa_system_sgpr_workgroup_id_y 0
		.amdhsa_system_sgpr_workgroup_id_z 0
		.amdhsa_system_sgpr_workgroup_info 0
		.amdhsa_system_vgpr_workitem_id 0
		.amdhsa_next_free_vgpr 60
		.amdhsa_next_free_sgpr 26
		.amdhsa_named_barrier_count 0
		.amdhsa_reserve_vcc 1
		.amdhsa_float_round_mode_32 0
		.amdhsa_float_round_mode_16_64 0
		.amdhsa_float_denorm_mode_32 3
		.amdhsa_float_denorm_mode_16_64 3
		.amdhsa_fp16_overflow 0
		.amdhsa_memory_ordered 1
		.amdhsa_forward_progress 1
		.amdhsa_inst_pref_size 15
		.amdhsa_round_robin_scheduling 0
		.amdhsa_exception_fp_ieee_invalid_op 0
		.amdhsa_exception_fp_denorm_src 0
		.amdhsa_exception_fp_ieee_div_zero 0
		.amdhsa_exception_fp_ieee_overflow 0
		.amdhsa_exception_fp_ieee_underflow 0
		.amdhsa_exception_fp_ieee_inexact 0
		.amdhsa_exception_int_div_zero 0
	.end_amdhsa_kernel
	.section	.text._ZN2at6native12_GLOBAL__N_125multi_tensor_apply_kernelINS1_18TensorListMetadataILi4EEENS1_24PointwiseOpScalarFunctorIhLi4ELi3ELi3EEEJSt7dividesIhEhEEEvT_T0_DpT1_,"axG",@progbits,_ZN2at6native12_GLOBAL__N_125multi_tensor_apply_kernelINS1_18TensorListMetadataILi4EEENS1_24PointwiseOpScalarFunctorIhLi4ELi3ELi3EEEJSt7dividesIhEhEEEvT_T0_DpT1_,comdat
.Lfunc_end44:
	.size	_ZN2at6native12_GLOBAL__N_125multi_tensor_apply_kernelINS1_18TensorListMetadataILi4EEENS1_24PointwiseOpScalarFunctorIhLi4ELi3ELi3EEEJSt7dividesIhEhEEEvT_T0_DpT1_, .Lfunc_end44-_ZN2at6native12_GLOBAL__N_125multi_tensor_apply_kernelINS1_18TensorListMetadataILi4EEENS1_24PointwiseOpScalarFunctorIhLi4ELi3ELi3EEEJSt7dividesIhEhEEEvT_T0_DpT1_
                                        ; -- End function
	.set _ZN2at6native12_GLOBAL__N_125multi_tensor_apply_kernelINS1_18TensorListMetadataILi4EEENS1_24PointwiseOpScalarFunctorIhLi4ELi3ELi3EEEJSt7dividesIhEhEEEvT_T0_DpT1_.num_vgpr, 60
	.set _ZN2at6native12_GLOBAL__N_125multi_tensor_apply_kernelINS1_18TensorListMetadataILi4EEENS1_24PointwiseOpScalarFunctorIhLi4ELi3ELi3EEEJSt7dividesIhEhEEEvT_T0_DpT1_.num_agpr, 0
	.set _ZN2at6native12_GLOBAL__N_125multi_tensor_apply_kernelINS1_18TensorListMetadataILi4EEENS1_24PointwiseOpScalarFunctorIhLi4ELi3ELi3EEEJSt7dividesIhEhEEEvT_T0_DpT1_.numbered_sgpr, 26
	.set _ZN2at6native12_GLOBAL__N_125multi_tensor_apply_kernelINS1_18TensorListMetadataILi4EEENS1_24PointwiseOpScalarFunctorIhLi4ELi3ELi3EEEJSt7dividesIhEhEEEvT_T0_DpT1_.num_named_barrier, 0
	.set _ZN2at6native12_GLOBAL__N_125multi_tensor_apply_kernelINS1_18TensorListMetadataILi4EEENS1_24PointwiseOpScalarFunctorIhLi4ELi3ELi3EEEJSt7dividesIhEhEEEvT_T0_DpT1_.private_seg_size, 0
	.set _ZN2at6native12_GLOBAL__N_125multi_tensor_apply_kernelINS1_18TensorListMetadataILi4EEENS1_24PointwiseOpScalarFunctorIhLi4ELi3ELi3EEEJSt7dividesIhEhEEEvT_T0_DpT1_.uses_vcc, 1
	.set _ZN2at6native12_GLOBAL__N_125multi_tensor_apply_kernelINS1_18TensorListMetadataILi4EEENS1_24PointwiseOpScalarFunctorIhLi4ELi3ELi3EEEJSt7dividesIhEhEEEvT_T0_DpT1_.uses_flat_scratch, 0
	.set _ZN2at6native12_GLOBAL__N_125multi_tensor_apply_kernelINS1_18TensorListMetadataILi4EEENS1_24PointwiseOpScalarFunctorIhLi4ELi3ELi3EEEJSt7dividesIhEhEEEvT_T0_DpT1_.has_dyn_sized_stack, 0
	.set _ZN2at6native12_GLOBAL__N_125multi_tensor_apply_kernelINS1_18TensorListMetadataILi4EEENS1_24PointwiseOpScalarFunctorIhLi4ELi3ELi3EEEJSt7dividesIhEhEEEvT_T0_DpT1_.has_recursion, 0
	.set _ZN2at6native12_GLOBAL__N_125multi_tensor_apply_kernelINS1_18TensorListMetadataILi4EEENS1_24PointwiseOpScalarFunctorIhLi4ELi3ELi3EEEJSt7dividesIhEhEEEvT_T0_DpT1_.has_indirect_call, 0
	.section	.AMDGPU.csdata,"",@progbits
; Kernel info:
; codeLenInByte = 1796
; TotalNumSgprs: 28
; NumVgprs: 60
; ScratchSize: 0
; MemoryBound: 0
; FloatMode: 240
; IeeeMode: 1
; LDSByteSize: 0 bytes/workgroup (compile time only)
; SGPRBlocks: 0
; VGPRBlocks: 3
; NumSGPRsForWavesPerEU: 28
; NumVGPRsForWavesPerEU: 60
; NamedBarCnt: 0
; Occupancy: 16
; WaveLimiterHint : 0
; COMPUTE_PGM_RSRC2:SCRATCH_EN: 0
; COMPUTE_PGM_RSRC2:USER_SGPR: 2
; COMPUTE_PGM_RSRC2:TRAP_HANDLER: 0
; COMPUTE_PGM_RSRC2:TGID_X_EN: 1
; COMPUTE_PGM_RSRC2:TGID_Y_EN: 0
; COMPUTE_PGM_RSRC2:TGID_Z_EN: 0
; COMPUTE_PGM_RSRC2:TIDIG_COMP_CNT: 0
	.section	.text._ZN2at6native12_GLOBAL__N_125multi_tensor_apply_kernelINS1_18TensorListMetadataILi4EEENS1_24PointwiseOpScalarFunctorIaLi4ELi3ELi3EEEJSt7dividesIaEaEEEvT_T0_DpT1_,"axG",@progbits,_ZN2at6native12_GLOBAL__N_125multi_tensor_apply_kernelINS1_18TensorListMetadataILi4EEENS1_24PointwiseOpScalarFunctorIaLi4ELi3ELi3EEEJSt7dividesIaEaEEEvT_T0_DpT1_,comdat
	.globl	_ZN2at6native12_GLOBAL__N_125multi_tensor_apply_kernelINS1_18TensorListMetadataILi4EEENS1_24PointwiseOpScalarFunctorIaLi4ELi3ELi3EEEJSt7dividesIaEaEEEvT_T0_DpT1_ ; -- Begin function _ZN2at6native12_GLOBAL__N_125multi_tensor_apply_kernelINS1_18TensorListMetadataILi4EEENS1_24PointwiseOpScalarFunctorIaLi4ELi3ELi3EEEJSt7dividesIaEaEEEvT_T0_DpT1_
	.p2align	8
	.type	_ZN2at6native12_GLOBAL__N_125multi_tensor_apply_kernelINS1_18TensorListMetadataILi4EEENS1_24PointwiseOpScalarFunctorIaLi4ELi3ELi3EEEJSt7dividesIaEaEEEvT_T0_DpT1_,@function
_ZN2at6native12_GLOBAL__N_125multi_tensor_apply_kernelINS1_18TensorListMetadataILi4EEENS1_24PointwiseOpScalarFunctorIaLi4ELi3ELi3EEEJSt7dividesIaEaEEEvT_T0_DpT1_: ; @_ZN2at6native12_GLOBAL__N_125multi_tensor_apply_kernelINS1_18TensorListMetadataILi4EEENS1_24PointwiseOpScalarFunctorIaLi4ELi3ELi3EEEJSt7dividesIaEaEEEvT_T0_DpT1_
; %bb.0:
	s_bfe_u32 s2, ttmp6, 0x4000c
	s_and_b32 s3, ttmp6, 15
	s_add_co_i32 s2, s2, 1
	s_getreg_b32 s4, hwreg(HW_REG_IB_STS2, 6, 4)
	s_mul_i32 s2, ttmp9, s2
	s_load_b32 s22, s[0:1], 0xbe8
	s_add_co_i32 s3, s3, s2
	s_cmp_eq_u32 s4, 0
	s_cselect_b32 s2, ttmp9, s3
	s_mov_b32 s3, 0
	s_load_u8 s15, s[0:1], s2 offset:0x5a0
	s_add_nc_u64 s[4:5], s[0:1], s[2:3]
	s_mul_u64 s[6:7], s[2:3], 3
	s_delay_alu instid0(SALU_CYCLE_1)
	s_add_nc_u64 s[4:5], s[4:5], s[6:7]
	s_load_b32 s14, s[4:5], 0x6e0
	s_wait_kmcnt 0x0
	s_clause 0x4
	s_load_b64 s[6:7], s[0:1], s15 offset:0x120 scale_offset
	s_load_b64 s[8:9], s[0:1], s15 offset:0x240 scale_offset
	;; [unrolled: 1-line block ×5, first 2 shown]
	s_wait_xcnt 0x0
	s_ashr_i32 s15, s14, 31
	s_delay_alu instid0(SALU_CYCLE_1) | instskip(SKIP_2) | instid1(SALU_CYCLE_1)
	s_lshl_b64 s[14:15], s[14:15], 16
	s_wait_kmcnt 0x0
	s_add_nc_u64 s[4:5], s[6:7], s[14:15]
	s_and_b32 s2, s4, 3
	s_add_nc_u64 s[4:5], s[8:9], s[14:15]
	s_cmp_eq_u64 s[2:3], 0
	s_cselect_b32 s18, -1, 0
	s_or_b32 s2, s10, s4
	s_add_nc_u64 s[4:5], s[12:13], s[14:15]
	s_and_b32 s2, s2, 3
	s_delay_alu instid0(SALU_CYCLE_1)
	s_cmp_eq_u32 s2, 0
	s_cselect_b32 s19, -1, 0
	s_or_b64 s[4:5], s[16:17], s[4:5]
	s_sub_nc_u64 s[16:17], s[16:17], s[14:15]
	s_and_b32 s2, s4, 3
	s_and_b32 s4, s19, s18
	s_cmp_eq_u64 s[2:3], 0
	s_cselect_b32 s2, -1, 0
	s_delay_alu instid0(SALU_CYCLE_1) | instskip(NEXT) | instid1(SALU_CYCLE_1)
	s_and_b32 s2, s4, s2
	s_and_b32 vcc_lo, exec_lo, s2
	s_mov_b32 s2, -1
	s_cbranch_vccnz .LBB45_45
; %bb.1:
	v_cmp_lt_i64_e64 s2, s[16:17], 1
	s_and_b32 vcc_lo, exec_lo, s2
	s_cbranch_vccnz .LBB45_44
; %bb.2:
	s_load_b32 s2, s[0:1], 0xbfc
	v_min_i64 v[2:3], 0x10000, s[16:17]
	v_min_u64 v[4:5], 0x10000, s[16:17]
	v_mov_b32_e32 v1, 0
	s_mov_b32 s19, 0
	s_bfe_u32 s23, s22, 0x80010
	s_mov_b32 s3, s19
	s_mov_b32 s5, s19
	v_add_nc_u64_e32 v[14:15], s[14:15], v[0:1]
	s_delay_alu instid0(VALU_DEP_1)
	v_add_nc_u64_e32 v[6:7], s[12:13], v[14:15]
	v_add_nc_u64_e32 v[8:9], s[6:7], v[14:15]
	;; [unrolled: 1-line block ×4, first 2 shown]
	s_wait_kmcnt 0x0
	s_and_b32 s18, s2, 0xffff
	s_delay_alu instid0(SALU_CYCLE_1)
	s_lshl_b32 s2, s18, 1
	s_mul_i32 s4, s18, 3
	v_add_nc_u64_e32 v[40:41], s[18:19], v[14:15]
	s_add_nc_u64 s[20:21], s[14:15], s[4:5]
	v_add_nc_u64_e32 v[14:15], s[4:5], v[0:1]
	s_add_nc_u64 s[4:5], s[14:15], s[2:3]
	v_add_nc_u64_e32 v[26:27], s[20:21], v[0:1]
	v_add_nc_u64_e32 v[34:35], s[4:5], v[0:1]
	;; [unrolled: 1-line block ×16, first 2 shown]
	s_cmp_lg_u32 s23, 1
	s_mov_b64 s[20:21], 0
	s_cselect_b32 s23, -1, 0
	s_lshl_b32 s18, s18, 2
	s_lshr_b32 s24, s22, 16
	s_branch .LBB45_4
.LBB45_3:                               ;   in Loop: Header=BB45_4 Depth=1
	s_wait_xcnt 0x0
	s_or_b32 exec_lo, exec_lo, s2
	s_add_nc_u64 s[20:21], s[20:21], s[18:19]
	s_delay_alu instid0(SALU_CYCLE_1)
	v_cmp_ge_i64_e32 vcc_lo, s[20:21], v[2:3]
	s_cbranch_vccnz .LBB45_44
.LBB45_4:                               ; =>This Inner Loop Header: Depth=1
	v_add_nc_u64_e32 v[44:45], s[20:21], v[0:1]
	v_dual_mov_b32 v50, 0 :: v_dual_mov_b32 v49, 0
	s_delay_alu instid0(VALU_DEP_2)
	v_cmp_lt_u64_e64 s2, v[44:45], v[4:5]
	s_and_saveexec_b32 s3, s2
	s_cbranch_execz .LBB45_6
; %bb.5:                                ;   in Loop: Header=BB45_4 Depth=1
	v_add_nc_u64_e32 v[44:45], s[20:21], v[6:7]
	v_add_nc_u64_e32 v[46:47], s[20:21], v[8:9]
	global_load_u8 v49, v[44:45], off
	global_load_u8 v50, v[46:47], off
.LBB45_6:                               ;   in Loop: Header=BB45_4 Depth=1
	s_wait_xcnt 0x0
	s_or_b32 exec_lo, exec_lo, s3
	v_dual_mov_b32 v51, 0 :: v_dual_mov_b32 v55, 0
	s_and_saveexec_b32 s3, s2
	s_cbranch_execz .LBB45_8
; %bb.7:                                ;   in Loop: Header=BB45_4 Depth=1
	v_add_nc_u64_e32 v[44:45], s[20:21], v[10:11]
	global_load_u8 v55, v[44:45], off
.LBB45_8:                               ;   in Loop: Header=BB45_4 Depth=1
	s_wait_xcnt 0x0
	s_or_b32 exec_lo, exec_lo, s3
	v_add_nc_u64_e32 v[44:45], s[20:21], v[42:43]
	v_mov_b32_e32 v47, 0
	s_delay_alu instid0(VALU_DEP_2)
	v_cmp_lt_u64_e64 s3, v[44:45], v[4:5]
	s_and_saveexec_b32 s4, s3
	s_cbranch_execz .LBB45_10
; %bb.9:                                ;   in Loop: Header=BB45_4 Depth=1
	v_add_nc_u64_e32 v[44:45], s[20:21], v[18:19]
	v_add_nc_u64_e32 v[52:53], s[20:21], v[36:37]
	global_load_u8 v47, v[44:45], off
	global_load_u8 v51, v[52:53], off
.LBB45_10:                              ;   in Loop: Header=BB45_4 Depth=1
	s_wait_xcnt 0x0
	s_or_b32 exec_lo, exec_lo, s4
	v_dual_mov_b32 v48, 0 :: v_dual_mov_b32 v54, 0
	s_and_saveexec_b32 s4, s3
	s_cbranch_execz .LBB45_12
; %bb.11:                               ;   in Loop: Header=BB45_4 Depth=1
	v_add_nc_u64_e32 v[44:45], s[20:21], v[38:39]
	global_load_u8 v54, v[44:45], off
.LBB45_12:                              ;   in Loop: Header=BB45_4 Depth=1
	s_wait_xcnt 0x0
	s_or_b32 exec_lo, exec_lo, s4
	v_add_nc_u64_e32 v[44:45], s[20:21], v[16:17]
	s_delay_alu instid0(VALU_DEP_1)
	v_cmp_lt_u64_e64 s4, v[44:45], v[4:5]
	v_mov_b32_e32 v45, 0
	s_and_saveexec_b32 s5, s4
	s_cbranch_execz .LBB45_14
; %bb.13:                               ;   in Loop: Header=BB45_4 Depth=1
	v_add_nc_u64_e32 v[52:53], s[20:21], v[28:29]
	v_add_nc_u64_e32 v[56:57], s[20:21], v[30:31]
	global_load_u8 v45, v[52:53], off
	global_load_u8 v48, v[56:57], off
.LBB45_14:                              ;   in Loop: Header=BB45_4 Depth=1
	s_wait_xcnt 0x0
	s_or_b32 exec_lo, exec_lo, s5
	v_dual_mov_b32 v46, 0 :: v_dual_mov_b32 v53, 0
	s_and_saveexec_b32 s5, s4
	s_cbranch_execz .LBB45_16
; %bb.15:                               ;   in Loop: Header=BB45_4 Depth=1
	v_add_nc_u64_e32 v[52:53], s[20:21], v[32:33]
	global_load_u8 v53, v[52:53], off
.LBB45_16:                              ;   in Loop: Header=BB45_4 Depth=1
	s_wait_xcnt 0x0
	s_or_b32 exec_lo, exec_lo, s5
	v_add_nc_u64_e32 v[56:57], s[20:21], v[14:15]
	v_mov_b32_e32 v44, 0
	s_delay_alu instid0(VALU_DEP_2)
	v_cmp_lt_u64_e64 s5, v[56:57], v[4:5]
	s_and_saveexec_b32 s25, s5
	s_cbranch_execz .LBB45_18
; %bb.17:                               ;   in Loop: Header=BB45_4 Depth=1
	v_add_nc_u64_e32 v[56:57], s[20:21], v[20:21]
	v_add_nc_u64_e32 v[58:59], s[20:21], v[22:23]
	global_load_u8 v44, v[56:57], off
	global_load_u8 v46, v[58:59], off
.LBB45_18:                              ;   in Loop: Header=BB45_4 Depth=1
	s_wait_xcnt 0x0
	s_or_b32 exec_lo, exec_lo, s25
	v_mov_b32_e32 v52, 0
	s_and_saveexec_b32 s25, s5
	s_cbranch_execz .LBB45_20
; %bb.19:                               ;   in Loop: Header=BB45_4 Depth=1
	v_add_nc_u64_e32 v[56:57], s[20:21], v[24:25]
	global_load_u8 v52, v[56:57], off
.LBB45_20:                              ;   in Loop: Header=BB45_4 Depth=1
	s_wait_xcnt 0x0
	s_or_b32 exec_lo, exec_lo, s25
	s_wait_loadcnt 0x0
	v_bfe_i32 v55, v55, 0, 8
	v_bfe_i32 v50, v50, 0, 8
	s_mov_b32 s25, -1
	s_delay_alu instid0(VALU_DEP_2) | instskip(NEXT) | instid1(VALU_DEP_2)
	v_cvt_f32_i32_e32 v56, v55
	v_cvt_f32_i32_e32 v58, v50
	v_xor_b32_e32 v50, v50, v55
	s_delay_alu instid0(VALU_DEP_3) | instskip(SKIP_1) | instid1(TRANS32_DEP_1)
	v_rcp_iflag_f32_e32 v57, v56
	v_nop
	v_dual_mul_f32 v57, v58, v57 :: v_dual_ashrrev_i32 v50, 30, v50
	s_delay_alu instid0(VALU_DEP_1) | instskip(NEXT) | instid1(VALU_DEP_2)
	v_or_b32_e32 v50, 1, v50
	v_trunc_f32_e32 v55, v57
	s_delay_alu instid0(VALU_DEP_1) | instskip(SKIP_1) | instid1(VALU_DEP_2)
	v_fma_f32 v57, -v55, v56, v58
	v_cvt_i32_f32_e32 v55, v55
	v_cmp_ge_f32_e64 vcc_lo, |v57|, |v56|
	v_cndmask_b32_e32 v50, 0, v50, vcc_lo
	s_and_b32 vcc_lo, exec_lo, s23
	s_delay_alu instid0(VALU_DEP_1) | instskip(NEXT) | instid1(VALU_DEP_1)
	v_add_nc_u32_e32 v50, v55, v50
	v_bfe_i32 v55, v50, 0, 8
                                        ; implicit-def: $vgpr50
	s_cbranch_vccz .LBB45_22
; %bb.21:                               ;   in Loop: Header=BB45_4 Depth=1
	s_delay_alu instid0(VALU_DEP_1)
	v_mad_u16 v50, s24, v55, v49
	s_mov_b32 s25, 0
.LBB45_22:                              ;   in Loop: Header=BB45_4 Depth=1
	s_delay_alu instid0(SALU_CYCLE_1)
	s_and_not1_b32 vcc_lo, exec_lo, s25
	s_cbranch_vccnz .LBB45_24
; %bb.23:                               ;   in Loop: Header=BB45_4 Depth=1
	s_delay_alu instid0(VALU_DEP_1)
	v_add_nc_u16 v50, v49, v55
.LBB45_24:                              ;   in Loop: Header=BB45_4 Depth=1
	v_bfe_i32 v49, v54, 0, 8
	v_bfe_i32 v51, v51, 0, 8
	s_mov_b32 s25, -1
	s_delay_alu instid0(VALU_DEP_2) | instskip(NEXT) | instid1(VALU_DEP_2)
	v_cvt_f32_i32_e32 v54, v49
	v_cvt_f32_i32_e32 v56, v51
	v_xor_b32_e32 v49, v51, v49
	s_delay_alu instid0(VALU_DEP_3) | instskip(SKIP_1) | instid1(TRANS32_DEP_1)
	v_rcp_iflag_f32_e32 v55, v54
	v_nop
	v_mul_f32_e32 v55, v56, v55
	s_delay_alu instid0(VALU_DEP_1) | instskip(NEXT) | instid1(VALU_DEP_1)
	v_trunc_f32_e32 v51, v55
	v_dual_ashrrev_i32 v49, 30, v49 :: v_dual_fma_f32 v55, -v51, v54, v56
	s_delay_alu instid0(VALU_DEP_1) | instskip(SKIP_1) | instid1(VALU_DEP_3)
	v_or_b32_e32 v49, 1, v49
	v_cvt_i32_f32_e32 v51, v51
	v_cmp_ge_f32_e64 vcc_lo, |v55|, |v54|
	s_delay_alu instid0(VALU_DEP_3) | instskip(SKIP_1) | instid1(VALU_DEP_1)
	v_cndmask_b32_e32 v49, 0, v49, vcc_lo
	s_and_not1_b32 vcc_lo, exec_lo, s23
	v_add_nc_u32_e32 v49, v51, v49
	s_delay_alu instid0(VALU_DEP_1)
	v_bfe_i32 v51, v49, 0, 8
                                        ; implicit-def: $vgpr49
	s_cbranch_vccnz .LBB45_26
; %bb.25:                               ;   in Loop: Header=BB45_4 Depth=1
	s_delay_alu instid0(VALU_DEP_1)
	v_mad_u16 v49, s24, v51, v47
	s_mov_b32 s25, 0
.LBB45_26:                              ;   in Loop: Header=BB45_4 Depth=1
	s_delay_alu instid0(SALU_CYCLE_1)
	s_and_not1_b32 vcc_lo, exec_lo, s25
	s_cbranch_vccnz .LBB45_28
; %bb.27:                               ;   in Loop: Header=BB45_4 Depth=1
	s_delay_alu instid0(VALU_DEP_1)
	v_add_nc_u16 v49, v47, v51
.LBB45_28:                              ;   in Loop: Header=BB45_4 Depth=1
	v_bfe_i32 v47, v53, 0, 8
	v_bfe_i32 v48, v48, 0, 8
	s_mov_b32 s25, -1
	s_delay_alu instid0(VALU_DEP_2) | instskip(NEXT) | instid1(VALU_DEP_2)
	v_cvt_f32_i32_e32 v51, v47
	v_cvt_f32_i32_e32 v54, v48
	v_xor_b32_e32 v47, v48, v47
	s_delay_alu instid0(VALU_DEP_3) | instskip(SKIP_1) | instid1(TRANS32_DEP_1)
	v_rcp_iflag_f32_e32 v53, v51
	v_nop
	v_dual_ashrrev_i32 v47, 30, v47 :: v_dual_mul_f32 v53, v54, v53
	s_delay_alu instid0(VALU_DEP_1) | instskip(NEXT) | instid1(VALU_DEP_2)
	v_or_b32_e32 v47, 1, v47
	v_trunc_f32_e32 v48, v53
	s_delay_alu instid0(VALU_DEP_1) | instskip(SKIP_1) | instid1(VALU_DEP_2)
	v_fma_f32 v53, -v48, v51, v54
	v_cvt_i32_f32_e32 v48, v48
	v_cmp_ge_f32_e64 vcc_lo, |v53|, |v51|
	v_cndmask_b32_e32 v47, 0, v47, vcc_lo
	s_and_not1_b32 vcc_lo, exec_lo, s23
	s_delay_alu instid0(VALU_DEP_1) | instskip(NEXT) | instid1(VALU_DEP_1)
	v_add_nc_u32_e32 v47, v48, v47
	v_bfe_i32 v48, v47, 0, 8
                                        ; implicit-def: $vgpr47
	s_cbranch_vccnz .LBB45_30
; %bb.29:                               ;   in Loop: Header=BB45_4 Depth=1
	s_delay_alu instid0(VALU_DEP_1)
	v_mad_u16 v47, s24, v48, v45
	s_mov_b32 s25, 0
.LBB45_30:                              ;   in Loop: Header=BB45_4 Depth=1
	s_delay_alu instid0(SALU_CYCLE_1)
	s_and_not1_b32 vcc_lo, exec_lo, s25
	s_cbranch_vccnz .LBB45_32
; %bb.31:                               ;   in Loop: Header=BB45_4 Depth=1
	s_delay_alu instid0(VALU_DEP_1)
	v_add_nc_u16 v47, v45, v48
.LBB45_32:                              ;   in Loop: Header=BB45_4 Depth=1
	v_bfe_i32 v45, v52, 0, 8
	v_bfe_i32 v46, v46, 0, 8
	s_mov_b32 s25, -1
	s_delay_alu instid0(VALU_DEP_2) | instskip(NEXT) | instid1(VALU_DEP_2)
	v_cvt_f32_i32_e32 v48, v45
	v_cvt_f32_i32_e32 v52, v46
	v_xor_b32_e32 v45, v46, v45
	s_delay_alu instid0(VALU_DEP_3) | instskip(SKIP_1) | instid1(TRANS32_DEP_1)
	v_rcp_iflag_f32_e32 v51, v48
	v_nop
	v_mul_f32_e32 v51, v52, v51
	s_delay_alu instid0(VALU_DEP_1) | instskip(NEXT) | instid1(VALU_DEP_1)
	v_trunc_f32_e32 v46, v51
	v_dual_ashrrev_i32 v45, 30, v45 :: v_dual_fma_f32 v51, -v46, v48, v52
	s_delay_alu instid0(VALU_DEP_1) | instskip(SKIP_1) | instid1(VALU_DEP_3)
	v_or_b32_e32 v45, 1, v45
	v_cvt_i32_f32_e32 v46, v46
	v_cmp_ge_f32_e64 vcc_lo, |v51|, |v48|
	s_delay_alu instid0(VALU_DEP_3) | instskip(SKIP_1) | instid1(VALU_DEP_1)
	v_cndmask_b32_e32 v45, 0, v45, vcc_lo
	s_and_not1_b32 vcc_lo, exec_lo, s23
	v_add_nc_u32_e32 v45, v46, v45
	s_delay_alu instid0(VALU_DEP_1)
	v_bfe_i32 v46, v45, 0, 8
                                        ; implicit-def: $vgpr45
	s_cbranch_vccz .LBB45_38
; %bb.33:                               ;   in Loop: Header=BB45_4 Depth=1
	s_and_not1_b32 vcc_lo, exec_lo, s25
	s_cbranch_vccz .LBB45_39
.LBB45_34:                              ;   in Loop: Header=BB45_4 Depth=1
	s_and_saveexec_b32 s25, s2
	s_delay_alu instid0(SALU_CYCLE_1)
	s_xor_b32 s2, exec_lo, s25
	s_cbranch_execnz .LBB45_40
.LBB45_35:                              ;   in Loop: Header=BB45_4 Depth=1
	s_or_b32 exec_lo, exec_lo, s2
	s_and_saveexec_b32 s2, s3
	s_cbranch_execnz .LBB45_41
.LBB45_36:                              ;   in Loop: Header=BB45_4 Depth=1
	s_or_b32 exec_lo, exec_lo, s2
	s_and_saveexec_b32 s2, s4
	s_cbranch_execnz .LBB45_42
.LBB45_37:                              ;   in Loop: Header=BB45_4 Depth=1
	s_or_b32 exec_lo, exec_lo, s2
	s_and_saveexec_b32 s2, s5
	s_cbranch_execz .LBB45_3
	s_branch .LBB45_43
.LBB45_38:                              ;   in Loop: Header=BB45_4 Depth=1
	s_delay_alu instid0(VALU_DEP_1)
	v_mad_u16 v45, s24, v46, v44
	s_cbranch_execnz .LBB45_34
.LBB45_39:                              ;   in Loop: Header=BB45_4 Depth=1
	s_delay_alu instid0(VALU_DEP_1) | instskip(SKIP_1) | instid1(SALU_CYCLE_1)
	v_add_nc_u16 v45, v44, v46
	s_and_saveexec_b32 s25, s2
	s_xor_b32 s2, exec_lo, s25
	s_cbranch_execz .LBB45_35
.LBB45_40:                              ;   in Loop: Header=BB45_4 Depth=1
	v_add_nc_u64_e32 v[52:53], s[20:21], v[12:13]
	global_store_b8 v[52:53], v50, off
	s_wait_xcnt 0x0
	s_or_b32 exec_lo, exec_lo, s2
	s_and_saveexec_b32 s2, s3
	s_cbranch_execz .LBB45_36
.LBB45_41:                              ;   in Loop: Header=BB45_4 Depth=1
	v_add_nc_u64_e32 v[50:51], s[20:21], v[40:41]
	global_store_b8 v[50:51], v49, off
	s_wait_xcnt 0x0
	s_or_b32 exec_lo, exec_lo, s2
	s_and_saveexec_b32 s2, s4
	s_cbranch_execz .LBB45_37
.LBB45_42:                              ;   in Loop: Header=BB45_4 Depth=1
	v_add_nc_u64_e32 v[48:49], s[20:21], v[34:35]
	global_store_b8 v[48:49], v47, off
	s_wait_xcnt 0x0
	s_or_b32 exec_lo, exec_lo, s2
	s_and_saveexec_b32 s2, s5
	s_cbranch_execz .LBB45_3
.LBB45_43:                              ;   in Loop: Header=BB45_4 Depth=1
	v_add_nc_u64_e32 v[46:47], s[20:21], v[26:27]
	global_store_b8 v[46:47], v45, off
	s_branch .LBB45_3
.LBB45_44:
	s_mov_b32 s2, 0
.LBB45_45:
	s_delay_alu instid0(SALU_CYCLE_1)
	s_and_not1_b32 vcc_lo, exec_lo, s2
	s_cbranch_vccnz .LBB45_49
; %bb.46:
	v_min_i64 v[2:3], 0x10000, s[16:17]
	v_dual_mov_b32 v5, 0 :: v_dual_lshlrev_b32 v4, 2, v0
	s_mov_b32 s2, exec_lo
	s_delay_alu instid0(VALU_DEP_1)
	v_cmpx_lt_i64_e64 v[4:5], v[2:3]
	s_cbranch_execz .LBB45_49
; %bb.47:
	s_load_b32 s0, s[0:1], 0xbfc
	v_mov_b32_e32 v1, v5
	v_add_nc_u64_e32 v[4:5], s[14:15], v[4:5]
	s_wait_xcnt 0x0
	s_mov_b32 s1, 0
	s_lshr_b32 s4, s22, 16
	s_mov_b32 s3, s1
	s_mov_b32 s5, s1
	s_wait_kmcnt 0x0
	s_and_b32 s0, s0, 0xffff
	s_delay_alu instid0(SALU_CYCLE_1)
	s_lshl_b32 s2, s0, 2
.LBB45_48:                              ; =>This Inner Loop Header: Depth=1
	v_add_nc_u64_e32 v[6:7], s[6:7], v[4:5]
	v_add_nc_u64_e32 v[8:9], s[8:9], v[4:5]
	;; [unrolled: 1-line block ×4, first 2 shown]
	global_load_b32 v12, v[6:7], off
	global_load_b32 v13, v[8:9], off
	global_load_b32 v14, v[10:11], off
	s_wait_loadcnt 0x2
	s_wait_xcnt 0x2
	v_bfe_i32 v6, v12, 0, 8
	s_wait_loadcnt 0x1
	v_bfe_i32 v7, v13, 0, 8
	s_wait_xcnt 0x0
	v_bfe_i32 v10, v12, 8, 8
	v_bfe_i32 v11, v13, 8, 8
	;; [unrolled: 1-line block ×4, first 2 shown]
	v_dual_ashrrev_i32 v13, 24, v13 :: v_dual_ashrrev_i32 v12, 24, v12
	s_delay_alu instid0(VALU_DEP_4)
	v_xor_b32_e32 v18, v10, v11
	v_xor_b32_e32 v17, v6, v7
	v_cvt_f32_i32_e32 v7, v7
	v_cvt_f32_i32_e32 v11, v11
	;; [unrolled: 1-line block ×4, first 2 shown]
	v_ashrrev_i32_e32 v18, 30, v18
	v_rcp_iflag_f32_e32 v21, v7
	v_xor_b32_e32 v19, v15, v16
	v_rcp_iflag_f32_e32 v22, v11
	v_cvt_f32_i32_e32 v16, v16
	v_cvt_f32_i32_e32 v15, v15
	s_wait_loadcnt 0x0
	v_dual_ashrrev_i32 v17, 30, v17 :: v_dual_lshrrev_b32 v8, 8, v14
	v_dual_lshrrev_b32 v9, 16, v14 :: v_dual_mul_f32 v21, v6, v21
	v_dual_ashrrev_i32 v19, 30, v19 :: v_dual_bitop2_b32 v20, v12, v13 bitop3:0x14
	v_cvt_f32_i32_e32 v13, v13
	v_mul_f32_e32 v22, v10, v22
	v_rcp_iflag_f32_e32 v23, v16
	v_cvt_f32_i32_e32 v12, v12
	v_or_b32_e32 v19, 1, v19
	v_rcp_iflag_f32_e32 v24, v13
	v_trunc_f32_e32 v22, v22
	v_dual_ashrrev_i32 v20, 30, v20 :: v_dual_bitop2_b32 v17, 1, v17 bitop3:0x54
	s_delay_alu instid0(TRANS32_DEP_2)
	v_dual_mul_f32 v23, v15, v23 :: v_dual_bitop2_b32 v18, 1, v18 bitop3:0x54
	v_trunc_f32_e32 v21, v21
	s_delay_alu instid0(TRANS32_DEP_1) | instid1(VALU_DEP_4)
	v_dual_mul_f32 v24, v12, v24 :: v_dual_fma_f32 v10, -v22, v11, v10
	s_delay_alu instid0(VALU_DEP_4) | instskip(NEXT) | instid1(VALU_DEP_4)
	v_or_b32_e32 v20, 1, v20
	v_trunc_f32_e32 v23, v23
	s_delay_alu instid0(VALU_DEP_4) | instskip(NEXT) | instid1(VALU_DEP_4)
	v_fma_f32 v6, -v21, v7, v6
	v_trunc_f32_e32 v24, v24
	v_cmp_ge_f32_e64 vcc_lo, |v10|, |v11|
	v_cvt_i32_f32_e32 v22, v22
	v_fma_f32 v15, -v23, v16, v15
	v_cvt_i32_f32_e32 v21, v21
	v_cvt_i32_f32_e32 v23, v23
	v_cndmask_b32_e32 v10, 0, v18, vcc_lo
	v_cmp_ge_f32_e64 vcc_lo, |v6|, |v7|
	v_fma_f32 v11, -v24, v13, v12
	v_cvt_i32_f32_e32 v12, v24
	s_delay_alu instid0(VALU_DEP_3) | instskip(SKIP_1) | instid1(VALU_DEP_2)
	v_dual_add_nc_u32 v10, v22, v10 :: v_dual_cndmask_b32 v6, 0, v17, vcc_lo
	v_cmp_ge_f32_e64 vcc_lo, |v15|, |v16|
	v_mad_u16 v8, s4, v10, v8
	s_delay_alu instid0(VALU_DEP_3) | instskip(SKIP_1) | instid1(VALU_DEP_3)
	v_dual_cndmask_b32 v7, 0, v19 :: v_dual_add_nc_u32 v6, v21, v6
	v_cmp_ge_f32_e64 vcc_lo, |v11|, |v13|
	v_and_b32_e32 v8, 0xff, v8
	s_delay_alu instid0(VALU_DEP_3) | instskip(NEXT) | instid1(VALU_DEP_4)
	v_dual_lshrrev_b32 v13, 24, v14 :: v_dual_add_nc_u32 v7, v23, v7
	v_mad_u16 v11, s4, v6, v14
	v_cndmask_b32_e32 v10, 0, v20, vcc_lo
	s_delay_alu instid0(VALU_DEP_3) | instskip(SKIP_1) | instid1(VALU_DEP_3)
	v_mad_u16 v9, s4, v7, v9
	v_lshlrev_b64_e32 v[6:7], 2, v[0:1]
	v_add_nc_u32_e32 v10, v12, v10
	v_perm_b32 v8, v8, v11, 0x6050400
	s_delay_alu instid0(VALU_DEP_4) | instskip(NEXT) | instid1(VALU_DEP_3)
	v_and_b32_e32 v9, 0xff, v9
	v_mad_u16 v10, s4, v10, v13
	v_cmp_ge_i64_e32 vcc_lo, v[6:7], v[2:3]
	v_add_nc_u64_e32 v[6:7], s[10:11], v[4:5]
	s_delay_alu instid0(VALU_DEP_4) | instskip(SKIP_1) | instid1(VALU_DEP_2)
	v_lshl_or_b32 v8, v9, 16, v8
	v_add_nc_u64_e32 v[4:5], s[2:3], v[4:5]
	v_lshl_or_b32 v8, v10, 24, v8
	s_or_b32 s5, vcc_lo, s5
	global_store_b32 v[6:7], v8, off
	s_wait_xcnt 0x0
	s_and_not1_b32 exec_lo, exec_lo, s5
	s_cbranch_execnz .LBB45_48
.LBB45_49:
	s_endpgm
	.section	.rodata,"a",@progbits
	.p2align	6, 0x0
	.amdhsa_kernel _ZN2at6native12_GLOBAL__N_125multi_tensor_apply_kernelINS1_18TensorListMetadataILi4EEENS1_24PointwiseOpScalarFunctorIaLi4ELi3ELi3EEEJSt7dividesIaEaEEEvT_T0_DpT1_
		.amdhsa_group_segment_fixed_size 0
		.amdhsa_private_segment_fixed_size 0
		.amdhsa_kernarg_size 3312
		.amdhsa_user_sgpr_count 2
		.amdhsa_user_sgpr_dispatch_ptr 0
		.amdhsa_user_sgpr_queue_ptr 0
		.amdhsa_user_sgpr_kernarg_segment_ptr 1
		.amdhsa_user_sgpr_dispatch_id 0
		.amdhsa_user_sgpr_kernarg_preload_length 0
		.amdhsa_user_sgpr_kernarg_preload_offset 0
		.amdhsa_user_sgpr_private_segment_size 0
		.amdhsa_wavefront_size32 1
		.amdhsa_uses_dynamic_stack 0
		.amdhsa_enable_private_segment 0
		.amdhsa_system_sgpr_workgroup_id_x 1
		.amdhsa_system_sgpr_workgroup_id_y 0
		.amdhsa_system_sgpr_workgroup_id_z 0
		.amdhsa_system_sgpr_workgroup_info 0
		.amdhsa_system_vgpr_workitem_id 0
		.amdhsa_next_free_vgpr 60
		.amdhsa_next_free_sgpr 26
		.amdhsa_named_barrier_count 0
		.amdhsa_reserve_vcc 1
		.amdhsa_float_round_mode_32 0
		.amdhsa_float_round_mode_16_64 0
		.amdhsa_float_denorm_mode_32 3
		.amdhsa_float_denorm_mode_16_64 3
		.amdhsa_fp16_overflow 0
		.amdhsa_memory_ordered 1
		.amdhsa_forward_progress 1
		.amdhsa_inst_pref_size 20
		.amdhsa_round_robin_scheduling 0
		.amdhsa_exception_fp_ieee_invalid_op 0
		.amdhsa_exception_fp_denorm_src 0
		.amdhsa_exception_fp_ieee_div_zero 0
		.amdhsa_exception_fp_ieee_overflow 0
		.amdhsa_exception_fp_ieee_underflow 0
		.amdhsa_exception_fp_ieee_inexact 0
		.amdhsa_exception_int_div_zero 0
	.end_amdhsa_kernel
	.section	.text._ZN2at6native12_GLOBAL__N_125multi_tensor_apply_kernelINS1_18TensorListMetadataILi4EEENS1_24PointwiseOpScalarFunctorIaLi4ELi3ELi3EEEJSt7dividesIaEaEEEvT_T0_DpT1_,"axG",@progbits,_ZN2at6native12_GLOBAL__N_125multi_tensor_apply_kernelINS1_18TensorListMetadataILi4EEENS1_24PointwiseOpScalarFunctorIaLi4ELi3ELi3EEEJSt7dividesIaEaEEEvT_T0_DpT1_,comdat
.Lfunc_end45:
	.size	_ZN2at6native12_GLOBAL__N_125multi_tensor_apply_kernelINS1_18TensorListMetadataILi4EEENS1_24PointwiseOpScalarFunctorIaLi4ELi3ELi3EEEJSt7dividesIaEaEEEvT_T0_DpT1_, .Lfunc_end45-_ZN2at6native12_GLOBAL__N_125multi_tensor_apply_kernelINS1_18TensorListMetadataILi4EEENS1_24PointwiseOpScalarFunctorIaLi4ELi3ELi3EEEJSt7dividesIaEaEEEvT_T0_DpT1_
                                        ; -- End function
	.set _ZN2at6native12_GLOBAL__N_125multi_tensor_apply_kernelINS1_18TensorListMetadataILi4EEENS1_24PointwiseOpScalarFunctorIaLi4ELi3ELi3EEEJSt7dividesIaEaEEEvT_T0_DpT1_.num_vgpr, 60
	.set _ZN2at6native12_GLOBAL__N_125multi_tensor_apply_kernelINS1_18TensorListMetadataILi4EEENS1_24PointwiseOpScalarFunctorIaLi4ELi3ELi3EEEJSt7dividesIaEaEEEvT_T0_DpT1_.num_agpr, 0
	.set _ZN2at6native12_GLOBAL__N_125multi_tensor_apply_kernelINS1_18TensorListMetadataILi4EEENS1_24PointwiseOpScalarFunctorIaLi4ELi3ELi3EEEJSt7dividesIaEaEEEvT_T0_DpT1_.numbered_sgpr, 26
	.set _ZN2at6native12_GLOBAL__N_125multi_tensor_apply_kernelINS1_18TensorListMetadataILi4EEENS1_24PointwiseOpScalarFunctorIaLi4ELi3ELi3EEEJSt7dividesIaEaEEEvT_T0_DpT1_.num_named_barrier, 0
	.set _ZN2at6native12_GLOBAL__N_125multi_tensor_apply_kernelINS1_18TensorListMetadataILi4EEENS1_24PointwiseOpScalarFunctorIaLi4ELi3ELi3EEEJSt7dividesIaEaEEEvT_T0_DpT1_.private_seg_size, 0
	.set _ZN2at6native12_GLOBAL__N_125multi_tensor_apply_kernelINS1_18TensorListMetadataILi4EEENS1_24PointwiseOpScalarFunctorIaLi4ELi3ELi3EEEJSt7dividesIaEaEEEvT_T0_DpT1_.uses_vcc, 1
	.set _ZN2at6native12_GLOBAL__N_125multi_tensor_apply_kernelINS1_18TensorListMetadataILi4EEENS1_24PointwiseOpScalarFunctorIaLi4ELi3ELi3EEEJSt7dividesIaEaEEEvT_T0_DpT1_.uses_flat_scratch, 0
	.set _ZN2at6native12_GLOBAL__N_125multi_tensor_apply_kernelINS1_18TensorListMetadataILi4EEENS1_24PointwiseOpScalarFunctorIaLi4ELi3ELi3EEEJSt7dividesIaEaEEEvT_T0_DpT1_.has_dyn_sized_stack, 0
	.set _ZN2at6native12_GLOBAL__N_125multi_tensor_apply_kernelINS1_18TensorListMetadataILi4EEENS1_24PointwiseOpScalarFunctorIaLi4ELi3ELi3EEEJSt7dividesIaEaEEEvT_T0_DpT1_.has_recursion, 0
	.set _ZN2at6native12_GLOBAL__N_125multi_tensor_apply_kernelINS1_18TensorListMetadataILi4EEENS1_24PointwiseOpScalarFunctorIaLi4ELi3ELi3EEEJSt7dividesIaEaEEEvT_T0_DpT1_.has_indirect_call, 0
	.section	.AMDGPU.csdata,"",@progbits
; Kernel info:
; codeLenInByte = 2452
; TotalNumSgprs: 28
; NumVgprs: 60
; ScratchSize: 0
; MemoryBound: 0
; FloatMode: 240
; IeeeMode: 1
; LDSByteSize: 0 bytes/workgroup (compile time only)
; SGPRBlocks: 0
; VGPRBlocks: 3
; NumSGPRsForWavesPerEU: 28
; NumVGPRsForWavesPerEU: 60
; NamedBarCnt: 0
; Occupancy: 16
; WaveLimiterHint : 0
; COMPUTE_PGM_RSRC2:SCRATCH_EN: 0
; COMPUTE_PGM_RSRC2:USER_SGPR: 2
; COMPUTE_PGM_RSRC2:TRAP_HANDLER: 0
; COMPUTE_PGM_RSRC2:TGID_X_EN: 1
; COMPUTE_PGM_RSRC2:TGID_Y_EN: 0
; COMPUTE_PGM_RSRC2:TGID_Z_EN: 0
; COMPUTE_PGM_RSRC2:TIDIG_COMP_CNT: 0
	.section	.text._ZN2at6native12_GLOBAL__N_125multi_tensor_apply_kernelINS1_18TensorListMetadataILi4EEENS1_24PointwiseOpScalarFunctorIiLi4ELi3ELi3EEEJSt7dividesIiEiEEEvT_T0_DpT1_,"axG",@progbits,_ZN2at6native12_GLOBAL__N_125multi_tensor_apply_kernelINS1_18TensorListMetadataILi4EEENS1_24PointwiseOpScalarFunctorIiLi4ELi3ELi3EEEJSt7dividesIiEiEEEvT_T0_DpT1_,comdat
	.globl	_ZN2at6native12_GLOBAL__N_125multi_tensor_apply_kernelINS1_18TensorListMetadataILi4EEENS1_24PointwiseOpScalarFunctorIiLi4ELi3ELi3EEEJSt7dividesIiEiEEEvT_T0_DpT1_ ; -- Begin function _ZN2at6native12_GLOBAL__N_125multi_tensor_apply_kernelINS1_18TensorListMetadataILi4EEENS1_24PointwiseOpScalarFunctorIiLi4ELi3ELi3EEEJSt7dividesIiEiEEEvT_T0_DpT1_
	.p2align	8
	.type	_ZN2at6native12_GLOBAL__N_125multi_tensor_apply_kernelINS1_18TensorListMetadataILi4EEENS1_24PointwiseOpScalarFunctorIiLi4ELi3ELi3EEEJSt7dividesIiEiEEEvT_T0_DpT1_,@function
_ZN2at6native12_GLOBAL__N_125multi_tensor_apply_kernelINS1_18TensorListMetadataILi4EEENS1_24PointwiseOpScalarFunctorIiLi4ELi3ELi3EEEJSt7dividesIiEiEEEvT_T0_DpT1_: ; @_ZN2at6native12_GLOBAL__N_125multi_tensor_apply_kernelINS1_18TensorListMetadataILi4EEENS1_24PointwiseOpScalarFunctorIiLi4ELi3ELi3EEEJSt7dividesIiEiEEEvT_T0_DpT1_
; %bb.0:
	s_bfe_u32 s2, ttmp6, 0x4000c
	s_and_b32 s3, ttmp6, 15
	s_add_co_i32 s2, s2, 1
	s_getreg_b32 s4, hwreg(HW_REG_IB_STS2, 6, 4)
	s_mul_i32 s2, ttmp9, s2
	s_mov_b32 s13, 0
	s_add_co_i32 s3, s3, s2
	s_cmp_eq_u32 s4, 0
	s_cselect_b32 s12, ttmp9, s3
	s_load_u8 s15, s[0:1], s12 offset:0x5a0
	s_add_nc_u64 s[2:3], s[0:1], s[12:13]
	s_mul_u64 s[4:5], s[12:13], 3
	s_delay_alu instid0(SALU_CYCLE_1)
	s_add_nc_u64 s[10:11], s[2:3], s[4:5]
	s_load_b32 s14, s[10:11], 0x6e0
	s_wait_kmcnt 0x0
	s_clause 0x4
	s_load_b64 s[2:3], s[0:1], s15 offset:0x120 scale_offset
	s_load_b64 s[8:9], s[0:1], s15 offset:0x0 scale_offset
	;; [unrolled: 1-line block ×5, first 2 shown]
	s_wait_xcnt 0x0
	s_ashr_i32 s15, s14, 31
	s_delay_alu instid0(SALU_CYCLE_1)
	s_lshl_b64 s[10:11], s[14:15], 18
	s_wait_kmcnt 0x0
	s_add_nc_u64 s[18:19], s[2:3], s[10:11]
	s_add_nc_u64 s[20:21], s[4:5], s[10:11]
	s_and_b32 s12, s18, 15
	s_and_b64 s[18:19], s[8:9], 15
	s_cmp_eq_u64 s[12:13], 0
	s_cselect_b32 s21, -1, 0
	s_or_b32 s12, s6, s20
	s_load_b32 s20, s[0:1], 0xbec
	s_and_b32 s12, s12, 15
	s_delay_alu instid0(SALU_CYCLE_1)
	s_cmp_eq_u32 s12, 0
	s_cselect_b32 s22, -1, 0
	s_and_b32 s12, s16, 3
	s_and_b32 s21, s22, s21
	s_or_b64 s[12:13], s[18:19], s[12:13]
	s_lshl_b64 s[14:15], s[14:15], 16
	s_cmp_eq_u64 s[12:13], 0
	s_cselect_b32 s12, -1, 0
	s_delay_alu instid0(SALU_CYCLE_1)
	s_and_b32 s18, s21, s12
	s_sub_nc_u64 s[12:13], s[16:17], s[14:15]
	s_and_b32 vcc_lo, exec_lo, s18
	s_mov_b32 s14, -1
	s_cbranch_vccnz .LBB46_19
; %bb.1:
	v_cmp_lt_i64_e64 s14, s[12:13], 1
	s_and_b32 vcc_lo, exec_lo, s14
	s_cbranch_vccnz .LBB46_18
; %bb.2:
	s_load_b32 s14, s[0:1], 0xbfc
	v_min_i64 v[2:3], 0x10000, s[12:13]
	v_min_u64 v[4:5], 0x10000, s[12:13]
	v_dual_mov_b32 v1, 0 :: v_dual_lshlrev_b32 v18, 2, v0
	s_mov_b32 s17, 0
	s_delay_alu instid0(SALU_CYCLE_1) | instskip(NEXT) | instid1(VALU_DEP_1)
	s_mov_b32 s25, s17
	v_dual_mov_b32 v19, v1 :: v_dual_mov_b32 v43, v1
	s_mov_b32 s15, s17
	s_mov_b32 s19, s17
	;; [unrolled: 1-line block ×3, first 2 shown]
	s_delay_alu instid0(VALU_DEP_1)
	v_add_nc_u64_e32 v[6:7], s[8:9], v[18:19]
	v_add_nc_u64_e32 v[8:9], s[2:3], v[18:19]
	;; [unrolled: 1-line block ×4, first 2 shown]
	s_wait_kmcnt 0x0
	s_and_b32 s16, s14, 0xffff
	s_delay_alu instid0(SALU_CYCLE_1)
	v_add_nc_u64_e32 v[14:15], s[16:17], v[0:1]
	v_mad_nc_u64_u32 v[30:31], s16, 12, v[18:19]
	s_lshl_b32 s24, s16, 3
	s_lshl_b32 s14, s16, 2
	v_add_nc_u64_e32 v[34:35], s[24:25], v[18:19]
	s_lshl_b32 s18, s16, 1
	s_mul_i32 s22, s16, 3
	v_lshlrev_b32_e32 v42, 2, v14
	s_add_nc_u64 s[24:25], s[6:7], s[14:15]
	v_add_nc_u64_e32 v[16:17], s[22:23], v[0:1]
	v_add_nc_u64_e32 v[18:19], s[24:25], v[18:19]
	;; [unrolled: 1-line block ×14, first 2 shown]
	s_lshl_b32 s16, s16, 4
	s_mov_b64 s[18:19], 0
	s_branch .LBB46_4
.LBB46_3:                               ;   in Loop: Header=BB46_4 Depth=1
	s_wait_xcnt 0x0
	s_or_b32 exec_lo, exec_lo, s21
	v_add_nc_u64_e32 v[56:57], s[10:11], v[30:31]
	s_add_nc_u64 s[18:19], s[18:19], s[14:15]
	v_add_nc_u64_e32 v[6:7], s[16:17], v[6:7]
	v_add_nc_u64_e32 v[8:9], s[16:17], v[8:9]
	;; [unrolled: 1-line block ×5, first 2 shown]
	global_load_b32 v55, v[56:57], off
	s_wait_loadcnt 0x1
	s_wait_xcnt 0x0
	v_dual_sub_nc_u32 v57, 0, v51 :: v_dual_bitop2_b32 v56, v51, v54 bitop3:0x14
	v_add_nc_u64_e32 v[30:31], s[16:17], v[30:31]
	v_add_nc_u64_e32 v[22:23], s[16:17], v[22:23]
	;; [unrolled: 1-line block ×3, first 2 shown]
	s_delay_alu instid0(VALU_DEP_4)
	v_dual_ashrrev_i32 v56, 31, v56 :: v_dual_max_i32 v51, v51, v57
	v_sub_nc_u32_e32 v57, 0, v54
	v_add_nc_u64_e32 v[34:35], s[16:17], v[34:35]
	v_add_nc_u64_e32 v[38:39], s[16:17], v[38:39]
	;; [unrolled: 1-line block ×4, first 2 shown]
	v_max_i32_e32 v54, v54, v57
	s_delay_alu instid0(VALU_DEP_1) | instskip(NEXT) | instid1(VALU_DEP_1)
	v_cvt_f32_u32_e32 v57, v54
	v_rcp_iflag_f32_e32 v57, v57
	v_nop
	s_delay_alu instid0(TRANS32_DEP_1) | instskip(NEXT) | instid1(VALU_DEP_1)
	v_dual_mul_f32 v57, 0x4f7ffffe, v57 :: v_dual_sub_nc_u32 v58, 0, v54
	v_cvt_u32_f32_e32 v57, v57
	s_delay_alu instid0(VALU_DEP_1) | instskip(NEXT) | instid1(VALU_DEP_1)
	v_mul_lo_u32 v58, v58, v57
	v_mul_hi_u32 v58, v57, v58
	s_delay_alu instid0(VALU_DEP_1) | instskip(NEXT) | instid1(VALU_DEP_1)
	v_add_nc_u32_e32 v57, v57, v58
	v_mul_hi_u32 v57, v51, v57
	s_delay_alu instid0(VALU_DEP_1) | instskip(NEXT) | instid1(VALU_DEP_1)
	v_mul_lo_u32 v58, v57, v54
	v_dual_sub_nc_u32 v51, v51, v58 :: v_dual_add_nc_u32 v58, 1, v57
	s_delay_alu instid0(VALU_DEP_1) | instskip(NEXT) | instid1(VALU_DEP_2)
	v_cmp_ge_u32_e32 vcc_lo, v51, v54
	v_cndmask_b32_e32 v57, v57, v58, vcc_lo
	v_sub_nc_u32_e32 v58, v51, v54
	s_delay_alu instid0(VALU_DEP_1) | instskip(NEXT) | instid1(VALU_DEP_1)
	v_cndmask_b32_e32 v51, v51, v58, vcc_lo
	v_cmp_ge_u32_e32 vcc_lo, v51, v54
	s_delay_alu instid0(VALU_DEP_4) | instskip(NEXT) | instid1(VALU_DEP_1)
	v_dual_add_nc_u32 v51, 1, v57 :: v_dual_sub_nc_u32 v54, 0, v52
	v_cndmask_b32_e32 v51, v57, v51, vcc_lo
	s_delay_alu instid0(VALU_DEP_1) | instskip(NEXT) | instid1(VALU_DEP_1)
	v_xor_b32_e32 v51, v51, v56
	v_sub_nc_u32_e32 v51, v51, v56
	s_delay_alu instid0(VALU_DEP_1) | instskip(SKIP_2) | instid1(VALU_DEP_1)
	v_mad_u32 v50, v51, s20, v50
	v_xor_b32_e32 v51, v52, v53
	v_dual_sub_nc_u32 v54, 0, v53 :: v_dual_max_i32 v52, v52, v54
	v_max_i32_e32 v53, v53, v54
	s_delay_alu instid0(VALU_DEP_1) | instskip(SKIP_1) | instid1(VALU_DEP_2)
	v_cvt_f32_u32_e32 v54, v53
	v_sub_nc_u32_e32 v56, 0, v53
	v_rcp_iflag_f32_e32 v54, v54
	v_nop
	s_delay_alu instid0(TRANS32_DEP_1) | instskip(NEXT) | instid1(VALU_DEP_1)
	v_dual_mul_f32 v54, 0x4f7ffffe, v54 :: v_dual_ashrrev_i32 v51, 31, v51
	v_cvt_u32_f32_e32 v54, v54
	s_delay_alu instid0(VALU_DEP_1) | instskip(NEXT) | instid1(VALU_DEP_1)
	v_mul_lo_u32 v56, v56, v54
	v_mul_hi_u32 v56, v54, v56
	s_delay_alu instid0(VALU_DEP_1) | instskip(NEXT) | instid1(VALU_DEP_1)
	v_add_nc_u32_e32 v54, v54, v56
	v_mul_hi_u32 v54, v52, v54
	s_delay_alu instid0(VALU_DEP_1) | instskip(NEXT) | instid1(VALU_DEP_1)
	v_mul_lo_u32 v56, v54, v53
	v_dual_sub_nc_u32 v52, v52, v56 :: v_dual_add_nc_u32 v56, 1, v54
	s_delay_alu instid0(VALU_DEP_1) | instskip(NEXT) | instid1(VALU_DEP_2)
	v_cmp_ge_u32_e32 vcc_lo, v52, v53
	v_dual_cndmask_b32 v54, v54, v56, vcc_lo :: v_dual_sub_nc_u32 v56, v52, v53
	s_delay_alu instid0(VALU_DEP_1) | instskip(NEXT) | instid1(VALU_DEP_1)
	v_cndmask_b32_e32 v52, v52, v56, vcc_lo
	v_cmp_ge_u32_e32 vcc_lo, v52, v53
	s_delay_alu instid0(VALU_DEP_3) | instskip(NEXT) | instid1(VALU_DEP_1)
	v_add_nc_u32_e32 v52, 1, v54
	v_cndmask_b32_e32 v52, v54, v52, vcc_lo
	s_delay_alu instid0(VALU_DEP_1) | instskip(NEXT) | instid1(VALU_DEP_1)
	v_xor_b32_e32 v52, v52, v51
	v_dual_sub_nc_u32 v51, v52, v51 :: v_dual_sub_nc_u32 v52, 0, v49
	s_delay_alu instid0(VALU_DEP_1) | instskip(SKIP_2) | instid1(VALU_DEP_3)
	v_mad_u32 v47, v51, s20, v47
	s_wait_loadcnt 0x0
	v_xor_b32_e32 v51, v49, v55
	v_dual_sub_nc_u32 v52, 0, v55 :: v_dual_max_i32 v49, v49, v52
	s_delay_alu instid0(VALU_DEP_1) | instskip(NEXT) | instid1(VALU_DEP_1)
	v_dual_ashrrev_i32 v51, 31, v51 :: v_dual_max_i32 v52, v55, v52
	v_cvt_f32_u32_e32 v53, v52
	s_delay_alu instid0(VALU_DEP_1) | instskip(SKIP_1) | instid1(TRANS32_DEP_1)
	v_rcp_iflag_f32_e32 v53, v53
	v_nop
	v_dual_mul_f32 v53, 0x4f7ffffe, v53 :: v_dual_sub_nc_u32 v54, 0, v52
	s_delay_alu instid0(VALU_DEP_1) | instskip(NEXT) | instid1(VALU_DEP_1)
	v_cvt_u32_f32_e32 v53, v53
	v_mul_lo_u32 v54, v54, v53
	s_delay_alu instid0(VALU_DEP_1) | instskip(NEXT) | instid1(VALU_DEP_1)
	v_mul_hi_u32 v54, v53, v54
	v_add_nc_u32_e32 v53, v53, v54
	s_delay_alu instid0(VALU_DEP_1) | instskip(NEXT) | instid1(VALU_DEP_1)
	v_mul_hi_u32 v53, v49, v53
	v_mul_lo_u32 v54, v53, v52
	s_delay_alu instid0(VALU_DEP_1) | instskip(NEXT) | instid1(VALU_DEP_1)
	v_dual_sub_nc_u32 v49, v49, v54 :: v_dual_add_nc_u32 v54, 1, v53
	v_cmp_ge_u32_e32 vcc_lo, v49, v52
	s_delay_alu instid0(VALU_DEP_2) | instskip(SKIP_1) | instid1(VALU_DEP_1)
	v_cndmask_b32_e32 v53, v53, v54, vcc_lo
	v_sub_nc_u32_e32 v54, v49, v52
	v_cndmask_b32_e32 v49, v49, v54, vcc_lo
	s_delay_alu instid0(VALU_DEP_1) | instskip(SKIP_1) | instid1(VALU_DEP_1)
	v_cmp_ge_u32_e32 vcc_lo, v49, v52
	v_xor_b32_e32 v52, v46, v45
	v_dual_add_nc_u32 v49, 1, v53 :: v_dual_ashrrev_i32 v52, 31, v52
	s_delay_alu instid0(VALU_DEP_1) | instskip(NEXT) | instid1(VALU_DEP_1)
	v_dual_cndmask_b32 v49, v53, v49, vcc_lo :: v_dual_sub_nc_u32 v53, 0, v46
	v_xor_b32_e32 v49, v49, v51
	s_delay_alu instid0(VALU_DEP_2) | instskip(NEXT) | instid1(VALU_DEP_2)
	v_max_i32_e32 v46, v46, v53
	v_dual_sub_nc_u32 v53, 0, v45 :: v_dual_sub_nc_u32 v49, v49, v51
	s_delay_alu instid0(VALU_DEP_1) | instskip(NEXT) | instid1(VALU_DEP_2)
	v_max_i32_e32 v45, v45, v53
	v_mad_u32 v51, v49, s20, v48
	v_add_nc_u64_e32 v[48:49], s[10:11], v[12:13]
	s_delay_alu instid0(VALU_DEP_3) | instskip(SKIP_2) | instid1(VALU_DEP_3)
	v_cvt_f32_u32_e32 v53, v45
	v_sub_nc_u32_e32 v54, 0, v45
	v_add_nc_u64_e32 v[12:13], s[16:17], v[12:13]
	v_rcp_iflag_f32_e32 v53, v53
	v_nop
	s_delay_alu instid0(TRANS32_DEP_1) | instskip(NEXT) | instid1(VALU_DEP_1)
	v_mul_f32_e32 v53, 0x4f7ffffe, v53
	v_cvt_u32_f32_e32 v53, v53
	s_delay_alu instid0(VALU_DEP_1) | instskip(NEXT) | instid1(VALU_DEP_1)
	v_mul_lo_u32 v54, v54, v53
	v_mul_hi_u32 v54, v53, v54
	s_delay_alu instid0(VALU_DEP_1) | instskip(NEXT) | instid1(VALU_DEP_1)
	v_add_nc_u32_e32 v53, v53, v54
	v_mul_hi_u32 v53, v46, v53
	s_delay_alu instid0(VALU_DEP_1) | instskip(NEXT) | instid1(VALU_DEP_1)
	v_mul_lo_u32 v54, v53, v45
	v_dual_sub_nc_u32 v46, v46, v54 :: v_dual_add_nc_u32 v54, 1, v53
	s_delay_alu instid0(VALU_DEP_1) | instskip(NEXT) | instid1(VALU_DEP_2)
	v_cmp_ge_u32_e32 vcc_lo, v46, v45
	v_dual_cndmask_b32 v53, v53, v54 :: v_dual_sub_nc_u32 v54, v46, v45
	s_delay_alu instid0(VALU_DEP_1) | instskip(NEXT) | instid1(VALU_DEP_1)
	v_cndmask_b32_e32 v46, v46, v54, vcc_lo
	v_cmp_ge_u32_e32 vcc_lo, v46, v45
	s_delay_alu instid0(VALU_DEP_3) | instskip(NEXT) | instid1(VALU_DEP_1)
	v_add_nc_u32_e32 v45, 1, v53
	v_cndmask_b32_e32 v45, v53, v45, vcc_lo
	v_cmp_lt_i64_e32 vcc_lo, s[18:19], v[2:3]
	s_delay_alu instid0(VALU_DEP_2) | instskip(SKIP_1) | instid1(VALU_DEP_1)
	v_xor_b32_e32 v45, v45, v52
	s_and_b32 vcc_lo, exec_lo, vcc_lo
	v_sub_nc_u32_e32 v45, v45, v52
	s_delay_alu instid0(VALU_DEP_1)
	v_mad_u32 v44, v45, s20, v44
	global_store_b32 v[48:49], v44, off
	s_wait_xcnt 0x0
	v_add_nc_u64_e32 v[44:45], s[10:11], v[18:19]
	v_add_nc_u64_e32 v[18:19], s[16:17], v[18:19]
	global_store_b32 v[44:45], v50, off
	s_wait_xcnt 0x0
	v_add_nc_u64_e32 v[44:45], s[10:11], v[20:21]
	v_add_nc_u64_e32 v[20:21], s[16:17], v[20:21]
	;; [unrolled: 4-line block ×3, first 2 shown]
	global_store_b32 v[44:45], v51, off
	s_cbranch_vccz .LBB46_18
.LBB46_4:                               ; =>This Inner Loop Header: Depth=1
	s_wait_xcnt 0x0
	v_add_nc_u64_e32 v[44:45], s[18:19], v[0:1]
	v_mov_b32_e32 v46, 0
	s_delay_alu instid0(VALU_DEP_2)
	v_cmp_lt_u64_e32 vcc_lo, v[44:45], v[4:5]
	v_mov_b32_e32 v44, 0
	s_and_saveexec_b32 s21, vcc_lo
	s_cbranch_execz .LBB46_6
; %bb.5:                                ;   in Loop: Header=BB46_4 Depth=1
	v_add_nc_u64_e32 v[48:49], s[10:11], v[6:7]
	v_add_nc_u64_e32 v[50:51], s[10:11], v[8:9]
	global_load_b32 v44, v[48:49], off
	global_load_b32 v46, v[50:51], off
.LBB46_6:                               ;   in Loop: Header=BB46_4 Depth=1
	s_wait_xcnt 0x0
	s_or_b32 exec_lo, exec_lo, s21
	v_dual_mov_b32 v51, 0 :: v_dual_mov_b32 v45, 0
	s_and_saveexec_b32 s21, vcc_lo
	s_cbranch_execz .LBB46_8
; %bb.7:                                ;   in Loop: Header=BB46_4 Depth=1
	v_add_nc_u64_e32 v[48:49], s[10:11], v[10:11]
	global_load_b32 v45, v[48:49], off
.LBB46_8:                               ;   in Loop: Header=BB46_4 Depth=1
	s_wait_xcnt 0x0
	s_or_b32 exec_lo, exec_lo, s21
	v_add_nc_u64_e32 v[48:49], s[18:19], v[14:15]
	v_mov_b32_e32 v50, 0
	s_delay_alu instid0(VALU_DEP_2)
	v_cmp_lt_u64_e32 vcc_lo, v[48:49], v[4:5]
	s_and_saveexec_b32 s21, vcc_lo
	s_cbranch_execz .LBB46_10
; %bb.9:                                ;   in Loop: Header=BB46_4 Depth=1
	v_add_nc_u64_e32 v[48:49], s[10:11], v[38:39]
	v_add_nc_u64_e32 v[52:53], s[10:11], v[40:41]
	global_load_b32 v50, v[48:49], off
	global_load_b32 v51, v[52:53], off
.LBB46_10:                              ;   in Loop: Header=BB46_4 Depth=1
	s_wait_xcnt 0x0
	s_or_b32 exec_lo, exec_lo, s21
	v_dual_mov_b32 v52, 0 :: v_dual_mov_b32 v54, 0
	s_and_saveexec_b32 s21, vcc_lo
	s_cbranch_execz .LBB46_12
; %bb.11:                               ;   in Loop: Header=BB46_4 Depth=1
	v_add_nc_u64_e32 v[48:49], s[10:11], v[42:43]
	global_load_b32 v54, v[48:49], off
.LBB46_12:                              ;   in Loop: Header=BB46_4 Depth=1
	s_wait_xcnt 0x0
	s_or_b32 exec_lo, exec_lo, s21
	v_add_nc_u64_e32 v[48:49], s[18:19], v[36:37]
	v_mov_b32_e32 v47, 0
	s_delay_alu instid0(VALU_DEP_2)
	v_cmp_lt_u64_e32 vcc_lo, v[48:49], v[4:5]
	s_and_saveexec_b32 s21, vcc_lo
	s_cbranch_execz .LBB46_14
; %bb.13:                               ;   in Loop: Header=BB46_4 Depth=1
	v_add_nc_u64_e32 v[48:49], s[10:11], v[22:23]
	v_add_nc_u64_e32 v[56:57], s[10:11], v[32:33]
	global_load_b32 v47, v[48:49], off
	global_load_b32 v52, v[56:57], off
.LBB46_14:                              ;   in Loop: Header=BB46_4 Depth=1
	s_wait_xcnt 0x0
	s_or_b32 exec_lo, exec_lo, s21
	v_dual_mov_b32 v49, 0 :: v_dual_mov_b32 v53, 0
	s_and_saveexec_b32 s21, vcc_lo
	s_cbranch_execz .LBB46_16
; %bb.15:                               ;   in Loop: Header=BB46_4 Depth=1
	v_add_nc_u64_e32 v[56:57], s[10:11], v[34:35]
	global_load_b32 v53, v[56:57], off
.LBB46_16:                              ;   in Loop: Header=BB46_4 Depth=1
	s_wait_xcnt 0x0
	s_or_b32 exec_lo, exec_lo, s21
	v_add_nc_u64_e32 v[56:57], s[18:19], v[16:17]
	v_mov_b32_e32 v48, 0
	s_mov_b32 s21, exec_lo
	s_delay_alu instid0(VALU_DEP_2)
	v_cmpx_lt_u64_e64 v[56:57], v[4:5]
	s_cbranch_execz .LBB46_3
; %bb.17:                               ;   in Loop: Header=BB46_4 Depth=1
	v_add_nc_u64_e32 v[56:57], s[10:11], v[26:27]
	v_add_nc_u64_e32 v[58:59], s[10:11], v[28:29]
	global_load_b32 v48, v[56:57], off
	global_load_b32 v49, v[58:59], off
	s_branch .LBB46_3
.LBB46_18:
	s_mov_b32 s14, 0
.LBB46_19:
	s_delay_alu instid0(SALU_CYCLE_1)
	s_and_not1_b32 vcc_lo, exec_lo, s14
	s_cbranch_vccnz .LBB46_23
; %bb.20:
	v_min_i64 v[2:3], 0x10000, s[12:13]
	v_dual_mov_b32 v5, 0 :: v_dual_lshlrev_b32 v4, 2, v0
	s_mov_b32 s12, exec_lo
	s_wait_xcnt 0x0
	s_delay_alu instid0(VALU_DEP_1)
	v_cmpx_lt_i64_e64 v[4:5], v[2:3]
	s_cbranch_execz .LBB46_23
; %bb.21:
	s_load_b32 s0, s[0:1], 0xbfc
	v_dual_mov_b32 v1, v5 :: v_dual_lshlrev_b32 v4, 4, v0
	s_mov_b32 s13, 0
	s_wait_kmcnt 0x0
	s_mov_b32 s16, s20
	s_add_nc_u64 s[8:9], s[8:9], 8
	v_add_nc_u64_e32 v[4:5], s[10:11], v[4:5]
	s_add_nc_u64 s[10:11], s[2:3], 8
	s_mov_b32 s15, s13
	s_mov_b32 s3, s13
	s_and_b32 s12, s0, 0xffff
	s_delay_alu instid0(SALU_CYCLE_1)
	s_lshl_b32 s14, s12, 4
.LBB46_22:                              ; =>This Inner Loop Header: Depth=1
	s_delay_alu instid0(VALU_DEP_1)
	v_add_nc_u64_e32 v[14:15], s[4:5], v[4:5]
	v_add_nc_u64_e32 v[16:17], s[10:11], v[4:5]
	;; [unrolled: 1-line block ×3, first 2 shown]
	global_load_b128 v[6:9], v[14:15], off
	global_load_b128 v[10:13], v[16:17], off offset:-8
	s_wait_xcnt 0x1
	v_add_nc_u64_e32 v[14:15], s[8:9], v[4:5]
	global_load_b128 v[14:17], v[14:15], off offset:-8
	s_wait_loadcnt 0x1
	v_dual_sub_nc_u32 v23, 0, v7 :: v_dual_sub_nc_u32 v25, 0, v12
	v_dual_sub_nc_u32 v20, 0, v6 :: v_dual_bitop2_b32 v18, v10, v6 bitop3:0x14
	v_dual_sub_nc_u32 v19, 0, v10 :: v_dual_bitop2_b32 v21, v11, v7 bitop3:0x14
	;; [unrolled: 1-line block ×3, first 2 shown]
	s_delay_alu instid0(VALU_DEP_2) | instskip(NEXT) | instid1(VALU_DEP_3)
	v_dual_sub_nc_u32 v29, 0, v9 :: v_dual_max_i32 v10, v10, v19
	v_dual_ashrrev_i32 v19, 31, v21 :: v_dual_max_i32 v6, v6, v20
	v_max_i32_e32 v7, v7, v23
	v_dual_sub_nc_u32 v22, 0, v11 :: v_dual_bitop2_b32 v24, v12, v8 bitop3:0x14
	v_dual_sub_nc_u32 v28, 0, v13 :: v_dual_ashrrev_i32 v18, 31, v18
	v_dual_ashrrev_i32 v21, 31, v27 :: v_dual_max_i32 v12, v12, v25
	v_sub_nc_u32_e32 v23, 0, v6
	v_dual_sub_nc_u32 v25, 0, v7 :: v_dual_max_i32 v8, v8, v26
	v_max_i32_e32 v9, v9, v29
	v_dual_ashrrev_i32 v20, 31, v24 :: v_dual_max_i32 v11, v11, v22
	s_delay_alu instid0(VALU_DEP_3) | instskip(NEXT) | instid1(VALU_DEP_3)
	v_sub_nc_u32_e32 v27, 0, v8
	v_dual_sub_nc_u32 v29, 0, v9 :: v_dual_max_i32 v13, v13, v28
	v_cvt_f32_u32_e32 v28, v9
	v_cvt_f32_u32_e32 v24, v7
	;; [unrolled: 1-line block ×4, first 2 shown]
	s_delay_alu instid0(VALU_DEP_4) | instskip(NEXT) | instid1(VALU_DEP_3)
	v_rcp_iflag_f32_e32 v28, v28
	v_rcp_iflag_f32_e32 v24, v24
	s_delay_alu instid0(VALU_DEP_2) | instskip(NEXT) | instid1(VALU_DEP_1)
	v_rcp_iflag_f32_e32 v22, v22
	v_rcp_iflag_f32_e32 v26, v26
	v_mul_f32_e32 v28, 0x4f7ffffe, v28
	s_delay_alu instid0(VALU_DEP_1) | instskip(NEXT) | instid1(VALU_DEP_1)
	v_cvt_u32_f32_e32 v28, v28
	v_mul_lo_u32 v29, v29, v28
	s_delay_alu instid0(VALU_DEP_1) | instskip(SKIP_1) | instid1(VALU_DEP_1)
	v_mul_hi_u32 v29, v28, v29
	v_mul_f32_e32 v24, 0x4f7ffffe, v24
	v_cvt_u32_f32_e32 v24, v24
	s_delay_alu instid0(VALU_DEP_1) | instskip(NEXT) | instid1(VALU_DEP_1)
	v_mul_lo_u32 v25, v25, v24
	v_mul_hi_u32 v25, v24, v25
	v_mul_f32_e32 v22, 0x4f7ffffe, v22
	s_delay_alu instid0(VALU_DEP_1) | instskip(NEXT) | instid1(VALU_DEP_1)
	v_cvt_u32_f32_e32 v22, v22
	v_mul_lo_u32 v23, v23, v22
	s_delay_alu instid0(VALU_DEP_1) | instskip(NEXT) | instid1(VALU_DEP_1)
	v_mul_hi_u32 v23, v22, v23
	v_dual_add_nc_u32 v22, v22, v23 :: v_dual_add_nc_u32 v23, v24, v25
	v_add_nc_u32_e32 v25, v28, v29
	s_delay_alu instid0(VALU_DEP_2) | instskip(SKIP_1) | instid1(VALU_DEP_3)
	v_mul_hi_u32 v23, v11, v23
	v_mul_f32_e32 v26, 0x4f7ffffe, v26
	v_mul_hi_u32 v25, v13, v25
	s_delay_alu instid0(VALU_DEP_3) | instskip(NEXT) | instid1(VALU_DEP_3)
	v_add_nc_u32_e32 v31, 1, v23
	v_cvt_u32_f32_e32 v26, v26
	s_delay_alu instid0(VALU_DEP_3) | instskip(SKIP_1) | instid1(VALU_DEP_3)
	v_mul_lo_u32 v29, v25, v9
	v_add_nc_u32_e32 v33, 1, v25
	v_mul_lo_u32 v27, v27, v26
	s_delay_alu instid0(VALU_DEP_3) | instskip(NEXT) | instid1(VALU_DEP_2)
	v_sub_nc_u32_e32 v13, v13, v29
	v_mul_hi_u32 v27, v26, v27
	s_delay_alu instid0(VALU_DEP_2) | instskip(SKIP_1) | instid1(VALU_DEP_2)
	v_cmp_ge_u32_e64 s2, v13, v9
	v_sub_nc_u32_e32 v29, v13, v9
	v_cndmask_b32_e64 v25, v25, v33, s2
	s_delay_alu instid0(VALU_DEP_2) | instskip(SKIP_1) | instid1(VALU_DEP_3)
	v_dual_cndmask_b32 v13, v13, v29, s2 :: v_dual_add_nc_u32 v24, v26, v27
	v_mul_lo_u32 v27, v23, v7
	v_add_nc_u32_e32 v29, 1, v25
	s_delay_alu instid0(VALU_DEP_3) | instskip(NEXT) | instid1(VALU_DEP_1)
	v_mul_hi_u32 v24, v12, v24
	v_dual_sub_nc_u32 v11, v11, v27 :: v_dual_add_nc_u32 v32, 1, v24
	v_mul_hi_u32 v22, v10, v22
	v_mul_lo_u32 v28, v24, v8
	s_delay_alu instid0(VALU_DEP_3) | instskip(SKIP_1) | instid1(VALU_DEP_2)
	v_cmp_ge_u32_e64 s0, v11, v7
	v_sub_nc_u32_e32 v27, v11, v7
	v_cndmask_b32_e64 v23, v23, v31, s0
	s_delay_alu instid0(VALU_DEP_2) | instskip(SKIP_2) | instid1(VALU_DEP_4)
	v_cndmask_b32_e64 v11, v11, v27, s0
	v_mul_lo_u32 v26, v22, v6
	v_dual_add_nc_u32 v30, 1, v22 :: v_dual_sub_nc_u32 v12, v12, v28
	v_add_nc_u32_e32 v27, 1, v23
	s_delay_alu instid0(VALU_DEP_2) | instskip(NEXT) | instid1(VALU_DEP_4)
	v_cmp_ge_u32_e64 s1, v12, v8
	v_dual_sub_nc_u32 v28, v12, v8 :: v_dual_sub_nc_u32 v10, v10, v26
	s_delay_alu instid0(VALU_DEP_2) | instskip(NEXT) | instid1(VALU_DEP_2)
	v_cndmask_b32_e64 v24, v24, v32, s1
	v_cndmask_b32_e64 v12, v12, v28, s1
	s_delay_alu instid0(VALU_DEP_3) | instskip(NEXT) | instid1(VALU_DEP_3)
	v_cmp_ge_u32_e32 vcc_lo, v10, v6
	v_dual_sub_nc_u32 v26, v10, v6 :: v_dual_add_nc_u32 v28, 1, v24
	v_cndmask_b32_e32 v22, v22, v30, vcc_lo
	s_delay_alu instid0(VALU_DEP_2) | instskip(NEXT) | instid1(VALU_DEP_2)
	v_cndmask_b32_e32 v10, v10, v26, vcc_lo
	v_add_nc_u32_e32 v26, 1, v22
	s_delay_alu instid0(VALU_DEP_2) | instskip(NEXT) | instid1(VALU_DEP_2)
	v_cmp_ge_u32_e32 vcc_lo, v10, v6
	v_cndmask_b32_e32 v6, v22, v26, vcc_lo
	v_cmp_ge_u32_e32 vcc_lo, v11, v7
	v_lshlrev_b64_e32 v[10:11], 2, v[0:1]
	v_cndmask_b32_e32 v7, v23, v27, vcc_lo
	v_cmp_ge_u32_e32 vcc_lo, v12, v8
	v_xor_b32_e32 v6, v6, v18
	s_delay_alu instid0(VALU_DEP_3) | instskip(SKIP_1) | instid1(VALU_DEP_2)
	v_dual_cndmask_b32 v8, v24, v28, vcc_lo :: v_dual_bitop2_b32 v7, v7, v19 bitop3:0x14
	v_cmp_ge_u32_e32 vcc_lo, v13, v9
	v_dual_sub_nc_u32 v6, v6, v18 :: v_dual_sub_nc_u32 v7, v7, v19
	s_delay_alu instid0(VALU_DEP_3) | instskip(SKIP_1) | instid1(VALU_DEP_2)
	v_dual_cndmask_b32 v9, v25, v29, vcc_lo :: v_dual_bitop2_b32 v8, v8, v20 bitop3:0x14
	s_wait_loadcnt 0x0
	v_mad_u32 v6, v6, s20, v14
	s_delay_alu instid0(VALU_DEP_3) | instskip(SKIP_4) | instid1(VALU_DEP_3)
	v_mad_u32 v7, v7, s16, v15
	v_cmp_ge_i64_e32 vcc_lo, v[10:11], v[2:3]
	v_dual_sub_nc_u32 v8, v8, v20 :: v_dual_bitop2_b32 v9, v9, v21 bitop3:0x14
	v_add_nc_u64_e32 v[10:11], s[6:7], v[4:5]
	v_add_nc_u64_e32 v[4:5], s[14:15], v[4:5]
	v_sub_nc_u32_e32 v9, v9, v21
	s_delay_alu instid0(VALU_DEP_4) | instskip(SKIP_1) | instid1(VALU_DEP_2)
	v_mad_u32 v8, v8, s20, v16
	s_or_b32 s3, vcc_lo, s3
	v_mad_u32 v9, v9, s16, v17
	global_store_b128 v[10:11], v[6:9], off
	s_wait_xcnt 0x0
	s_and_not1_b32 exec_lo, exec_lo, s3
	s_cbranch_execnz .LBB46_22
.LBB46_23:
	s_endpgm
	.section	.rodata,"a",@progbits
	.p2align	6, 0x0
	.amdhsa_kernel _ZN2at6native12_GLOBAL__N_125multi_tensor_apply_kernelINS1_18TensorListMetadataILi4EEENS1_24PointwiseOpScalarFunctorIiLi4ELi3ELi3EEEJSt7dividesIiEiEEEvT_T0_DpT1_
		.amdhsa_group_segment_fixed_size 0
		.amdhsa_private_segment_fixed_size 0
		.amdhsa_kernarg_size 3312
		.amdhsa_user_sgpr_count 2
		.amdhsa_user_sgpr_dispatch_ptr 0
		.amdhsa_user_sgpr_queue_ptr 0
		.amdhsa_user_sgpr_kernarg_segment_ptr 1
		.amdhsa_user_sgpr_dispatch_id 0
		.amdhsa_user_sgpr_kernarg_preload_length 0
		.amdhsa_user_sgpr_kernarg_preload_offset 0
		.amdhsa_user_sgpr_private_segment_size 0
		.amdhsa_wavefront_size32 1
		.amdhsa_uses_dynamic_stack 0
		.amdhsa_enable_private_segment 0
		.amdhsa_system_sgpr_workgroup_id_x 1
		.amdhsa_system_sgpr_workgroup_id_y 0
		.amdhsa_system_sgpr_workgroup_id_z 0
		.amdhsa_system_sgpr_workgroup_info 0
		.amdhsa_system_vgpr_workitem_id 0
		.amdhsa_next_free_vgpr 60
		.amdhsa_next_free_sgpr 26
		.amdhsa_named_barrier_count 0
		.amdhsa_reserve_vcc 1
		.amdhsa_float_round_mode_32 0
		.amdhsa_float_round_mode_16_64 0
		.amdhsa_float_denorm_mode_32 3
		.amdhsa_float_denorm_mode_16_64 3
		.amdhsa_fp16_overflow 0
		.amdhsa_memory_ordered 1
		.amdhsa_forward_progress 1
		.amdhsa_inst_pref_size 23
		.amdhsa_round_robin_scheduling 0
		.amdhsa_exception_fp_ieee_invalid_op 0
		.amdhsa_exception_fp_denorm_src 0
		.amdhsa_exception_fp_ieee_div_zero 0
		.amdhsa_exception_fp_ieee_overflow 0
		.amdhsa_exception_fp_ieee_underflow 0
		.amdhsa_exception_fp_ieee_inexact 0
		.amdhsa_exception_int_div_zero 0
	.end_amdhsa_kernel
	.section	.text._ZN2at6native12_GLOBAL__N_125multi_tensor_apply_kernelINS1_18TensorListMetadataILi4EEENS1_24PointwiseOpScalarFunctorIiLi4ELi3ELi3EEEJSt7dividesIiEiEEEvT_T0_DpT1_,"axG",@progbits,_ZN2at6native12_GLOBAL__N_125multi_tensor_apply_kernelINS1_18TensorListMetadataILi4EEENS1_24PointwiseOpScalarFunctorIiLi4ELi3ELi3EEEJSt7dividesIiEiEEEvT_T0_DpT1_,comdat
.Lfunc_end46:
	.size	_ZN2at6native12_GLOBAL__N_125multi_tensor_apply_kernelINS1_18TensorListMetadataILi4EEENS1_24PointwiseOpScalarFunctorIiLi4ELi3ELi3EEEJSt7dividesIiEiEEEvT_T0_DpT1_, .Lfunc_end46-_ZN2at6native12_GLOBAL__N_125multi_tensor_apply_kernelINS1_18TensorListMetadataILi4EEENS1_24PointwiseOpScalarFunctorIiLi4ELi3ELi3EEEJSt7dividesIiEiEEEvT_T0_DpT1_
                                        ; -- End function
	.set _ZN2at6native12_GLOBAL__N_125multi_tensor_apply_kernelINS1_18TensorListMetadataILi4EEENS1_24PointwiseOpScalarFunctorIiLi4ELi3ELi3EEEJSt7dividesIiEiEEEvT_T0_DpT1_.num_vgpr, 60
	.set _ZN2at6native12_GLOBAL__N_125multi_tensor_apply_kernelINS1_18TensorListMetadataILi4EEENS1_24PointwiseOpScalarFunctorIiLi4ELi3ELi3EEEJSt7dividesIiEiEEEvT_T0_DpT1_.num_agpr, 0
	.set _ZN2at6native12_GLOBAL__N_125multi_tensor_apply_kernelINS1_18TensorListMetadataILi4EEENS1_24PointwiseOpScalarFunctorIiLi4ELi3ELi3EEEJSt7dividesIiEiEEEvT_T0_DpT1_.numbered_sgpr, 26
	.set _ZN2at6native12_GLOBAL__N_125multi_tensor_apply_kernelINS1_18TensorListMetadataILi4EEENS1_24PointwiseOpScalarFunctorIiLi4ELi3ELi3EEEJSt7dividesIiEiEEEvT_T0_DpT1_.num_named_barrier, 0
	.set _ZN2at6native12_GLOBAL__N_125multi_tensor_apply_kernelINS1_18TensorListMetadataILi4EEENS1_24PointwiseOpScalarFunctorIiLi4ELi3ELi3EEEJSt7dividesIiEiEEEvT_T0_DpT1_.private_seg_size, 0
	.set _ZN2at6native12_GLOBAL__N_125multi_tensor_apply_kernelINS1_18TensorListMetadataILi4EEENS1_24PointwiseOpScalarFunctorIiLi4ELi3ELi3EEEJSt7dividesIiEiEEEvT_T0_DpT1_.uses_vcc, 1
	.set _ZN2at6native12_GLOBAL__N_125multi_tensor_apply_kernelINS1_18TensorListMetadataILi4EEENS1_24PointwiseOpScalarFunctorIiLi4ELi3ELi3EEEJSt7dividesIiEiEEEvT_T0_DpT1_.uses_flat_scratch, 0
	.set _ZN2at6native12_GLOBAL__N_125multi_tensor_apply_kernelINS1_18TensorListMetadataILi4EEENS1_24PointwiseOpScalarFunctorIiLi4ELi3ELi3EEEJSt7dividesIiEiEEEvT_T0_DpT1_.has_dyn_sized_stack, 0
	.set _ZN2at6native12_GLOBAL__N_125multi_tensor_apply_kernelINS1_18TensorListMetadataILi4EEENS1_24PointwiseOpScalarFunctorIiLi4ELi3ELi3EEEJSt7dividesIiEiEEEvT_T0_DpT1_.has_recursion, 0
	.set _ZN2at6native12_GLOBAL__N_125multi_tensor_apply_kernelINS1_18TensorListMetadataILi4EEENS1_24PointwiseOpScalarFunctorIiLi4ELi3ELi3EEEJSt7dividesIiEiEEEvT_T0_DpT1_.has_indirect_call, 0
	.section	.AMDGPU.csdata,"",@progbits
; Kernel info:
; codeLenInByte = 2864
; TotalNumSgprs: 28
; NumVgprs: 60
; ScratchSize: 0
; MemoryBound: 0
; FloatMode: 240
; IeeeMode: 1
; LDSByteSize: 0 bytes/workgroup (compile time only)
; SGPRBlocks: 0
; VGPRBlocks: 3
; NumSGPRsForWavesPerEU: 28
; NumVGPRsForWavesPerEU: 60
; NamedBarCnt: 0
; Occupancy: 16
; WaveLimiterHint : 0
; COMPUTE_PGM_RSRC2:SCRATCH_EN: 0
; COMPUTE_PGM_RSRC2:USER_SGPR: 2
; COMPUTE_PGM_RSRC2:TRAP_HANDLER: 0
; COMPUTE_PGM_RSRC2:TGID_X_EN: 1
; COMPUTE_PGM_RSRC2:TGID_Y_EN: 0
; COMPUTE_PGM_RSRC2:TGID_Z_EN: 0
; COMPUTE_PGM_RSRC2:TIDIG_COMP_CNT: 0
	.section	.text._ZN2at6native12_GLOBAL__N_125multi_tensor_apply_kernelINS1_18TensorListMetadataILi4EEENS1_24PointwiseOpScalarFunctorIlLi4ELi3ELi3EEEJSt7dividesIlElEEEvT_T0_DpT1_,"axG",@progbits,_ZN2at6native12_GLOBAL__N_125multi_tensor_apply_kernelINS1_18TensorListMetadataILi4EEENS1_24PointwiseOpScalarFunctorIlLi4ELi3ELi3EEEJSt7dividesIlElEEEvT_T0_DpT1_,comdat
	.globl	_ZN2at6native12_GLOBAL__N_125multi_tensor_apply_kernelINS1_18TensorListMetadataILi4EEENS1_24PointwiseOpScalarFunctorIlLi4ELi3ELi3EEEJSt7dividesIlElEEEvT_T0_DpT1_ ; -- Begin function _ZN2at6native12_GLOBAL__N_125multi_tensor_apply_kernelINS1_18TensorListMetadataILi4EEENS1_24PointwiseOpScalarFunctorIlLi4ELi3ELi3EEEJSt7dividesIlElEEEvT_T0_DpT1_
	.p2align	8
	.type	_ZN2at6native12_GLOBAL__N_125multi_tensor_apply_kernelINS1_18TensorListMetadataILi4EEENS1_24PointwiseOpScalarFunctorIlLi4ELi3ELi3EEEJSt7dividesIlElEEEvT_T0_DpT1_,@function
_ZN2at6native12_GLOBAL__N_125multi_tensor_apply_kernelINS1_18TensorListMetadataILi4EEENS1_24PointwiseOpScalarFunctorIlLi4ELi3ELi3EEEJSt7dividesIlElEEEvT_T0_DpT1_: ; @_ZN2at6native12_GLOBAL__N_125multi_tensor_apply_kernelINS1_18TensorListMetadataILi4EEENS1_24PointwiseOpScalarFunctorIlLi4ELi3ELi3EEEJSt7dividesIlElEEEvT_T0_DpT1_
; %bb.0:
	s_bfe_u32 s2, ttmp6, 0x4000c
	s_and_b32 s3, ttmp6, 15
	s_add_co_i32 s2, s2, 1
	s_getreg_b32 s4, hwreg(HW_REG_IB_STS2, 6, 4)
	s_mul_i32 s2, ttmp9, s2
	s_mov_b32 s17, 0
	s_add_co_i32 s3, s3, s2
	s_cmp_eq_u32 s4, 0
	s_load_b64 s[12:13], s[0:1], 0xbf0
	s_cselect_b32 s16, ttmp9, s3
	s_load_u8 s6, s[0:1], s16 offset:0x5a0
	s_add_nc_u64 s[2:3], s[0:1], s[16:17]
	s_mul_u64 s[4:5], s[16:17], 3
	s_delay_alu instid0(SALU_CYCLE_1)
	s_add_nc_u64 s[4:5], s[2:3], s[4:5]
	s_load_b32 s24, s[4:5], 0x6e0
	s_wait_kmcnt 0x0
	s_clause 0x4
	s_load_b64 s[2:3], s[0:1], s6 offset:0x0 scale_offset
	s_load_b64 s[18:19], s[0:1], s6 offset:0x120 scale_offset
	;; [unrolled: 1-line block ×5, first 2 shown]
	s_ashr_i32 s25, s24, 31
	s_delay_alu instid0(SALU_CYCLE_1)
	s_lshl_b64 s[14:15], s[24:25], 19
	s_wait_kmcnt 0x0
	s_add_nc_u64 s[6:7], s[18:19], s[14:15]
	s_add_nc_u64 s[4:5], s[2:3], s[14:15]
	s_and_b32 s16, s6, 31
	s_and_b64 s[28:29], s[4:5], 31
	s_add_nc_u64 s[8:9], s[20:21], s[14:15]
	s_cmp_eq_u64 s[16:17], 0
	s_add_nc_u64 s[10:11], s[22:23], s[14:15]
	s_cselect_b32 s30, -1, 0
	s_or_b32 s16, s10, s8
	s_delay_alu instid0(SALU_CYCLE_1) | instskip(NEXT) | instid1(SALU_CYCLE_1)
	s_and_b32 s16, s16, 31
	s_cmp_eq_u32 s16, 0
	s_cselect_b32 s31, -1, 0
	s_and_b32 s16, s26, 3
	s_and_b32 s30, s31, s30
	s_or_b64 s[16:17], s[28:29], s[16:17]
	s_lshl_b64 s[24:25], s[24:25], 16
	s_cmp_eq_u64 s[16:17], 0
	s_cselect_b32 s16, -1, 0
	s_delay_alu instid0(SALU_CYCLE_1)
	s_and_b32 s28, s30, s16
	s_sub_nc_u64 s[16:17], s[26:27], s[24:25]
	s_and_b32 vcc_lo, exec_lo, s28
	s_mov_b32 s24, -1
	s_cbranch_vccnz .LBB47_35
; %bb.1:
	v_cmp_lt_i64_e64 s24, s[16:17], 1
	s_and_b32 vcc_lo, exec_lo, s24
	s_cbranch_vccnz .LBB47_34
; %bb.2:
	s_load_b32 s24, s[0:1], 0xc04
	v_min_i64 v[2:3], 0x10000, s[16:17]
	v_min_u64 v[6:7], 0x10000, s[16:17]
	v_dual_mov_b32 v4, 0 :: v_dual_lshlrev_b32 v20, 3, v0
	s_mov_b32 s25, 0
	s_delay_alu instid0(SALU_CYCLE_1) | instskip(NEXT) | instid1(VALU_DEP_1)
	s_mov_b32 s31, s25
	v_dual_mov_b32 v21, v4 :: v_dual_mov_b32 v1, v4
	s_mov_b32 s35, s25
	s_mov_b32 s27, s25
	s_mov_b32 s29, s25
	s_delay_alu instid0(VALU_DEP_1)
	v_add_nc_u64_e32 v[8:9], s[2:3], v[20:21]
	v_add_nc_u64_e32 v[10:11], s[18:19], v[20:21]
	v_add_nc_u64_e32 v[12:13], s[20:21], v[20:21]
	v_add_nc_u64_e32 v[14:15], s[22:23], v[20:21]
	s_wait_kmcnt 0x0
	s_and_b32 s24, s24, 0xffff
	s_delay_alu instid0(SALU_CYCLE_1)
	v_add_nc_u64_e32 v[16:17], s[24:25], v[0:1]
	v_mad_nc_u64_u32 v[30:31], s24, 24, v[20:21]
	s_lshl_b32 s30, s24, 4
	v_mov_b32_e32 v45, v4
	v_add_nc_u64_e32 v[36:37], s[30:31], v[20:21]
	s_lshl_b32 s34, s24, 3
	s_lshl_b32 s26, s24, 1
	v_lshlrev_b32_e32 v44, 3, v16
	s_mul_i32 s28, s24, 3
	s_add_nc_u64 s[30:31], s[22:23], s[34:35]
	v_add_nc_u64_e32 v[18:19], s[28:29], v[0:1]
	v_add_nc_u64_e32 v[20:21], s[30:31], v[20:21]
	;; [unrolled: 1-line block ×14, first 2 shown]
	s_lshl_b32 s18, s24, 2
	s_mov_b32 s19, s25
	s_lshl_b32 s20, s24, 5
	s_mov_b32 s21, s25
	s_mov_b64 s[22:23], 0
	s_branch .LBB47_4
.LBB47_3:                               ;   in Loop: Header=BB47_4 Depth=1
	s_or_b32 exec_lo, exec_lo, s2
	s_delay_alu instid0(VALU_DEP_1)
	v_mad_nc_u64_u32 v[46:47], v60, s12, v[46:47]
	v_mad_nc_u64_u32 v[52:53], v66, s12, v[52:53]
	;; [unrolled: 1-line block ×4, first 2 shown]
	s_add_nc_u64 s[22:23], s[22:23], s[18:19]
	v_add_nc_u64_e32 v[54:55], s[14:15], v[14:15]
	v_cmp_lt_i64_e32 vcc_lo, s[22:23], v[2:3]
	v_add_nc_u64_e32 v[56:57], s[14:15], v[20:21]
	v_add_nc_u64_e32 v[64:65], s[14:15], v[22:23]
	;; [unrolled: 1-line block ×4, first 2 shown]
	v_mad_u32 v5, v61, s12, v47
	v_mad_u32 v53, v67, s12, v53
	;; [unrolled: 1-line block ×4, first 2 shown]
	v_add_nc_u64_e32 v[10:11], s[20:21], v[10:11]
	v_add_nc_u64_e32 v[12:13], s[20:21], v[12:13]
	;; [unrolled: 1-line block ×7, first 2 shown]
	v_mad_u32 v47, v60, s13, v5
	v_mad_u32 v53, v66, s13, v53
	;; [unrolled: 1-line block ×4, first 2 shown]
	v_add_nc_u64_e32 v[28:29], s[20:21], v[28:29]
	v_add_nc_u64_e32 v[30:31], s[20:21], v[30:31]
	v_add_nc_u64_e32 v[32:33], s[20:21], v[32:33]
	v_add_nc_u64_e32 v[34:35], s[20:21], v[34:35]
	v_add_nc_u64_e32 v[36:37], s[20:21], v[36:37]
	v_add_nc_u64_e32 v[40:41], s[20:21], v[40:41]
	v_add_nc_u64_e32 v[42:43], s[20:21], v[42:43]
	v_add_nc_u64_e32 v[44:45], s[20:21], v[44:45]
	s_and_b32 vcc_lo, exec_lo, vcc_lo
	global_store_b64 v[54:55], v[46:47], off
	global_store_b64 v[56:57], v[48:49], off
	;; [unrolled: 1-line block ×4, first 2 shown]
	s_cbranch_vccz .LBB47_34
.LBB47_4:                               ; =>This Inner Loop Header: Depth=1
	s_wait_xcnt 0x3
	v_add_nc_u64_e32 v[46:47], s[22:23], v[0:1]
	s_wait_xcnt 0x2
	v_mov_b64_e32 v[56:57], 0
	v_mov_b64_e32 v[54:55], 0
	s_delay_alu instid0(VALU_DEP_3)
	v_cmp_lt_u64_e32 vcc_lo, v[46:47], v[6:7]
	v_mov_b64_e32 v[46:47], 0
	s_wait_xcnt 0x0
	s_and_saveexec_b32 s2, vcc_lo
	s_cbranch_execz .LBB47_6
; %bb.5:                                ;   in Loop: Header=BB47_4 Depth=1
	v_add_nc_u64_e32 v[48:49], s[14:15], v[8:9]
	v_add_nc_u64_e32 v[50:51], s[14:15], v[10:11]
	global_load_b64 v[46:47], v[48:49], off
	global_load_b64 v[54:55], v[50:51], off
.LBB47_6:                               ;   in Loop: Header=BB47_4 Depth=1
	s_wait_xcnt 0x0
	s_or_b32 exec_lo, exec_lo, s2
	s_and_saveexec_b32 s2, vcc_lo
	s_cbranch_execz .LBB47_8
; %bb.7:                                ;   in Loop: Header=BB47_4 Depth=1
	v_add_nc_u64_e32 v[48:49], s[14:15], v[12:13]
	global_load_b64 v[56:57], v[48:49], off
.LBB47_8:                               ;   in Loop: Header=BB47_4 Depth=1
	s_wait_xcnt 0x0
	s_or_b32 exec_lo, exec_lo, s2
	v_add_nc_u64_e32 v[48:49], s[22:23], v[16:17]
	v_mov_b64_e32 v[70:71], 0
	v_mov_b64_e32 v[62:63], 0
	s_delay_alu instid0(VALU_DEP_3)
	v_cmp_lt_u64_e32 vcc_lo, v[48:49], v[6:7]
	v_mov_b64_e32 v[48:49], 0
	s_and_saveexec_b32 s2, vcc_lo
	s_cbranch_execz .LBB47_10
; %bb.9:                                ;   in Loop: Header=BB47_4 Depth=1
	v_add_nc_u64_e32 v[50:51], s[14:15], v[40:41]
	v_add_nc_u64_e32 v[52:53], s[14:15], v[42:43]
	global_load_b64 v[48:49], v[50:51], off
	global_load_b64 v[62:63], v[52:53], off
.LBB47_10:                              ;   in Loop: Header=BB47_4 Depth=1
	s_wait_xcnt 0x0
	s_or_b32 exec_lo, exec_lo, s2
	s_and_saveexec_b32 s2, vcc_lo
	s_cbranch_execz .LBB47_12
; %bb.11:                               ;   in Loop: Header=BB47_4 Depth=1
	v_add_nc_u64_e32 v[50:51], s[14:15], v[44:45]
	global_load_b64 v[70:71], v[50:51], off
.LBB47_12:                              ;   in Loop: Header=BB47_4 Depth=1
	s_wait_xcnt 0x0
	s_or_b32 exec_lo, exec_lo, s2
	v_add_nc_u64_e32 v[50:51], s[22:23], v[38:39]
	v_mov_b64_e32 v[68:69], 0
	v_mov_b64_e32 v[66:67], 0
	s_delay_alu instid0(VALU_DEP_3)
	v_cmp_lt_u64_e32 vcc_lo, v[50:51], v[6:7]
	v_mov_b64_e32 v[50:51], 0
	s_and_saveexec_b32 s2, vcc_lo
	s_cbranch_execz .LBB47_14
; %bb.13:                               ;   in Loop: Header=BB47_4 Depth=1
	v_add_nc_u64_e32 v[52:53], s[14:15], v[32:33]
	v_add_nc_u64_e32 v[58:59], s[14:15], v[34:35]
	global_load_b64 v[50:51], v[52:53], off
	global_load_b64 v[66:67], v[58:59], off
.LBB47_14:                              ;   in Loop: Header=BB47_4 Depth=1
	s_wait_xcnt 0x0
	s_or_b32 exec_lo, exec_lo, s2
	s_and_saveexec_b32 s2, vcc_lo
	s_cbranch_execz .LBB47_16
; %bb.15:                               ;   in Loop: Header=BB47_4 Depth=1
	v_add_nc_u64_e32 v[52:53], s[14:15], v[36:37]
	global_load_b64 v[68:69], v[52:53], off
.LBB47_16:                              ;   in Loop: Header=BB47_4 Depth=1
	s_wait_xcnt 0x0
	s_or_b32 exec_lo, exec_lo, s2
	v_add_nc_u64_e32 v[52:53], s[22:23], v[18:19]
	v_mov_b64_e32 v[60:61], 0
	s_delay_alu instid0(VALU_DEP_2)
	v_cmp_lt_u64_e32 vcc_lo, v[52:53], v[6:7]
	v_mov_b64_e32 v[52:53], 0
	s_and_saveexec_b32 s2, vcc_lo
	s_cbranch_execz .LBB47_18
; %bb.17:                               ;   in Loop: Header=BB47_4 Depth=1
	v_add_nc_u64_e32 v[58:59], s[14:15], v[26:27]
	v_add_nc_u64_e32 v[64:65], s[14:15], v[28:29]
	global_load_b64 v[52:53], v[58:59], off
	global_load_b64 v[60:61], v[64:65], off
.LBB47_18:                              ;   in Loop: Header=BB47_4 Depth=1
	s_wait_xcnt 0x0
	s_or_b32 exec_lo, exec_lo, s2
	v_add_nc_u64_e32 v[58:59], s[14:15], v[30:31]
	s_wait_loadcnt 0x0
	v_or_b32_e32 v5, v63, v71
	s_mov_b32 s2, exec_lo
	global_load_b64 v[64:65], v[58:59], off
                                        ; implicit-def: $vgpr58_vgpr59
	s_wait_xcnt 0x0
	v_cmpx_ne_u64_e32 0, v[4:5]
	s_xor_b32 s3, exec_lo, s2
	s_cbranch_execz .LBB47_20
; %bb.19:                               ;   in Loop: Header=BB47_4 Depth=1
	v_dual_mov_b32 v73, v4 :: v_dual_ashrrev_i32 v58, 31, v71
	v_dual_mov_b32 v81, v4 :: v_dual_mov_b32 v83, v4
	s_delay_alu instid0(VALU_DEP_2) | instskip(NEXT) | instid1(VALU_DEP_1)
	v_mov_b32_e32 v59, v58
	v_add_nc_u64_e32 v[70:71], v[70:71], v[58:59]
	s_delay_alu instid0(VALU_DEP_1) | instskip(NEXT) | instid1(VALU_DEP_2)
	v_xor_b32_e32 v70, v70, v58
	v_xor_b32_e32 v71, v71, v58
	s_delay_alu instid0(VALU_DEP_2) | instskip(NEXT) | instid1(VALU_DEP_2)
	v_cvt_f32_u32_e32 v5, v70
	v_cvt_f32_u32_e32 v59, v71
	s_delay_alu instid0(VALU_DEP_1) | instskip(NEXT) | instid1(VALU_DEP_1)
	v_fmac_f32_e32 v5, 0x4f800000, v59
	v_rcp_f32_e32 v5, v5
	v_nop
	s_delay_alu instid0(TRANS32_DEP_1) | instskip(NEXT) | instid1(VALU_DEP_1)
	v_mul_f32_e32 v5, 0x5f7ffffc, v5
	v_mul_f32_e32 v59, 0x2f800000, v5
	s_delay_alu instid0(VALU_DEP_1) | instskip(NEXT) | instid1(VALU_DEP_1)
	v_trunc_f32_e32 v59, v59
	v_fmac_f32_e32 v5, 0xcf800000, v59
	v_cvt_u32_f32_e32 v77, v59
	s_delay_alu instid0(VALU_DEP_2) | instskip(NEXT) | instid1(VALU_DEP_1)
	v_cvt_u32_f32_e32 v72, v5
	v_dual_mov_b32 v82, v77 :: v_dual_mov_b32 v76, v72
	v_sub_nc_u64_e32 v[74:75], 0, v[70:71]
	s_delay_alu instid0(VALU_DEP_1) | instskip(NEXT) | instid1(VALU_DEP_1)
	v_mul_u64_e32 v[78:79], v[74:75], v[76:77]
	v_dual_mov_b32 v80, v79 :: v_dual_mov_b32 v79, v4
	s_delay_alu instid0(VALU_DEP_1) | instskip(NEXT) | instid1(VALU_DEP_2)
	v_mul_u64_e32 v[84:85], v[72:73], v[80:81]
	v_mul_u64_e32 v[86:87], v[82:83], v[78:79]
	;; [unrolled: 1-line block ×3, first 2 shown]
	v_mul_hi_u32 v78, v72, v78
	s_delay_alu instid0(VALU_DEP_1) | instskip(SKIP_1) | instid1(VALU_DEP_2)
	v_add_nc_u64_e32 v[78:79], v[78:79], v[84:85]
	v_ashrrev_i32_e32 v84, 31, v63
	v_add_co_u32 v5, vcc_lo, v78, v86
	s_delay_alu instid0(VALU_DEP_3) | instskip(SKIP_1) | instid1(VALU_DEP_1)
	v_add_co_ci_u32_e32 v82, vcc_lo, v79, v87, vcc_lo
	v_add_co_ci_u32_e32 v81, vcc_lo, 0, v81, vcc_lo
	v_add_nc_u64_e32 v[78:79], v[82:83], v[80:81]
	s_delay_alu instid0(VALU_DEP_1) | instskip(NEXT) | instid1(VALU_DEP_1)
	v_add_co_u32 v72, vcc_lo, v72, v78
	v_add_co_ci_u32_e64 v76, null, v77, v79, vcc_lo
	v_dual_mov_b32 v79, v4 :: v_dual_mov_b32 v77, v4
	s_delay_alu instid0(VALU_DEP_2) | instskip(NEXT) | instid1(VALU_DEP_1)
	v_mov_b32_e32 v73, v76
	v_mul_u64_e32 v[74:75], v[74:75], v[72:73]
	s_delay_alu instid0(VALU_DEP_1) | instskip(NEXT) | instid1(VALU_DEP_2)
	v_dual_mov_b32 v73, v4 :: v_dual_mov_b32 v78, v75
	v_dual_mov_b32 v82, v74 :: v_dual_mov_b32 v75, v4
	v_mul_hi_u32 v74, v72, v74
	s_delay_alu instid0(VALU_DEP_3) | instskip(NEXT) | instid1(VALU_DEP_3)
	v_mul_u64_e32 v[80:81], v[72:73], v[78:79]
	v_mul_u64_e32 v[82:83], v[76:77], v[82:83]
	;; [unrolled: 1-line block ×3, first 2 shown]
	s_delay_alu instid0(VALU_DEP_3) | instskip(SKIP_2) | instid1(VALU_DEP_3)
	v_add_nc_u64_e32 v[74:75], v[74:75], v[80:81]
	v_dual_mov_b32 v81, v4 :: v_dual_mov_b32 v85, v84
	v_xor_b32_e32 v58, v84, v58
	v_add_co_u32 v5, vcc_lo, v74, v82
	s_delay_alu instid0(VALU_DEP_4) | instskip(SKIP_1) | instid1(VALU_DEP_1)
	v_add_co_ci_u32_e32 v80, vcc_lo, v75, v83, vcc_lo
	v_add_co_ci_u32_e32 v79, vcc_lo, 0, v79, vcc_lo
	v_add_nc_u64_e32 v[74:75], v[80:81], v[78:79]
	v_mov_b32_e32 v79, v4
	v_add_nc_u64_e32 v[62:63], v[62:63], v[84:85]
	s_delay_alu instid0(VALU_DEP_3) | instskip(NEXT) | instid1(VALU_DEP_2)
	v_add_co_u32 v74, vcc_lo, v72, v74
	v_xor_b32_e32 v78, v62, v84
	v_add_co_ci_u32_e64 v72, null, v76, v75, vcc_lo
	s_delay_alu instid0(VALU_DEP_4) | instskip(NEXT) | instid1(VALU_DEP_2)
	v_dual_mov_b32 v75, v4 :: v_dual_bitop2_b32 v76, v63, v84 bitop3:0x14
	v_mul_u64_e32 v[80:81], v[78:79], v[72:73]
	s_delay_alu instid0(VALU_DEP_2) | instskip(SKIP_1) | instid1(VALU_DEP_1)
	v_mul_u64_e32 v[62:63], v[76:77], v[74:75]
	v_mul_hi_u32 v74, v78, v74
	v_add_nc_u64_e32 v[74:75], v[74:75], v[80:81]
	v_mov_b32_e32 v81, v4
	v_mul_u64_e32 v[72:73], v[76:77], v[72:73]
	s_delay_alu instid0(VALU_DEP_3) | instskip(NEXT) | instid1(VALU_DEP_4)
	v_add_co_u32 v5, vcc_lo, v74, v62
	v_add_co_ci_u32_e32 v80, vcc_lo, v75, v63, vcc_lo
	s_delay_alu instid0(VALU_DEP_3) | instskip(NEXT) | instid1(VALU_DEP_1)
	v_add_co_ci_u32_e32 v73, vcc_lo, 0, v73, vcc_lo
	v_add_nc_u64_e32 v[62:63], v[80:81], v[72:73]
	s_delay_alu instid0(VALU_DEP_1) | instskip(SKIP_1) | instid1(VALU_DEP_2)
	v_mul_u64_e32 v[72:73], v[70:71], v[62:63]
	v_add_nc_u64_e32 v[74:75], 1, v[62:63]
	v_sub_nc_u32_e32 v5, v76, v73
	s_delay_alu instid0(VALU_DEP_3) | instskip(NEXT) | instid1(VALU_DEP_1)
	v_sub_co_u32 v59, vcc_lo, v78, v72
	v_sub_co_ci_u32_e64 v76, null, v76, v73, vcc_lo
	s_delay_alu instid0(VALU_DEP_3) | instskip(NEXT) | instid1(VALU_DEP_3)
	v_sub_co_ci_u32_e64 v5, null, v5, v71, vcc_lo
	v_sub_co_u32 v72, s2, v59, v70
	s_delay_alu instid0(VALU_DEP_1) | instskip(NEXT) | instid1(VALU_DEP_2)
	v_subrev_co_ci_u32_e64 v5, null, 0, v5, s2
	v_cmp_ge_u32_e32 vcc_lo, v72, v70
	v_cndmask_b32_e64 v72, 0, -1, vcc_lo
	s_delay_alu instid0(VALU_DEP_3)
	v_cmp_ge_u32_e32 vcc_lo, v5, v71
	v_cndmask_b32_e64 v73, 0, -1, vcc_lo
	v_cmp_ge_u32_e32 vcc_lo, v59, v70
	v_cndmask_b32_e64 v59, 0, -1, vcc_lo
	;; [unrolled: 2-line block ×3, first 2 shown]
	v_cmp_eq_u32_e32 vcc_lo, v5, v71
	v_cndmask_b32_e32 v5, v73, v72, vcc_lo
	v_cmp_eq_u32_e32 vcc_lo, v76, v71
	v_add_nc_u64_e32 v[72:73], 2, v[62:63]
	v_cndmask_b32_e32 v59, v70, v59, vcc_lo
	s_delay_alu instid0(VALU_DEP_4) | instskip(NEXT) | instid1(VALU_DEP_2)
	v_cmp_ne_u32_e32 vcc_lo, 0, v5
                                        ; implicit-def: $vgpr70_vgpr71
	v_cmp_ne_u32_e64 s2, 0, v59
	s_delay_alu instid0(VALU_DEP_4) | instskip(NEXT) | instid1(VALU_DEP_1)
	v_dual_cndmask_b32 v5, v75, v73, vcc_lo :: v_dual_cndmask_b32 v59, v74, v72, vcc_lo
	v_dual_cndmask_b32 v5, v63, v5, s2 :: v_dual_cndmask_b32 v62, v62, v59, s2
	s_delay_alu instid0(VALU_DEP_1) | instskip(NEXT) | instid1(VALU_DEP_2)
	v_dual_mov_b32 v59, v58 :: v_dual_bitop2_b32 v63, v5, v58 bitop3:0x14
	v_xor_b32_e32 v62, v62, v58
	s_delay_alu instid0(VALU_DEP_1)
	v_sub_nc_u64_e32 v[58:59], v[62:63], v[58:59]
                                        ; implicit-def: $vgpr62_vgpr63
.LBB47_20:                              ;   in Loop: Header=BB47_4 Depth=1
	s_and_not1_saveexec_b32 s2, s3
	s_cbranch_execz .LBB47_22
; %bb.21:                               ;   in Loop: Header=BB47_4 Depth=1
	v_cvt_f32_u32_e32 v5, v70
	v_sub_nc_u32_e32 v58, 0, v70
	s_delay_alu instid0(VALU_DEP_2) | instskip(SKIP_1) | instid1(TRANS32_DEP_1)
	v_rcp_iflag_f32_e32 v5, v5
	v_nop
	v_mul_f32_e32 v5, 0x4f7ffffe, v5
	s_delay_alu instid0(VALU_DEP_1) | instskip(NEXT) | instid1(VALU_DEP_1)
	v_cvt_u32_f32_e32 v5, v5
	v_mul_lo_u32 v58, v58, v5
	s_delay_alu instid0(VALU_DEP_1) | instskip(NEXT) | instid1(VALU_DEP_1)
	v_mul_hi_u32 v58, v5, v58
	v_add_nc_u32_e32 v5, v5, v58
	s_delay_alu instid0(VALU_DEP_1) | instskip(NEXT) | instid1(VALU_DEP_1)
	v_mul_hi_u32 v5, v62, v5
	v_mul_lo_u32 v58, v5, v70
	s_delay_alu instid0(VALU_DEP_1) | instskip(NEXT) | instid1(VALU_DEP_1)
	v_dual_sub_nc_u32 v58, v62, v58 :: v_dual_add_nc_u32 v59, 1, v5
	v_sub_nc_u32_e32 v62, v58, v70
	v_cmp_ge_u32_e32 vcc_lo, v58, v70
	s_delay_alu instid0(VALU_DEP_2) | instskip(NEXT) | instid1(VALU_DEP_1)
	v_dual_cndmask_b32 v58, v58, v62 :: v_dual_cndmask_b32 v5, v5, v59
	v_cmp_ge_u32_e32 vcc_lo, v58, v70
	s_delay_alu instid0(VALU_DEP_2) | instskip(NEXT) | instid1(VALU_DEP_1)
	v_add_nc_u32_e32 v59, 1, v5
	v_dual_cndmask_b32 v58, v5, v59 :: v_dual_mov_b32 v59, v4
.LBB47_22:                              ;   in Loop: Header=BB47_4 Depth=1
	s_or_b32 exec_lo, exec_lo, s2
	v_or_b32_e32 v5, v67, v69
                                        ; implicit-def: $vgpr62_vgpr63
	s_mov_b32 s2, exec_lo
	s_delay_alu instid0(VALU_DEP_1)
	v_cmpx_ne_u64_e32 0, v[4:5]
	s_xor_b32 s3, exec_lo, s2
	s_cbranch_execz .LBB47_24
; %bb.23:                               ;   in Loop: Header=BB47_4 Depth=1
	v_dual_mov_b32 v71, v4 :: v_dual_ashrrev_i32 v62, 31, v69
	v_dual_mov_b32 v79, v4 :: v_dual_mov_b32 v81, v4
	s_delay_alu instid0(VALU_DEP_2) | instskip(NEXT) | instid1(VALU_DEP_1)
	v_mov_b32_e32 v63, v62
	v_add_nc_u64_e32 v[68:69], v[68:69], v[62:63]
	s_delay_alu instid0(VALU_DEP_1) | instskip(NEXT) | instid1(VALU_DEP_2)
	v_xor_b32_e32 v68, v68, v62
	v_xor_b32_e32 v69, v69, v62
	s_delay_alu instid0(VALU_DEP_2) | instskip(NEXT) | instid1(VALU_DEP_2)
	v_cvt_f32_u32_e32 v5, v68
	v_cvt_f32_u32_e32 v63, v69
	s_delay_alu instid0(VALU_DEP_1) | instskip(NEXT) | instid1(VALU_DEP_1)
	v_fmac_f32_e32 v5, 0x4f800000, v63
	v_rcp_f32_e32 v5, v5
	v_nop
	s_delay_alu instid0(TRANS32_DEP_1) | instskip(NEXT) | instid1(VALU_DEP_1)
	v_mul_f32_e32 v5, 0x5f7ffffc, v5
	v_mul_f32_e32 v63, 0x2f800000, v5
	s_delay_alu instid0(VALU_DEP_1) | instskip(NEXT) | instid1(VALU_DEP_1)
	v_trunc_f32_e32 v63, v63
	v_fmac_f32_e32 v5, 0xcf800000, v63
	v_cvt_u32_f32_e32 v75, v63
	s_delay_alu instid0(VALU_DEP_2) | instskip(NEXT) | instid1(VALU_DEP_1)
	v_cvt_u32_f32_e32 v70, v5
	v_dual_mov_b32 v80, v75 :: v_dual_mov_b32 v74, v70
	v_sub_nc_u64_e32 v[72:73], 0, v[68:69]
	s_delay_alu instid0(VALU_DEP_1) | instskip(NEXT) | instid1(VALU_DEP_1)
	v_mul_u64_e32 v[76:77], v[72:73], v[74:75]
	v_dual_mov_b32 v78, v77 :: v_dual_mov_b32 v77, v4
	s_delay_alu instid0(VALU_DEP_1) | instskip(NEXT) | instid1(VALU_DEP_2)
	v_mul_u64_e32 v[82:83], v[70:71], v[78:79]
	v_mul_u64_e32 v[84:85], v[80:81], v[76:77]
	;; [unrolled: 1-line block ×3, first 2 shown]
	v_mul_hi_u32 v76, v70, v76
	s_delay_alu instid0(VALU_DEP_1) | instskip(SKIP_1) | instid1(VALU_DEP_2)
	v_add_nc_u64_e32 v[76:77], v[76:77], v[82:83]
	v_ashrrev_i32_e32 v82, 31, v67
	v_add_co_u32 v5, vcc_lo, v76, v84
	s_delay_alu instid0(VALU_DEP_3) | instskip(SKIP_1) | instid1(VALU_DEP_1)
	v_add_co_ci_u32_e32 v80, vcc_lo, v77, v85, vcc_lo
	v_add_co_ci_u32_e32 v79, vcc_lo, 0, v79, vcc_lo
	v_add_nc_u64_e32 v[76:77], v[80:81], v[78:79]
	s_delay_alu instid0(VALU_DEP_1) | instskip(NEXT) | instid1(VALU_DEP_1)
	v_add_co_u32 v70, vcc_lo, v70, v76
	v_add_co_ci_u32_e64 v74, null, v75, v77, vcc_lo
	v_dual_mov_b32 v77, v4 :: v_dual_mov_b32 v75, v4
	s_delay_alu instid0(VALU_DEP_2) | instskip(NEXT) | instid1(VALU_DEP_1)
	v_mov_b32_e32 v71, v74
	v_mul_u64_e32 v[72:73], v[72:73], v[70:71]
	s_delay_alu instid0(VALU_DEP_1) | instskip(NEXT) | instid1(VALU_DEP_2)
	v_dual_mov_b32 v71, v4 :: v_dual_mov_b32 v76, v73
	v_dual_mov_b32 v80, v72 :: v_dual_mov_b32 v73, v4
	v_mul_hi_u32 v72, v70, v72
	s_delay_alu instid0(VALU_DEP_3) | instskip(NEXT) | instid1(VALU_DEP_3)
	v_mul_u64_e32 v[78:79], v[70:71], v[76:77]
	v_mul_u64_e32 v[80:81], v[74:75], v[80:81]
	;; [unrolled: 1-line block ×3, first 2 shown]
	s_delay_alu instid0(VALU_DEP_3) | instskip(SKIP_2) | instid1(VALU_DEP_3)
	v_add_nc_u64_e32 v[72:73], v[72:73], v[78:79]
	v_dual_mov_b32 v79, v4 :: v_dual_mov_b32 v83, v82
	v_xor_b32_e32 v62, v82, v62
	v_add_co_u32 v5, vcc_lo, v72, v80
	s_delay_alu instid0(VALU_DEP_4) | instskip(SKIP_1) | instid1(VALU_DEP_1)
	v_add_co_ci_u32_e32 v78, vcc_lo, v73, v81, vcc_lo
	v_add_co_ci_u32_e32 v77, vcc_lo, 0, v77, vcc_lo
	v_add_nc_u64_e32 v[72:73], v[78:79], v[76:77]
	v_mov_b32_e32 v77, v4
	v_add_nc_u64_e32 v[66:67], v[66:67], v[82:83]
	s_delay_alu instid0(VALU_DEP_3) | instskip(NEXT) | instid1(VALU_DEP_2)
	v_add_co_u32 v72, vcc_lo, v70, v72
	v_xor_b32_e32 v76, v66, v82
	v_add_co_ci_u32_e64 v70, null, v74, v73, vcc_lo
	s_delay_alu instid0(VALU_DEP_4) | instskip(NEXT) | instid1(VALU_DEP_2)
	v_dual_mov_b32 v73, v4 :: v_dual_bitop2_b32 v74, v67, v82 bitop3:0x14
	v_mul_u64_e32 v[78:79], v[76:77], v[70:71]
	s_delay_alu instid0(VALU_DEP_2) | instskip(SKIP_1) | instid1(VALU_DEP_1)
	v_mul_u64_e32 v[66:67], v[74:75], v[72:73]
	v_mul_hi_u32 v72, v76, v72
	v_add_nc_u64_e32 v[72:73], v[72:73], v[78:79]
	v_mov_b32_e32 v79, v4
	v_mul_u64_e32 v[70:71], v[74:75], v[70:71]
	s_delay_alu instid0(VALU_DEP_3) | instskip(NEXT) | instid1(VALU_DEP_4)
	v_add_co_u32 v5, vcc_lo, v72, v66
	v_add_co_ci_u32_e32 v78, vcc_lo, v73, v67, vcc_lo
	s_delay_alu instid0(VALU_DEP_3) | instskip(NEXT) | instid1(VALU_DEP_1)
	v_add_co_ci_u32_e32 v71, vcc_lo, 0, v71, vcc_lo
	v_add_nc_u64_e32 v[66:67], v[78:79], v[70:71]
	s_delay_alu instid0(VALU_DEP_1) | instskip(SKIP_1) | instid1(VALU_DEP_2)
	v_mul_u64_e32 v[70:71], v[68:69], v[66:67]
	v_add_nc_u64_e32 v[72:73], 1, v[66:67]
	v_sub_nc_u32_e32 v5, v74, v71
	s_delay_alu instid0(VALU_DEP_3) | instskip(NEXT) | instid1(VALU_DEP_1)
	v_sub_co_u32 v63, vcc_lo, v76, v70
	v_sub_co_ci_u32_e64 v74, null, v74, v71, vcc_lo
	s_delay_alu instid0(VALU_DEP_3) | instskip(NEXT) | instid1(VALU_DEP_3)
	v_sub_co_ci_u32_e64 v5, null, v5, v69, vcc_lo
	v_sub_co_u32 v70, s2, v63, v68
	s_delay_alu instid0(VALU_DEP_1) | instskip(NEXT) | instid1(VALU_DEP_2)
	v_subrev_co_ci_u32_e64 v5, null, 0, v5, s2
	v_cmp_ge_u32_e32 vcc_lo, v70, v68
	v_cndmask_b32_e64 v70, 0, -1, vcc_lo
	s_delay_alu instid0(VALU_DEP_3)
	v_cmp_ge_u32_e32 vcc_lo, v5, v69
	v_cndmask_b32_e64 v71, 0, -1, vcc_lo
	v_cmp_ge_u32_e32 vcc_lo, v63, v68
	v_cndmask_b32_e64 v63, 0, -1, vcc_lo
	;; [unrolled: 2-line block ×3, first 2 shown]
	v_cmp_eq_u32_e32 vcc_lo, v5, v69
	v_cndmask_b32_e32 v5, v71, v70, vcc_lo
	v_cmp_eq_u32_e32 vcc_lo, v74, v69
	v_add_nc_u64_e32 v[70:71], 2, v[66:67]
	v_cndmask_b32_e32 v63, v68, v63, vcc_lo
	s_delay_alu instid0(VALU_DEP_4) | instskip(NEXT) | instid1(VALU_DEP_2)
	v_cmp_ne_u32_e32 vcc_lo, 0, v5
                                        ; implicit-def: $vgpr68_vgpr69
	v_cmp_ne_u32_e64 s2, 0, v63
	s_delay_alu instid0(VALU_DEP_4) | instskip(NEXT) | instid1(VALU_DEP_1)
	v_dual_cndmask_b32 v5, v73, v71, vcc_lo :: v_dual_cndmask_b32 v63, v72, v70, vcc_lo
	v_dual_cndmask_b32 v5, v67, v5, s2 :: v_dual_cndmask_b32 v66, v66, v63, s2
	s_delay_alu instid0(VALU_DEP_1) | instskip(NEXT) | instid1(VALU_DEP_2)
	v_dual_mov_b32 v63, v62 :: v_dual_bitop2_b32 v67, v5, v62 bitop3:0x14
	v_xor_b32_e32 v66, v66, v62
	s_delay_alu instid0(VALU_DEP_1)
	v_sub_nc_u64_e32 v[62:63], v[66:67], v[62:63]
                                        ; implicit-def: $vgpr66_vgpr67
.LBB47_24:                              ;   in Loop: Header=BB47_4 Depth=1
	s_and_not1_saveexec_b32 s2, s3
	s_cbranch_execz .LBB47_26
; %bb.25:                               ;   in Loop: Header=BB47_4 Depth=1
	v_cvt_f32_u32_e32 v5, v68
	v_sub_nc_u32_e32 v62, 0, v68
	s_delay_alu instid0(VALU_DEP_2) | instskip(SKIP_1) | instid1(TRANS32_DEP_1)
	v_rcp_iflag_f32_e32 v5, v5
	v_nop
	v_mul_f32_e32 v5, 0x4f7ffffe, v5
	s_delay_alu instid0(VALU_DEP_1) | instskip(NEXT) | instid1(VALU_DEP_1)
	v_cvt_u32_f32_e32 v5, v5
	v_mul_lo_u32 v62, v62, v5
	s_delay_alu instid0(VALU_DEP_1) | instskip(NEXT) | instid1(VALU_DEP_1)
	v_mul_hi_u32 v62, v5, v62
	v_add_nc_u32_e32 v5, v5, v62
	s_delay_alu instid0(VALU_DEP_1) | instskip(NEXT) | instid1(VALU_DEP_1)
	v_mul_hi_u32 v5, v66, v5
	v_mul_lo_u32 v62, v5, v68
	s_delay_alu instid0(VALU_DEP_1) | instskip(NEXT) | instid1(VALU_DEP_1)
	v_dual_sub_nc_u32 v62, v66, v62 :: v_dual_add_nc_u32 v63, 1, v5
	v_sub_nc_u32_e32 v66, v62, v68
	v_cmp_ge_u32_e32 vcc_lo, v62, v68
	s_delay_alu instid0(VALU_DEP_2) | instskip(NEXT) | instid1(VALU_DEP_1)
	v_dual_cndmask_b32 v62, v62, v66 :: v_dual_cndmask_b32 v5, v5, v63
	v_cmp_ge_u32_e32 vcc_lo, v62, v68
	s_delay_alu instid0(VALU_DEP_2) | instskip(NEXT) | instid1(VALU_DEP_1)
	v_add_nc_u32_e32 v63, 1, v5
	v_dual_cndmask_b32 v62, v5, v63 :: v_dual_mov_b32 v63, v4
.LBB47_26:                              ;   in Loop: Header=BB47_4 Depth=1
	s_or_b32 exec_lo, exec_lo, s2
	s_wait_loadcnt 0x0
	v_or_b32_e32 v5, v61, v65
                                        ; implicit-def: $vgpr66_vgpr67
	s_mov_b32 s2, exec_lo
	s_delay_alu instid0(VALU_DEP_1)
	v_cmpx_ne_u64_e32 0, v[4:5]
	s_xor_b32 s3, exec_lo, s2
	s_cbranch_execz .LBB47_28
; %bb.27:                               ;   in Loop: Header=BB47_4 Depth=1
	v_dual_mov_b32 v69, v4 :: v_dual_ashrrev_i32 v66, 31, v65
	v_dual_mov_b32 v77, v4 :: v_dual_mov_b32 v79, v4
	s_delay_alu instid0(VALU_DEP_2) | instskip(NEXT) | instid1(VALU_DEP_1)
	v_mov_b32_e32 v67, v66
	v_add_nc_u64_e32 v[64:65], v[64:65], v[66:67]
	s_delay_alu instid0(VALU_DEP_1) | instskip(NEXT) | instid1(VALU_DEP_2)
	v_xor_b32_e32 v64, v64, v66
	v_xor_b32_e32 v65, v65, v66
	s_delay_alu instid0(VALU_DEP_2) | instskip(NEXT) | instid1(VALU_DEP_2)
	v_cvt_f32_u32_e32 v5, v64
	v_cvt_f32_u32_e32 v67, v65
	s_delay_alu instid0(VALU_DEP_1) | instskip(NEXT) | instid1(VALU_DEP_1)
	v_fmac_f32_e32 v5, 0x4f800000, v67
	v_rcp_f32_e32 v5, v5
	v_nop
	s_delay_alu instid0(TRANS32_DEP_1) | instskip(NEXT) | instid1(VALU_DEP_1)
	v_mul_f32_e32 v5, 0x5f7ffffc, v5
	v_mul_f32_e32 v67, 0x2f800000, v5
	s_delay_alu instid0(VALU_DEP_1) | instskip(NEXT) | instid1(VALU_DEP_1)
	v_trunc_f32_e32 v67, v67
	v_fmac_f32_e32 v5, 0xcf800000, v67
	v_cvt_u32_f32_e32 v73, v67
	s_delay_alu instid0(VALU_DEP_2) | instskip(NEXT) | instid1(VALU_DEP_1)
	v_cvt_u32_f32_e32 v68, v5
	v_dual_mov_b32 v78, v73 :: v_dual_mov_b32 v72, v68
	v_sub_nc_u64_e32 v[70:71], 0, v[64:65]
	s_delay_alu instid0(VALU_DEP_1) | instskip(NEXT) | instid1(VALU_DEP_1)
	v_mul_u64_e32 v[74:75], v[70:71], v[72:73]
	v_dual_mov_b32 v76, v75 :: v_dual_mov_b32 v75, v4
	s_delay_alu instid0(VALU_DEP_1) | instskip(NEXT) | instid1(VALU_DEP_2)
	v_mul_u64_e32 v[80:81], v[68:69], v[76:77]
	v_mul_u64_e32 v[82:83], v[78:79], v[74:75]
	;; [unrolled: 1-line block ×3, first 2 shown]
	v_mul_hi_u32 v74, v68, v74
	s_delay_alu instid0(VALU_DEP_1) | instskip(SKIP_1) | instid1(VALU_DEP_2)
	v_add_nc_u64_e32 v[74:75], v[74:75], v[80:81]
	v_ashrrev_i32_e32 v80, 31, v61
	v_add_co_u32 v5, vcc_lo, v74, v82
	s_delay_alu instid0(VALU_DEP_3) | instskip(SKIP_1) | instid1(VALU_DEP_1)
	v_add_co_ci_u32_e32 v78, vcc_lo, v75, v83, vcc_lo
	v_add_co_ci_u32_e32 v77, vcc_lo, 0, v77, vcc_lo
	v_add_nc_u64_e32 v[74:75], v[78:79], v[76:77]
	s_delay_alu instid0(VALU_DEP_1) | instskip(NEXT) | instid1(VALU_DEP_1)
	v_add_co_u32 v68, vcc_lo, v68, v74
	v_add_co_ci_u32_e64 v72, null, v73, v75, vcc_lo
	v_dual_mov_b32 v75, v4 :: v_dual_mov_b32 v73, v4
	s_delay_alu instid0(VALU_DEP_2) | instskip(NEXT) | instid1(VALU_DEP_1)
	v_mov_b32_e32 v69, v72
	v_mul_u64_e32 v[70:71], v[70:71], v[68:69]
	s_delay_alu instid0(VALU_DEP_1) | instskip(NEXT) | instid1(VALU_DEP_2)
	v_dual_mov_b32 v69, v4 :: v_dual_mov_b32 v74, v71
	v_dual_mov_b32 v78, v70 :: v_dual_mov_b32 v71, v4
	v_mul_hi_u32 v70, v68, v70
	s_delay_alu instid0(VALU_DEP_3) | instskip(NEXT) | instid1(VALU_DEP_3)
	v_mul_u64_e32 v[76:77], v[68:69], v[74:75]
	v_mul_u64_e32 v[78:79], v[72:73], v[78:79]
	;; [unrolled: 1-line block ×3, first 2 shown]
	s_delay_alu instid0(VALU_DEP_3) | instskip(SKIP_1) | instid1(VALU_DEP_2)
	v_add_nc_u64_e32 v[70:71], v[70:71], v[76:77]
	v_dual_mov_b32 v77, v4 :: v_dual_mov_b32 v81, v80
	v_add_co_u32 v5, vcc_lo, v70, v78
	s_delay_alu instid0(VALU_DEP_3) | instskip(SKIP_1) | instid1(VALU_DEP_1)
	v_add_co_ci_u32_e32 v76, vcc_lo, v71, v79, vcc_lo
	v_add_co_ci_u32_e32 v75, vcc_lo, 0, v75, vcc_lo
	v_add_nc_u64_e32 v[70:71], v[76:77], v[74:75]
	v_mov_b32_e32 v75, v4
	v_add_nc_u64_e32 v[60:61], v[60:61], v[80:81]
	s_delay_alu instid0(VALU_DEP_3) | instskip(NEXT) | instid1(VALU_DEP_2)
	v_add_co_u32 v70, vcc_lo, v68, v70
	v_xor_b32_e32 v74, v60, v80
	v_add_co_ci_u32_e64 v68, null, v72, v71, vcc_lo
	s_delay_alu instid0(VALU_DEP_4) | instskip(NEXT) | instid1(VALU_DEP_2)
	v_dual_mov_b32 v71, v4 :: v_dual_bitop2_b32 v72, v61, v80 bitop3:0x14
	v_mul_u64_e32 v[76:77], v[74:75], v[68:69]
	s_delay_alu instid0(VALU_DEP_2) | instskip(SKIP_2) | instid1(VALU_DEP_1)
	v_mul_u64_e32 v[60:61], v[72:73], v[70:71]
	v_mul_u64_e32 v[68:69], v[72:73], v[68:69]
	v_mul_hi_u32 v70, v74, v70
	v_add_nc_u64_e32 v[70:71], v[70:71], v[76:77]
	v_mov_b32_e32 v77, v4
	s_delay_alu instid0(VALU_DEP_2) | instskip(NEXT) | instid1(VALU_DEP_3)
	v_add_co_u32 v5, vcc_lo, v70, v60
	v_add_co_ci_u32_e32 v76, vcc_lo, v71, v61, vcc_lo
	v_add_co_ci_u32_e32 v69, vcc_lo, 0, v69, vcc_lo
	s_delay_alu instid0(VALU_DEP_1) | instskip(NEXT) | instid1(VALU_DEP_1)
	v_add_nc_u64_e32 v[60:61], v[76:77], v[68:69]
	v_mul_u64_e32 v[68:69], v[64:65], v[60:61]
	v_add_nc_u64_e32 v[70:71], 1, v[60:61]
	s_delay_alu instid0(VALU_DEP_2) | instskip(NEXT) | instid1(VALU_DEP_3)
	v_sub_nc_u32_e32 v5, v72, v69
	v_sub_co_u32 v67, vcc_lo, v74, v68
	s_delay_alu instid0(VALU_DEP_1) | instskip(NEXT) | instid1(VALU_DEP_3)
	v_sub_co_ci_u32_e64 v72, null, v72, v69, vcc_lo
	v_sub_co_ci_u32_e64 v5, null, v5, v65, vcc_lo
	s_delay_alu instid0(VALU_DEP_3) | instskip(NEXT) | instid1(VALU_DEP_1)
	v_sub_co_u32 v68, s2, v67, v64
	v_subrev_co_ci_u32_e64 v5, null, 0, v5, s2
	s_delay_alu instid0(VALU_DEP_2) | instskip(SKIP_1) | instid1(VALU_DEP_3)
	v_cmp_ge_u32_e32 vcc_lo, v68, v64
	v_cndmask_b32_e64 v68, 0, -1, vcc_lo
	v_cmp_ge_u32_e32 vcc_lo, v5, v65
	v_cndmask_b32_e64 v69, 0, -1, vcc_lo
	;; [unrolled: 2-line block ×4, first 2 shown]
	v_cmp_eq_u32_e32 vcc_lo, v5, v65
	v_cndmask_b32_e32 v5, v69, v68, vcc_lo
	v_cmp_eq_u32_e32 vcc_lo, v72, v65
	v_add_nc_u64_e32 v[68:69], 2, v[60:61]
	v_cndmask_b32_e32 v64, v67, v64, vcc_lo
	s_delay_alu instid0(VALU_DEP_4) | instskip(NEXT) | instid1(VALU_DEP_2)
	v_cmp_ne_u32_e32 vcc_lo, 0, v5
	v_cmp_ne_u32_e64 s2, 0, v64
	s_delay_alu instid0(VALU_DEP_4) | instskip(NEXT) | instid1(VALU_DEP_1)
	v_dual_cndmask_b32 v5, v71, v69, vcc_lo :: v_dual_cndmask_b32 v65, v70, v68, vcc_lo
	v_dual_cndmask_b32 v5, v61, v5, s2 :: v_dual_bitop2_b32 v64, v80, v66 bitop3:0x14
	s_delay_alu instid0(VALU_DEP_2) | instskip(NEXT) | instid1(VALU_DEP_2)
	v_cndmask_b32_e64 v60, v60, v65, s2
	v_dual_mov_b32 v65, v64 :: v_dual_bitop2_b32 v61, v5, v64 bitop3:0x14
	s_delay_alu instid0(VALU_DEP_2) | instskip(NEXT) | instid1(VALU_DEP_1)
	v_xor_b32_e32 v60, v60, v64
	v_sub_nc_u64_e32 v[66:67], v[60:61], v[64:65]
                                        ; implicit-def: $vgpr64_vgpr65
                                        ; implicit-def: $vgpr60_vgpr61
.LBB47_28:                              ;   in Loop: Header=BB47_4 Depth=1
	s_and_not1_saveexec_b32 s2, s3
	s_cbranch_execz .LBB47_30
; %bb.29:                               ;   in Loop: Header=BB47_4 Depth=1
	v_cvt_f32_u32_e32 v5, v64
	v_dual_sub_nc_u32 v61, 0, v64 :: v_dual_mov_b32 v67, v4
	s_delay_alu instid0(VALU_DEP_2) | instskip(SKIP_1) | instid1(TRANS32_DEP_1)
	v_rcp_iflag_f32_e32 v5, v5
	v_nop
	v_mul_f32_e32 v5, 0x4f7ffffe, v5
	s_delay_alu instid0(VALU_DEP_1) | instskip(NEXT) | instid1(VALU_DEP_1)
	v_cvt_u32_f32_e32 v5, v5
	v_mul_lo_u32 v61, v61, v5
	s_delay_alu instid0(VALU_DEP_1) | instskip(NEXT) | instid1(VALU_DEP_1)
	v_mul_hi_u32 v61, v5, v61
	v_add_nc_u32_e32 v5, v5, v61
	s_delay_alu instid0(VALU_DEP_1) | instskip(NEXT) | instid1(VALU_DEP_1)
	v_mul_hi_u32 v5, v60, v5
	v_mul_lo_u32 v61, v5, v64
	s_delay_alu instid0(VALU_DEP_1) | instskip(NEXT) | instid1(VALU_DEP_1)
	v_sub_nc_u32_e32 v60, v60, v61
	v_dual_add_nc_u32 v61, 1, v5 :: v_dual_sub_nc_u32 v65, v60, v64
	v_cmp_ge_u32_e32 vcc_lo, v60, v64
	s_delay_alu instid0(VALU_DEP_2) | instskip(NEXT) | instid1(VALU_DEP_3)
	v_cndmask_b32_e32 v60, v60, v65, vcc_lo
	v_cndmask_b32_e32 v5, v5, v61, vcc_lo
	s_delay_alu instid0(VALU_DEP_2) | instskip(NEXT) | instid1(VALU_DEP_2)
	v_cmp_ge_u32_e32 vcc_lo, v60, v64
	v_add_nc_u32_e32 v61, 1, v5
	s_delay_alu instid0(VALU_DEP_1)
	v_cndmask_b32_e32 v66, v5, v61, vcc_lo
.LBB47_30:                              ;   in Loop: Header=BB47_4 Depth=1
	s_or_b32 exec_lo, exec_lo, s2
	v_or_b32_e32 v5, v55, v57
                                        ; implicit-def: $vgpr60_vgpr61
	s_mov_b32 s2, exec_lo
	s_delay_alu instid0(VALU_DEP_1)
	v_cmpx_ne_u64_e32 0, v[4:5]
	s_xor_b32 s3, exec_lo, s2
	s_cbranch_execz .LBB47_32
; %bb.31:                               ;   in Loop: Header=BB47_4 Depth=1
	v_dual_mov_b32 v65, v4 :: v_dual_ashrrev_i32 v60, 31, v57
	v_dual_mov_b32 v75, v4 :: v_dual_mov_b32 v77, v4
	s_delay_alu instid0(VALU_DEP_2) | instskip(NEXT) | instid1(VALU_DEP_1)
	v_mov_b32_e32 v61, v60
	v_add_nc_u64_e32 v[56:57], v[56:57], v[60:61]
	s_delay_alu instid0(VALU_DEP_1) | instskip(NEXT) | instid1(VALU_DEP_2)
	v_xor_b32_e32 v56, v56, v60
	v_xor_b32_e32 v57, v57, v60
	s_delay_alu instid0(VALU_DEP_2) | instskip(NEXT) | instid1(VALU_DEP_2)
	v_cvt_f32_u32_e32 v5, v56
	v_cvt_f32_u32_e32 v61, v57
	v_sub_nc_u64_e32 v[68:69], 0, v[56:57]
	s_delay_alu instid0(VALU_DEP_2) | instskip(NEXT) | instid1(VALU_DEP_1)
	v_fmac_f32_e32 v5, 0x4f800000, v61
	v_rcp_f32_e32 v5, v5
	v_nop
	s_delay_alu instid0(TRANS32_DEP_1) | instskip(NEXT) | instid1(VALU_DEP_1)
	v_mul_f32_e32 v5, 0x5f7ffffc, v5
	v_mul_f32_e32 v61, 0x2f800000, v5
	s_delay_alu instid0(VALU_DEP_1) | instskip(NEXT) | instid1(VALU_DEP_1)
	v_trunc_f32_e32 v61, v61
	v_fmac_f32_e32 v5, 0xcf800000, v61
	v_cvt_u32_f32_e32 v71, v61
	s_delay_alu instid0(VALU_DEP_2) | instskip(NEXT) | instid1(VALU_DEP_1)
	v_cvt_u32_f32_e32 v64, v5
	v_dual_mov_b32 v76, v71 :: v_dual_mov_b32 v70, v64
	s_delay_alu instid0(VALU_DEP_1) | instskip(NEXT) | instid1(VALU_DEP_1)
	v_mul_u64_e32 v[72:73], v[68:69], v[70:71]
	v_dual_mov_b32 v74, v73 :: v_dual_mov_b32 v73, v4
	s_delay_alu instid0(VALU_DEP_1) | instskip(NEXT) | instid1(VALU_DEP_2)
	v_mul_u64_e32 v[78:79], v[64:65], v[74:75]
	v_mul_u64_e32 v[80:81], v[76:77], v[72:73]
	;; [unrolled: 1-line block ×3, first 2 shown]
	v_mul_hi_u32 v72, v64, v72
	s_delay_alu instid0(VALU_DEP_1) | instskip(SKIP_1) | instid1(VALU_DEP_1)
	v_add_nc_u64_e32 v[72:73], v[72:73], v[78:79]
	v_ashrrev_i32_e32 v78, 31, v55
	v_mov_b32_e32 v79, v78
	s_delay_alu instid0(VALU_DEP_3) | instskip(NEXT) | instid1(VALU_DEP_4)
	v_add_co_u32 v5, vcc_lo, v72, v80
	v_add_co_ci_u32_e32 v76, vcc_lo, v73, v81, vcc_lo
	v_add_co_ci_u32_e32 v75, vcc_lo, 0, v75, vcc_lo
	s_delay_alu instid0(VALU_DEP_1) | instskip(NEXT) | instid1(VALU_DEP_1)
	v_add_nc_u64_e32 v[72:73], v[76:77], v[74:75]
	v_add_co_u32 v64, vcc_lo, v64, v72
	s_delay_alu instid0(VALU_DEP_1) | instskip(SKIP_1) | instid1(VALU_DEP_2)
	v_add_co_ci_u32_e64 v70, null, v71, v73, vcc_lo
	v_dual_mov_b32 v73, v4 :: v_dual_mov_b32 v71, v4
	v_mov_b32_e32 v65, v70
	s_delay_alu instid0(VALU_DEP_1) | instskip(NEXT) | instid1(VALU_DEP_1)
	v_mul_u64_e32 v[68:69], v[68:69], v[64:65]
	v_dual_mov_b32 v65, v4 :: v_dual_mov_b32 v72, v69
	s_delay_alu instid0(VALU_DEP_2) | instskip(SKIP_2) | instid1(VALU_DEP_4)
	v_mov_b32_e32 v76, v68
	v_mul_hi_u32 v68, v64, v68
	v_mov_b32_e32 v69, v4
	v_mul_u64_e32 v[74:75], v[64:65], v[72:73]
	s_delay_alu instid0(VALU_DEP_4) | instskip(SKIP_1) | instid1(VALU_DEP_3)
	v_mul_u64_e32 v[76:77], v[70:71], v[76:77]
	v_mul_u64_e32 v[72:73], v[70:71], v[72:73]
	v_add_nc_u64_e32 v[68:69], v[68:69], v[74:75]
	v_mov_b32_e32 v75, v4
	s_delay_alu instid0(VALU_DEP_2) | instskip(NEXT) | instid1(VALU_DEP_3)
	v_add_co_u32 v5, vcc_lo, v68, v76
	v_add_co_ci_u32_e32 v74, vcc_lo, v69, v77, vcc_lo
	v_add_co_ci_u32_e32 v73, vcc_lo, 0, v73, vcc_lo
	s_delay_alu instid0(VALU_DEP_1) | instskip(SKIP_2) | instid1(VALU_DEP_3)
	v_add_nc_u64_e32 v[68:69], v[74:75], v[72:73]
	v_mov_b32_e32 v73, v4
	v_add_nc_u64_e32 v[54:55], v[54:55], v[78:79]
	v_add_co_u32 v68, vcc_lo, v64, v68
	s_delay_alu instid0(VALU_DEP_2) | instskip(SKIP_1) | instid1(VALU_DEP_4)
	v_xor_b32_e32 v72, v54, v78
	v_add_co_ci_u32_e64 v64, null, v70, v69, vcc_lo
	v_dual_mov_b32 v69, v4 :: v_dual_bitop2_b32 v70, v55, v78 bitop3:0x14
	s_delay_alu instid0(VALU_DEP_2) | instskip(NEXT) | instid1(VALU_DEP_2)
	v_mul_u64_e32 v[74:75], v[72:73], v[64:65]
	v_mul_u64_e32 v[54:55], v[70:71], v[68:69]
	v_mul_hi_u32 v68, v72, v68
	s_delay_alu instid0(VALU_DEP_1) | instskip(SKIP_2) | instid1(VALU_DEP_3)
	v_add_nc_u64_e32 v[68:69], v[68:69], v[74:75]
	v_mov_b32_e32 v75, v4
	v_mul_u64_e32 v[64:65], v[70:71], v[64:65]
	v_add_co_u32 v5, vcc_lo, v68, v54
	s_delay_alu instid0(VALU_DEP_4) | instskip(NEXT) | instid1(VALU_DEP_3)
	v_add_co_ci_u32_e32 v74, vcc_lo, v69, v55, vcc_lo
	v_add_co_ci_u32_e32 v65, vcc_lo, 0, v65, vcc_lo
	s_delay_alu instid0(VALU_DEP_1) | instskip(NEXT) | instid1(VALU_DEP_1)
	v_add_nc_u64_e32 v[54:55], v[74:75], v[64:65]
	v_mul_u64_e32 v[64:65], v[56:57], v[54:55]
	v_add_nc_u64_e32 v[68:69], 1, v[54:55]
	s_delay_alu instid0(VALU_DEP_2) | instskip(NEXT) | instid1(VALU_DEP_3)
	v_sub_nc_u32_e32 v5, v70, v65
	v_sub_co_u32 v61, vcc_lo, v72, v64
	s_delay_alu instid0(VALU_DEP_1) | instskip(NEXT) | instid1(VALU_DEP_3)
	v_sub_co_ci_u32_e64 v70, null, v70, v65, vcc_lo
	v_sub_co_ci_u32_e64 v5, null, v5, v57, vcc_lo
	s_delay_alu instid0(VALU_DEP_3) | instskip(NEXT) | instid1(VALU_DEP_1)
	v_sub_co_u32 v64, s2, v61, v56
	v_subrev_co_ci_u32_e64 v5, null, 0, v5, s2
	s_delay_alu instid0(VALU_DEP_2) | instskip(SKIP_1) | instid1(VALU_DEP_3)
	v_cmp_ge_u32_e32 vcc_lo, v64, v56
	v_cndmask_b32_e64 v64, 0, -1, vcc_lo
	v_cmp_ge_u32_e32 vcc_lo, v5, v57
	v_cndmask_b32_e64 v65, 0, -1, vcc_lo
	;; [unrolled: 2-line block ×4, first 2 shown]
	v_cmp_eq_u32_e32 vcc_lo, v5, v57
	v_cndmask_b32_e32 v5, v65, v64, vcc_lo
	v_cmp_eq_u32_e32 vcc_lo, v70, v57
	v_add_nc_u64_e32 v[64:65], 2, v[54:55]
	v_cndmask_b32_e32 v56, v61, v56, vcc_lo
	s_delay_alu instid0(VALU_DEP_4) | instskip(NEXT) | instid1(VALU_DEP_2)
	v_cmp_ne_u32_e32 vcc_lo, 0, v5
	v_cmp_ne_u32_e64 s2, 0, v56
	s_delay_alu instid0(VALU_DEP_4) | instskip(NEXT) | instid1(VALU_DEP_1)
	v_dual_cndmask_b32 v5, v69, v65, vcc_lo :: v_dual_bitop2_b32 v56, v78, v60 bitop3:0x14
	v_dual_cndmask_b32 v57, v68, v64, vcc_lo :: v_dual_cndmask_b32 v5, v55, v5, s2
	s_delay_alu instid0(VALU_DEP_1) | instskip(NEXT) | instid1(VALU_DEP_2)
	v_dual_cndmask_b32 v54, v54, v57, s2 :: v_dual_mov_b32 v57, v56
	v_xor_b32_e32 v55, v5, v56
	s_delay_alu instid0(VALU_DEP_2) | instskip(NEXT) | instid1(VALU_DEP_1)
	v_xor_b32_e32 v54, v54, v56
	v_sub_nc_u64_e32 v[60:61], v[54:55], v[56:57]
                                        ; implicit-def: $vgpr56_vgpr57
                                        ; implicit-def: $vgpr54_vgpr55
.LBB47_32:                              ;   in Loop: Header=BB47_4 Depth=1
	s_and_not1_saveexec_b32 s2, s3
	s_cbranch_execz .LBB47_3
; %bb.33:                               ;   in Loop: Header=BB47_4 Depth=1
	v_cvt_f32_u32_e32 v5, v56
	v_dual_sub_nc_u32 v55, 0, v56 :: v_dual_mov_b32 v61, v4
	s_delay_alu instid0(VALU_DEP_2) | instskip(SKIP_1) | instid1(TRANS32_DEP_1)
	v_rcp_iflag_f32_e32 v5, v5
	v_nop
	v_mul_f32_e32 v5, 0x4f7ffffe, v5
	s_delay_alu instid0(VALU_DEP_1) | instskip(NEXT) | instid1(VALU_DEP_1)
	v_cvt_u32_f32_e32 v5, v5
	v_mul_lo_u32 v55, v55, v5
	s_delay_alu instid0(VALU_DEP_1) | instskip(NEXT) | instid1(VALU_DEP_1)
	v_mul_hi_u32 v55, v5, v55
	v_add_nc_u32_e32 v5, v5, v55
	s_delay_alu instid0(VALU_DEP_1) | instskip(NEXT) | instid1(VALU_DEP_1)
	v_mul_hi_u32 v5, v54, v5
	v_mul_lo_u32 v55, v5, v56
	s_delay_alu instid0(VALU_DEP_1) | instskip(NEXT) | instid1(VALU_DEP_1)
	v_dual_sub_nc_u32 v54, v54, v55 :: v_dual_add_nc_u32 v55, 1, v5
	v_sub_nc_u32_e32 v57, v54, v56
	v_cmp_ge_u32_e32 vcc_lo, v54, v56
	s_delay_alu instid0(VALU_DEP_2) | instskip(NEXT) | instid1(VALU_DEP_1)
	v_dual_cndmask_b32 v54, v54, v57 :: v_dual_cndmask_b32 v5, v5, v55
	v_cmp_ge_u32_e32 vcc_lo, v54, v56
	s_delay_alu instid0(VALU_DEP_2) | instskip(NEXT) | instid1(VALU_DEP_1)
	v_add_nc_u32_e32 v55, 1, v5
	v_cndmask_b32_e32 v60, v5, v55, vcc_lo
	s_branch .LBB47_3
.LBB47_34:
	s_mov_b32 s24, 0
.LBB47_35:
	s_delay_alu instid0(SALU_CYCLE_1)
	s_and_not1_b32 vcc_lo, exec_lo, s24
	s_cbranch_vccnz .LBB47_55
; %bb.36:
	v_min_i64 v[26:27], 0x10000, s[16:17]
	v_dual_mov_b32 v28, 0 :: v_dual_lshlrev_b32 v2, 2, v0
	s_mov_b32 s2, exec_lo
	s_delay_alu instid0(VALU_DEP_1) | instskip(SKIP_1) | instid1(VALU_DEP_1)
	v_mov_b32_e32 v3, v28
	s_wait_xcnt 0x0
	v_cmpx_lt_i64_e64 v[2:3], v[26:27]
	s_cbranch_execz .LBB47_55
; %bb.37:
	s_load_b32 s0, s[0:1], 0xc04
	v_dual_mov_b32 v1, v28 :: v_dual_lshlrev_b32 v30, 5, v0
	v_mov_b32_e32 v31, v28
	s_mov_b32 s3, 0
	s_delay_alu instid0(SALU_CYCLE_1) | instskip(SKIP_4) | instid1(SALU_CYCLE_1)
	s_mov_b32 s15, s3
	s_wait_xcnt 0x0
	s_mov_b32 s1, s3
	s_wait_kmcnt 0x0
	s_and_b32 s2, s0, 0xffff
	s_lshl_b32 s14, s2, 5
	s_branch .LBB47_39
.LBB47_38:                              ;   in Loop: Header=BB47_39 Depth=1
	s_or_b32 exec_lo, exec_lo, s0
	s_wait_loadcnt 0x0
	v_mad_nc_u64_u32 v[8:9], v18, s12, v[8:9]
	v_mad_nc_u64_u32 v[6:7], v32, s12, v[6:7]
	;; [unrolled: 1-line block ×4, first 2 shown]
	v_add_nc_u64_e32 v[0:1], s[2:3], v[0:1]
	s_add_nc_u64 s[4:5], s[4:5], s[14:15]
	s_add_nc_u64 s[8:9], s[8:9], s[14:15]
	;; [unrolled: 1-line block ×3, first 2 shown]
	s_delay_alu instid0(VALU_DEP_1)
	v_lshlrev_b64_e32 v[12:13], 2, v[0:1]
	v_mad_u32 v9, v19, s12, v9
	v_mad_u32 v7, v33, s12, v7
	;; [unrolled: 1-line block ×4, first 2 shown]
	v_cmp_ge_i64_e32 vcc_lo, v[12:13], v[26:27]
	v_mad_u32 v9, v18, s13, v9
	v_mad_u32 v7, v32, s13, v7
	v_mad_u32 v3, v20, s13, v3
	v_mad_u32 v5, v10, s13, v5
	v_add_nc_u64_e32 v[10:11], s[10:11], v[30:31]
	s_add_nc_u64 s[10:11], s[10:11], s[14:15]
	s_or_b32 s1, vcc_lo, s1
	s_clause 0x1
	global_store_b128 v[10:11], v[6:9], off
	global_store_b128 v[10:11], v[2:5], off offset:16
	s_wait_xcnt 0x0
	s_and_not1_b32 exec_lo, exec_lo, s1
	s_cbranch_execz .LBB47_55
.LBB47_39:                              ; =>This Inner Loop Header: Depth=1
	v_add_nc_u64_e32 v[32:33], s[6:7], v[30:31]
	v_add_nc_u64_e32 v[34:35], s[8:9], v[30:31]
	;; [unrolled: 1-line block ×3, first 2 shown]
	s_mov_b32 s0, exec_lo
	global_load_b128 v[18:21], v[32:33], off
	global_load_b128 v[22:25], v[34:35], off
	global_load_b128 v[10:13], v[32:33], off offset:16
	global_load_b128 v[14:17], v[34:35], off offset:16
	s_clause 0x1
	global_load_b128 v[2:5], v[36:37], off offset:16
	global_load_b128 v[6:9], v[36:37], off
                                        ; implicit-def: $vgpr32_vgpr33
	s_wait_loadcnt 0x4
	v_or_b32_e32 v29, v19, v23
	s_wait_xcnt 0x0
	s_delay_alu instid0(VALU_DEP_1)
	v_cmpx_ne_u64_e32 0, v[28:29]
	s_xor_b32 s16, exec_lo, s0
	s_cbranch_execz .LBB47_41
; %bb.40:                               ;   in Loop: Header=BB47_39 Depth=1
	v_dual_mov_b32 v35, v28 :: v_dual_ashrrev_i32 v32, 31, v23
	v_dual_mov_b32 v43, v28 :: v_dual_mov_b32 v45, v28
	s_delay_alu instid0(VALU_DEP_2) | instskip(NEXT) | instid1(VALU_DEP_1)
	v_mov_b32_e32 v33, v32
	v_add_nc_u64_e32 v[22:23], v[22:23], v[32:33]
	s_delay_alu instid0(VALU_DEP_1) | instskip(NEXT) | instid1(VALU_DEP_2)
	v_xor_b32_e32 v22, v22, v32
	v_xor_b32_e32 v23, v23, v32
	s_delay_alu instid0(VALU_DEP_2) | instskip(NEXT) | instid1(VALU_DEP_2)
	v_cvt_f32_u32_e32 v29, v22
	v_cvt_f32_u32_e32 v33, v23
	s_delay_alu instid0(VALU_DEP_1) | instskip(NEXT) | instid1(VALU_DEP_1)
	v_fmac_f32_e32 v29, 0x4f800000, v33
	v_rcp_f32_e32 v29, v29
	v_nop
	s_delay_alu instid0(TRANS32_DEP_1) | instskip(NEXT) | instid1(VALU_DEP_1)
	v_mul_f32_e32 v29, 0x5f7ffffc, v29
	v_mul_f32_e32 v33, 0x2f800000, v29
	s_delay_alu instid0(VALU_DEP_1) | instskip(NEXT) | instid1(VALU_DEP_1)
	v_trunc_f32_e32 v33, v33
	v_fmac_f32_e32 v29, 0xcf800000, v33
	v_cvt_u32_f32_e32 v39, v33
	s_delay_alu instid0(VALU_DEP_2) | instskip(NEXT) | instid1(VALU_DEP_1)
	v_cvt_u32_f32_e32 v34, v29
	v_dual_mov_b32 v44, v39 :: v_dual_mov_b32 v38, v34
	v_sub_nc_u64_e32 v[36:37], 0, v[22:23]
	s_delay_alu instid0(VALU_DEP_1) | instskip(NEXT) | instid1(VALU_DEP_1)
	v_mul_u64_e32 v[40:41], v[36:37], v[38:39]
	v_dual_mov_b32 v42, v41 :: v_dual_mov_b32 v41, v28
	s_delay_alu instid0(VALU_DEP_1) | instskip(NEXT) | instid1(VALU_DEP_2)
	v_mul_u64_e32 v[46:47], v[34:35], v[42:43]
	v_mul_u64_e32 v[48:49], v[44:45], v[40:41]
	;; [unrolled: 1-line block ×3, first 2 shown]
	v_mul_hi_u32 v40, v34, v40
	s_delay_alu instid0(VALU_DEP_1) | instskip(SKIP_1) | instid1(VALU_DEP_2)
	v_add_nc_u64_e32 v[40:41], v[40:41], v[46:47]
	v_ashrrev_i32_e32 v46, 31, v19
	v_add_co_u32 v29, vcc_lo, v40, v48
	s_delay_alu instid0(VALU_DEP_3) | instskip(SKIP_1) | instid1(VALU_DEP_1)
	v_add_co_ci_u32_e32 v44, vcc_lo, v41, v49, vcc_lo
	v_add_co_ci_u32_e32 v43, vcc_lo, 0, v43, vcc_lo
	v_add_nc_u64_e32 v[40:41], v[44:45], v[42:43]
	s_delay_alu instid0(VALU_DEP_1) | instskip(NEXT) | instid1(VALU_DEP_1)
	v_add_co_u32 v34, vcc_lo, v34, v40
	v_add_co_ci_u32_e64 v38, null, v39, v41, vcc_lo
	v_dual_mov_b32 v41, v28 :: v_dual_mov_b32 v39, v28
	s_delay_alu instid0(VALU_DEP_2) | instskip(NEXT) | instid1(VALU_DEP_1)
	v_mov_b32_e32 v35, v38
	v_mul_u64_e32 v[36:37], v[36:37], v[34:35]
	s_delay_alu instid0(VALU_DEP_1) | instskip(NEXT) | instid1(VALU_DEP_2)
	v_dual_mov_b32 v35, v28 :: v_dual_mov_b32 v40, v37
	v_dual_mov_b32 v44, v36 :: v_dual_mov_b32 v37, v28
	v_mul_hi_u32 v36, v34, v36
	s_delay_alu instid0(VALU_DEP_3) | instskip(NEXT) | instid1(VALU_DEP_3)
	v_mul_u64_e32 v[42:43], v[34:35], v[40:41]
	v_mul_u64_e32 v[44:45], v[38:39], v[44:45]
	;; [unrolled: 1-line block ×3, first 2 shown]
	s_delay_alu instid0(VALU_DEP_3) | instskip(SKIP_1) | instid1(VALU_DEP_2)
	v_add_nc_u64_e32 v[36:37], v[36:37], v[42:43]
	v_dual_mov_b32 v43, v28 :: v_dual_mov_b32 v47, v46
	v_add_co_u32 v29, vcc_lo, v36, v44
	s_delay_alu instid0(VALU_DEP_3) | instskip(SKIP_1) | instid1(VALU_DEP_1)
	v_add_co_ci_u32_e32 v42, vcc_lo, v37, v45, vcc_lo
	v_add_co_ci_u32_e32 v41, vcc_lo, 0, v41, vcc_lo
	v_add_nc_u64_e32 v[36:37], v[42:43], v[40:41]
	v_mov_b32_e32 v41, v28
	v_add_nc_u64_e32 v[18:19], v[18:19], v[46:47]
	s_delay_alu instid0(VALU_DEP_3) | instskip(NEXT) | instid1(VALU_DEP_2)
	v_add_co_u32 v36, vcc_lo, v34, v36
	v_xor_b32_e32 v40, v18, v46
	v_add_co_ci_u32_e64 v34, null, v38, v37, vcc_lo
	s_delay_alu instid0(VALU_DEP_4) | instskip(NEXT) | instid1(VALU_DEP_2)
	v_dual_mov_b32 v37, v28 :: v_dual_bitop2_b32 v38, v19, v46 bitop3:0x14
	v_mul_u64_e32 v[42:43], v[40:41], v[34:35]
	s_delay_alu instid0(VALU_DEP_2) | instskip(SKIP_1) | instid1(VALU_DEP_1)
	v_mul_u64_e32 v[18:19], v[38:39], v[36:37]
	v_mul_hi_u32 v36, v40, v36
	v_add_nc_u64_e32 v[36:37], v[36:37], v[42:43]
	v_mov_b32_e32 v43, v28
	v_mul_u64_e32 v[34:35], v[38:39], v[34:35]
	s_delay_alu instid0(VALU_DEP_3) | instskip(NEXT) | instid1(VALU_DEP_4)
	v_add_co_u32 v18, vcc_lo, v36, v18
	v_add_co_ci_u32_e32 v42, vcc_lo, v37, v19, vcc_lo
	s_delay_alu instid0(VALU_DEP_3) | instskip(NEXT) | instid1(VALU_DEP_1)
	v_add_co_ci_u32_e32 v35, vcc_lo, 0, v35, vcc_lo
	v_add_nc_u64_e32 v[18:19], v[42:43], v[34:35]
	s_delay_alu instid0(VALU_DEP_1) | instskip(SKIP_1) | instid1(VALU_DEP_2)
	v_mul_u64_e32 v[34:35], v[22:23], v[18:19]
	v_add_nc_u64_e32 v[36:37], 1, v[18:19]
	v_sub_nc_u32_e32 v29, v38, v35
	s_delay_alu instid0(VALU_DEP_3) | instskip(NEXT) | instid1(VALU_DEP_1)
	v_sub_co_u32 v33, vcc_lo, v40, v34
	v_sub_co_ci_u32_e64 v38, null, v38, v35, vcc_lo
	s_delay_alu instid0(VALU_DEP_3) | instskip(NEXT) | instid1(VALU_DEP_3)
	v_sub_co_ci_u32_e64 v29, null, v29, v23, vcc_lo
	v_sub_co_u32 v34, s0, v33, v22
	s_delay_alu instid0(VALU_DEP_1) | instskip(NEXT) | instid1(VALU_DEP_2)
	v_subrev_co_ci_u32_e64 v29, null, 0, v29, s0
	v_cmp_ge_u32_e32 vcc_lo, v34, v22
	v_cndmask_b32_e64 v34, 0, -1, vcc_lo
	s_delay_alu instid0(VALU_DEP_3)
	v_cmp_ge_u32_e32 vcc_lo, v29, v23
	v_cndmask_b32_e64 v35, 0, -1, vcc_lo
	v_cmp_ge_u32_e32 vcc_lo, v33, v22
	v_cndmask_b32_e64 v22, 0, -1, vcc_lo
	;; [unrolled: 2-line block ×3, first 2 shown]
	v_cmp_eq_u32_e32 vcc_lo, v29, v23
	v_cndmask_b32_e32 v29, v35, v34, vcc_lo
	v_cmp_eq_u32_e32 vcc_lo, v38, v23
	v_add_nc_u64_e32 v[34:35], 2, v[18:19]
	v_cndmask_b32_e32 v22, v33, v22, vcc_lo
	s_delay_alu instid0(VALU_DEP_4) | instskip(NEXT) | instid1(VALU_DEP_2)
	v_cmp_ne_u32_e32 vcc_lo, 0, v29
	v_cmp_ne_u32_e64 s0, 0, v22
	s_delay_alu instid0(VALU_DEP_4) | instskip(NEXT) | instid1(VALU_DEP_1)
	v_dual_cndmask_b32 v23, v37, v35, vcc_lo :: v_dual_cndmask_b32 v29, v36, v34, vcc_lo
	v_dual_cndmask_b32 v19, v19, v23, s0 :: v_dual_bitop2_b32 v22, v46, v32 bitop3:0x14
	s_delay_alu instid0(VALU_DEP_2) | instskip(NEXT) | instid1(VALU_DEP_2)
	v_cndmask_b32_e64 v18, v18, v29, s0
	v_dual_mov_b32 v23, v22 :: v_dual_bitop2_b32 v19, v19, v22 bitop3:0x14
	s_delay_alu instid0(VALU_DEP_2) | instskip(NEXT) | instid1(VALU_DEP_1)
	v_xor_b32_e32 v18, v18, v22
	v_sub_nc_u64_e32 v[32:33], v[18:19], v[22:23]
.LBB47_41:                              ;   in Loop: Header=BB47_39 Depth=1
	s_and_not1_saveexec_b32 s0, s16
	s_cbranch_execz .LBB47_43
; %bb.42:                               ;   in Loop: Header=BB47_39 Depth=1
	v_cvt_f32_u32_e32 v19, v22
	v_dual_sub_nc_u32 v23, 0, v22 :: v_dual_mov_b32 v33, v28
	s_delay_alu instid0(VALU_DEP_2) | instskip(SKIP_1) | instid1(TRANS32_DEP_1)
	v_rcp_iflag_f32_e32 v19, v19
	v_nop
	v_mul_f32_e32 v19, 0x4f7ffffe, v19
	s_delay_alu instid0(VALU_DEP_1) | instskip(NEXT) | instid1(VALU_DEP_1)
	v_cvt_u32_f32_e32 v19, v19
	v_mul_lo_u32 v23, v23, v19
	s_delay_alu instid0(VALU_DEP_1) | instskip(NEXT) | instid1(VALU_DEP_1)
	v_mul_hi_u32 v23, v19, v23
	v_add_nc_u32_e32 v19, v19, v23
	s_delay_alu instid0(VALU_DEP_1) | instskip(NEXT) | instid1(VALU_DEP_1)
	v_mul_hi_u32 v19, v18, v19
	v_mul_lo_u32 v23, v19, v22
	s_delay_alu instid0(VALU_DEP_1) | instskip(NEXT) | instid1(VALU_DEP_1)
	v_sub_nc_u32_e32 v18, v18, v23
	v_dual_add_nc_u32 v23, 1, v19 :: v_dual_sub_nc_u32 v29, v18, v22
	v_cmp_ge_u32_e32 vcc_lo, v18, v22
	s_delay_alu instid0(VALU_DEP_2) | instskip(NEXT) | instid1(VALU_DEP_1)
	v_dual_cndmask_b32 v18, v18, v29 :: v_dual_cndmask_b32 v19, v19, v23
	v_cmp_ge_u32_e32 vcc_lo, v18, v22
	s_delay_alu instid0(VALU_DEP_2) | instskip(NEXT) | instid1(VALU_DEP_1)
	v_add_nc_u32_e32 v23, 1, v19
	v_cndmask_b32_e32 v32, v19, v23, vcc_lo
.LBB47_43:                              ;   in Loop: Header=BB47_39 Depth=1
	s_or_b32 exec_lo, exec_lo, s0
	v_or_b32_e32 v29, v21, v25
                                        ; implicit-def: $vgpr18_vgpr19
	s_mov_b32 s0, exec_lo
	s_delay_alu instid0(VALU_DEP_1)
	v_cmpx_ne_u64_e32 0, v[28:29]
	s_xor_b32 s16, exec_lo, s0
	s_cbranch_execz .LBB47_45
; %bb.44:                               ;   in Loop: Header=BB47_39 Depth=1
	v_dual_mov_b32 v41, v28 :: v_dual_ashrrev_i32 v18, 31, v25
	s_delay_alu instid0(VALU_DEP_1) | instskip(NEXT) | instid1(VALU_DEP_1)
	v_dual_mov_b32 v43, v28 :: v_dual_mov_b32 v19, v18
	v_add_nc_u64_e32 v[22:23], v[24:25], v[18:19]
	s_delay_alu instid0(VALU_DEP_1) | instskip(NEXT) | instid1(VALU_DEP_2)
	v_xor_b32_e32 v22, v22, v18
	v_xor_b32_e32 v23, v23, v18
	s_delay_alu instid0(VALU_DEP_2) | instskip(NEXT) | instid1(VALU_DEP_2)
	v_cvt_f32_u32_e32 v19, v22
	v_cvt_f32_u32_e32 v24, v23
	s_delay_alu instid0(VALU_DEP_1) | instskip(NEXT) | instid1(VALU_DEP_1)
	v_fmac_f32_e32 v19, 0x4f800000, v24
	v_rcp_f32_e32 v19, v19
	v_nop
	s_delay_alu instid0(TRANS32_DEP_1) | instskip(NEXT) | instid1(VALU_DEP_1)
	v_mul_f32_e32 v19, 0x5f7ffffc, v19
	v_mul_f32_e32 v24, 0x2f800000, v19
	s_delay_alu instid0(VALU_DEP_1) | instskip(NEXT) | instid1(VALU_DEP_1)
	v_trunc_f32_e32 v25, v24
	v_cvt_u32_f32_e32 v37, v25
	v_fmac_f32_e32 v19, 0xcf800000, v25
	s_delay_alu instid0(VALU_DEP_2) | instskip(NEXT) | instid1(VALU_DEP_2)
	v_dual_mov_b32 v25, v28 :: v_dual_mov_b32 v42, v37
	v_cvt_u32_f32_e32 v24, v19
	s_delay_alu instid0(VALU_DEP_1) | instskip(SKIP_1) | instid1(VALU_DEP_1)
	v_mov_b32_e32 v36, v24
	v_sub_nc_u64_e32 v[34:35], 0, v[22:23]
	v_mul_u64_e32 v[38:39], v[34:35], v[36:37]
	s_delay_alu instid0(VALU_DEP_1) | instskip(NEXT) | instid1(VALU_DEP_1)
	v_dual_mov_b32 v40, v39 :: v_dual_mov_b32 v39, v28
	v_mul_u64_e32 v[44:45], v[24:25], v[40:41]
	s_delay_alu instid0(VALU_DEP_2) | instskip(SKIP_2) | instid1(VALU_DEP_1)
	v_mul_u64_e32 v[46:47], v[42:43], v[38:39]
	v_mul_u64_e32 v[40:41], v[42:43], v[40:41]
	v_mul_hi_u32 v38, v24, v38
	v_add_nc_u64_e32 v[38:39], v[38:39], v[44:45]
	v_ashrrev_i32_e32 v44, 31, v21
	s_delay_alu instid0(VALU_DEP_2) | instskip(NEXT) | instid1(VALU_DEP_3)
	v_add_co_u32 v19, vcc_lo, v38, v46
	v_add_co_ci_u32_e32 v42, vcc_lo, v39, v47, vcc_lo
	v_add_co_ci_u32_e32 v41, vcc_lo, 0, v41, vcc_lo
	s_delay_alu instid0(VALU_DEP_1) | instskip(NEXT) | instid1(VALU_DEP_1)
	v_add_nc_u64_e32 v[38:39], v[42:43], v[40:41]
	v_add_co_u32 v24, vcc_lo, v24, v38
	s_delay_alu instid0(VALU_DEP_1) | instskip(SKIP_1) | instid1(VALU_DEP_2)
	v_add_co_ci_u32_e64 v36, null, v37, v39, vcc_lo
	v_dual_mov_b32 v39, v28 :: v_dual_mov_b32 v37, v28
	v_mov_b32_e32 v25, v36
	s_delay_alu instid0(VALU_DEP_1) | instskip(NEXT) | instid1(VALU_DEP_1)
	v_mul_u64_e32 v[34:35], v[34:35], v[24:25]
	v_dual_mov_b32 v25, v28 :: v_dual_mov_b32 v38, v35
	s_delay_alu instid0(VALU_DEP_2) | instskip(SKIP_1) | instid1(VALU_DEP_3)
	v_dual_mov_b32 v42, v34 :: v_dual_mov_b32 v35, v28
	v_mul_hi_u32 v34, v24, v34
	v_mul_u64_e32 v[40:41], v[24:25], v[38:39]
	s_delay_alu instid0(VALU_DEP_3) | instskip(SKIP_1) | instid1(VALU_DEP_3)
	v_mul_u64_e32 v[42:43], v[36:37], v[42:43]
	v_mul_u64_e32 v[38:39], v[36:37], v[38:39]
	v_add_nc_u64_e32 v[34:35], v[34:35], v[40:41]
	v_dual_mov_b32 v41, v28 :: v_dual_mov_b32 v45, v44
	v_xor_b32_e32 v18, v44, v18
	s_delay_alu instid0(VALU_DEP_3) | instskip(NEXT) | instid1(VALU_DEP_4)
	v_add_co_u32 v19, vcc_lo, v34, v42
	v_add_co_ci_u32_e32 v40, vcc_lo, v35, v43, vcc_lo
	v_add_co_ci_u32_e32 v39, vcc_lo, 0, v39, vcc_lo
	s_delay_alu instid0(VALU_DEP_1) | instskip(SKIP_2) | instid1(VALU_DEP_3)
	v_add_nc_u64_e32 v[34:35], v[40:41], v[38:39]
	v_mov_b32_e32 v39, v28
	v_add_nc_u64_e32 v[20:21], v[20:21], v[44:45]
	v_add_co_u32 v34, vcc_lo, v24, v34
	s_delay_alu instid0(VALU_DEP_2) | instskip(SKIP_1) | instid1(VALU_DEP_4)
	v_xor_b32_e32 v38, v20, v44
	v_add_co_ci_u32_e64 v24, null, v36, v35, vcc_lo
	v_dual_mov_b32 v35, v28 :: v_dual_bitop2_b32 v36, v21, v44 bitop3:0x14
	s_delay_alu instid0(VALU_DEP_2) | instskip(NEXT) | instid1(VALU_DEP_2)
	v_mul_u64_e32 v[40:41], v[38:39], v[24:25]
	v_mul_u64_e32 v[20:21], v[36:37], v[34:35]
	;; [unrolled: 1-line block ×3, first 2 shown]
	v_mul_hi_u32 v34, v38, v34
	s_delay_alu instid0(VALU_DEP_1) | instskip(SKIP_1) | instid1(VALU_DEP_2)
	v_add_nc_u64_e32 v[34:35], v[34:35], v[40:41]
	v_mov_b32_e32 v41, v28
	v_add_co_u32 v19, vcc_lo, v34, v20
	s_delay_alu instid0(VALU_DEP_3) | instskip(SKIP_1) | instid1(VALU_DEP_1)
	v_add_co_ci_u32_e32 v40, vcc_lo, v35, v21, vcc_lo
	v_add_co_ci_u32_e32 v25, vcc_lo, 0, v25, vcc_lo
	v_add_nc_u64_e32 v[20:21], v[40:41], v[24:25]
	s_delay_alu instid0(VALU_DEP_1) | instskip(SKIP_1) | instid1(VALU_DEP_2)
	v_mul_u64_e32 v[24:25], v[22:23], v[20:21]
	v_add_nc_u64_e32 v[34:35], 1, v[20:21]
	v_sub_nc_u32_e32 v19, v36, v25
	s_delay_alu instid0(VALU_DEP_3) | instskip(NEXT) | instid1(VALU_DEP_1)
	v_sub_co_u32 v24, vcc_lo, v38, v24
	v_sub_co_ci_u32_e64 v36, null, v36, v25, vcc_lo
	s_delay_alu instid0(VALU_DEP_3) | instskip(NEXT) | instid1(VALU_DEP_3)
	v_sub_co_ci_u32_e64 v19, null, v19, v23, vcc_lo
	v_sub_co_u32 v29, s0, v24, v22
	s_delay_alu instid0(VALU_DEP_1) | instskip(NEXT) | instid1(VALU_DEP_2)
	v_subrev_co_ci_u32_e64 v19, null, 0, v19, s0
	v_cmp_ge_u32_e32 vcc_lo, v29, v22
	v_cndmask_b32_e64 v25, 0, -1, vcc_lo
	s_delay_alu instid0(VALU_DEP_3)
	v_cmp_ge_u32_e32 vcc_lo, v19, v23
	v_cndmask_b32_e64 v29, 0, -1, vcc_lo
	v_cmp_ge_u32_e32 vcc_lo, v24, v22
	v_cndmask_b32_e64 v22, 0, -1, vcc_lo
	;; [unrolled: 2-line block ×3, first 2 shown]
	v_cmp_eq_u32_e32 vcc_lo, v19, v23
	v_cndmask_b32_e32 v19, v29, v25, vcc_lo
	v_cmp_eq_u32_e32 vcc_lo, v36, v23
	v_add_nc_u64_e32 v[24:25], 2, v[20:21]
	v_cndmask_b32_e32 v22, v37, v22, vcc_lo
	s_delay_alu instid0(VALU_DEP_4) | instskip(NEXT) | instid1(VALU_DEP_2)
	v_cmp_ne_u32_e32 vcc_lo, 0, v19
	v_cmp_ne_u32_e64 s0, 0, v22
	s_delay_alu instid0(VALU_DEP_4) | instskip(NEXT) | instid1(VALU_DEP_1)
	v_dual_cndmask_b32 v19, v35, v25 :: v_dual_cndmask_b32 v22, v34, v24
                                        ; implicit-def: $vgpr24_vgpr25
	v_dual_cndmask_b32 v21, v21, v19, s0 :: v_dual_cndmask_b32 v20, v20, v22, s0
	s_delay_alu instid0(VALU_DEP_1) | instskip(NEXT) | instid1(VALU_DEP_2)
	v_dual_mov_b32 v19, v18 :: v_dual_bitop2_b32 v21, v21, v18 bitop3:0x14
	v_xor_b32_e32 v20, v20, v18
	s_delay_alu instid0(VALU_DEP_1)
	v_sub_nc_u64_e32 v[18:19], v[20:21], v[18:19]
                                        ; implicit-def: $vgpr20_vgpr21
.LBB47_45:                              ;   in Loop: Header=BB47_39 Depth=1
	s_and_not1_saveexec_b32 s0, s16
	s_cbranch_execz .LBB47_47
; %bb.46:                               ;   in Loop: Header=BB47_39 Depth=1
	v_cvt_f32_u32_e32 v18, v24
	v_sub_nc_u32_e32 v19, 0, v24
	s_delay_alu instid0(VALU_DEP_2) | instskip(SKIP_1) | instid1(TRANS32_DEP_1)
	v_rcp_iflag_f32_e32 v18, v18
	v_nop
	v_mul_f32_e32 v18, 0x4f7ffffe, v18
	s_delay_alu instid0(VALU_DEP_1) | instskip(NEXT) | instid1(VALU_DEP_1)
	v_cvt_u32_f32_e32 v18, v18
	v_mul_lo_u32 v19, v19, v18
	s_delay_alu instid0(VALU_DEP_1) | instskip(NEXT) | instid1(VALU_DEP_1)
	v_mul_hi_u32 v19, v18, v19
	v_add_nc_u32_e32 v18, v18, v19
	s_delay_alu instid0(VALU_DEP_1) | instskip(NEXT) | instid1(VALU_DEP_1)
	v_mul_hi_u32 v18, v20, v18
	v_mul_lo_u32 v19, v18, v24
	s_delay_alu instid0(VALU_DEP_1) | instskip(NEXT) | instid1(VALU_DEP_1)
	v_dual_sub_nc_u32 v19, v20, v19 :: v_dual_add_nc_u32 v20, 1, v18
	v_sub_nc_u32_e32 v21, v19, v24
	v_cmp_ge_u32_e32 vcc_lo, v19, v24
	s_delay_alu instid0(VALU_DEP_2) | instskip(NEXT) | instid1(VALU_DEP_1)
	v_dual_cndmask_b32 v19, v19, v21 :: v_dual_cndmask_b32 v18, v18, v20
	v_cmp_ge_u32_e32 vcc_lo, v19, v24
	s_delay_alu instid0(VALU_DEP_2) | instskip(NEXT) | instid1(VALU_DEP_1)
	v_dual_mov_b32 v19, v28 :: v_dual_add_nc_u32 v20, 1, v18
	v_cndmask_b32_e32 v18, v18, v20, vcc_lo
.LBB47_47:                              ;   in Loop: Header=BB47_39 Depth=1
	s_or_b32 exec_lo, exec_lo, s0
	s_wait_loadcnt 0x2
	v_or_b32_e32 v29, v11, v15
                                        ; implicit-def: $vgpr20_vgpr21
	s_mov_b32 s0, exec_lo
	s_delay_alu instid0(VALU_DEP_1)
	v_cmpx_ne_u64_e32 0, v[28:29]
	s_xor_b32 s16, exec_lo, s0
	s_cbranch_execz .LBB47_49
; %bb.48:                               ;   in Loop: Header=BB47_39 Depth=1
	v_dual_mov_b32 v25, v28 :: v_dual_ashrrev_i32 v20, 31, v15
	v_dual_mov_b32 v41, v28 :: v_dual_mov_b32 v43, v28
	s_delay_alu instid0(VALU_DEP_2) | instskip(NEXT) | instid1(VALU_DEP_1)
	v_mov_b32_e32 v21, v20
	v_add_nc_u64_e32 v[22:23], v[14:15], v[20:21]
	s_delay_alu instid0(VALU_DEP_1) | instskip(NEXT) | instid1(VALU_DEP_2)
	v_xor_b32_e32 v22, v22, v20
	v_xor_b32_e32 v23, v23, v20
	s_delay_alu instid0(VALU_DEP_2) | instskip(NEXT) | instid1(VALU_DEP_2)
	v_cvt_f32_u32_e32 v15, v22
	v_cvt_f32_u32_e32 v21, v23
	s_delay_alu instid0(VALU_DEP_1) | instskip(NEXT) | instid1(VALU_DEP_1)
	v_fmac_f32_e32 v15, 0x4f800000, v21
	v_rcp_f32_e32 v15, v15
	v_nop
	s_delay_alu instid0(TRANS32_DEP_1) | instskip(NEXT) | instid1(VALU_DEP_1)
	v_mul_f32_e32 v15, 0x5f7ffffc, v15
	v_mul_f32_e32 v21, 0x2f800000, v15
	s_delay_alu instid0(VALU_DEP_1) | instskip(NEXT) | instid1(VALU_DEP_1)
	v_trunc_f32_e32 v21, v21
	v_fmac_f32_e32 v15, 0xcf800000, v21
	v_cvt_u32_f32_e32 v37, v21
	s_delay_alu instid0(VALU_DEP_2) | instskip(NEXT) | instid1(VALU_DEP_1)
	v_cvt_u32_f32_e32 v24, v15
	v_dual_mov_b32 v42, v37 :: v_dual_mov_b32 v36, v24
	v_sub_nc_u64_e32 v[34:35], 0, v[22:23]
	s_delay_alu instid0(VALU_DEP_1) | instskip(NEXT) | instid1(VALU_DEP_1)
	v_mul_u64_e32 v[38:39], v[34:35], v[36:37]
	v_dual_mov_b32 v40, v39 :: v_dual_mov_b32 v39, v28
	s_delay_alu instid0(VALU_DEP_1) | instskip(NEXT) | instid1(VALU_DEP_2)
	v_mul_u64_e32 v[44:45], v[24:25], v[40:41]
	v_mul_u64_e32 v[46:47], v[42:43], v[38:39]
	;; [unrolled: 1-line block ×3, first 2 shown]
	v_mul_hi_u32 v38, v24, v38
	s_delay_alu instid0(VALU_DEP_1) | instskip(SKIP_1) | instid1(VALU_DEP_2)
	v_add_nc_u64_e32 v[38:39], v[38:39], v[44:45]
	v_ashrrev_i32_e32 v44, 31, v11
	v_add_co_u32 v15, vcc_lo, v38, v46
	s_delay_alu instid0(VALU_DEP_3) | instskip(SKIP_1) | instid1(VALU_DEP_1)
	v_add_co_ci_u32_e32 v42, vcc_lo, v39, v47, vcc_lo
	v_add_co_ci_u32_e32 v41, vcc_lo, 0, v41, vcc_lo
	v_add_nc_u64_e32 v[38:39], v[42:43], v[40:41]
	s_delay_alu instid0(VALU_DEP_1) | instskip(NEXT) | instid1(VALU_DEP_1)
	v_add_co_u32 v24, vcc_lo, v24, v38
	v_add_co_ci_u32_e64 v36, null, v37, v39, vcc_lo
	v_dual_mov_b32 v39, v28 :: v_dual_mov_b32 v37, v28
	s_delay_alu instid0(VALU_DEP_2) | instskip(NEXT) | instid1(VALU_DEP_1)
	v_mov_b32_e32 v25, v36
	v_mul_u64_e32 v[34:35], v[34:35], v[24:25]
	s_delay_alu instid0(VALU_DEP_1) | instskip(NEXT) | instid1(VALU_DEP_2)
	v_dual_mov_b32 v25, v28 :: v_dual_mov_b32 v38, v35
	v_dual_mov_b32 v42, v34 :: v_dual_mov_b32 v35, v28
	v_mul_hi_u32 v34, v24, v34
	s_delay_alu instid0(VALU_DEP_3) | instskip(NEXT) | instid1(VALU_DEP_3)
	v_mul_u64_e32 v[40:41], v[24:25], v[38:39]
	v_mul_u64_e32 v[42:43], v[36:37], v[42:43]
	;; [unrolled: 1-line block ×3, first 2 shown]
	s_delay_alu instid0(VALU_DEP_3) | instskip(SKIP_2) | instid1(VALU_DEP_3)
	v_add_nc_u64_e32 v[34:35], v[34:35], v[40:41]
	v_dual_mov_b32 v41, v28 :: v_dual_mov_b32 v45, v44
	v_xor_b32_e32 v20, v44, v20
	v_add_co_u32 v15, vcc_lo, v34, v42
	s_delay_alu instid0(VALU_DEP_4) | instskip(SKIP_2) | instid1(VALU_DEP_2)
	v_add_co_ci_u32_e32 v40, vcc_lo, v35, v43, vcc_lo
	v_add_co_ci_u32_e32 v39, vcc_lo, 0, v39, vcc_lo
	v_add_nc_u64_e32 v[34:35], v[10:11], v[44:45]
	v_add_nc_u64_e32 v[38:39], v[40:41], v[38:39]
	s_delay_alu instid0(VALU_DEP_2) | instskip(NEXT) | instid1(VALU_DEP_2)
	v_xor_b32_e32 v40, v34, v44
	v_add_co_u32 v38, vcc_lo, v24, v38
	s_delay_alu instid0(VALU_DEP_1) | instskip(SKIP_1) | instid1(VALU_DEP_2)
	v_add_co_ci_u32_e64 v24, null, v36, v39, vcc_lo
	v_dual_mov_b32 v39, v28 :: v_dual_bitop2_b32 v36, v35, v44 bitop3:0x14
	v_mul_u64_e32 v[42:43], v[40:41], v[24:25]
	s_delay_alu instid0(VALU_DEP_2) | instskip(SKIP_2) | instid1(VALU_DEP_1)
	v_mul_u64_e32 v[34:35], v[36:37], v[38:39]
	v_mul_u64_e32 v[24:25], v[36:37], v[24:25]
	v_mul_hi_u32 v38, v40, v38
	v_add_nc_u64_e32 v[38:39], v[38:39], v[42:43]
	v_mov_b32_e32 v43, v28
	s_delay_alu instid0(VALU_DEP_2) | instskip(NEXT) | instid1(VALU_DEP_3)
	v_add_co_u32 v11, vcc_lo, v38, v34
	v_add_co_ci_u32_e32 v42, vcc_lo, v39, v35, vcc_lo
	v_add_co_ci_u32_e32 v25, vcc_lo, 0, v25, vcc_lo
	s_delay_alu instid0(VALU_DEP_1) | instskip(NEXT) | instid1(VALU_DEP_1)
	v_add_nc_u64_e32 v[24:25], v[42:43], v[24:25]
	v_mul_u64_e32 v[34:35], v[22:23], v[24:25]
	s_delay_alu instid0(VALU_DEP_1) | instskip(NEXT) | instid1(VALU_DEP_2)
	v_sub_nc_u32_e32 v11, v36, v35
	v_sub_co_u32 v15, vcc_lo, v40, v34
	s_delay_alu instid0(VALU_DEP_1) | instskip(NEXT) | instid1(VALU_DEP_3)
	v_sub_co_ci_u32_e64 v29, null, v36, v35, vcc_lo
	v_sub_co_ci_u32_e64 v11, null, v11, v23, vcc_lo
	s_delay_alu instid0(VALU_DEP_3) | instskip(SKIP_1) | instid1(VALU_DEP_3)
	v_sub_co_u32 v21, s0, v15, v22
	v_add_nc_u64_e32 v[36:37], 1, v[24:25]
	v_subrev_co_ci_u32_e64 v11, null, 0, v11, s0
	s_delay_alu instid0(VALU_DEP_3) | instskip(SKIP_1) | instid1(VALU_DEP_3)
	v_cmp_ge_u32_e32 vcc_lo, v21, v22
	v_cndmask_b32_e64 v21, 0, -1, vcc_lo
	v_cmp_ge_u32_e32 vcc_lo, v11, v23
	v_cndmask_b32_e64 v34, 0, -1, vcc_lo
	;; [unrolled: 2-line block ×4, first 2 shown]
	v_cmp_eq_u32_e32 vcc_lo, v11, v23
	v_cndmask_b32_e32 v11, v34, v21, vcc_lo
	v_cmp_eq_u32_e32 vcc_lo, v29, v23
	v_add_nc_u64_e32 v[34:35], 2, v[24:25]
	v_dual_mov_b32 v21, v20 :: v_dual_cndmask_b32 v15, v22, v15, vcc_lo
	s_delay_alu instid0(VALU_DEP_4) | instskip(NEXT) | instid1(VALU_DEP_2)
	v_cmp_ne_u32_e32 vcc_lo, 0, v11
	v_cmp_ne_u32_e64 s0, 0, v15
	s_delay_alu instid0(VALU_DEP_4) | instskip(NEXT) | instid1(VALU_DEP_1)
	v_dual_cndmask_b32 v11, v37, v35, vcc_lo :: v_dual_cndmask_b32 v15, v36, v34, vcc_lo
	v_cndmask_b32_e64 v15, v24, v15, s0
	s_delay_alu instid0(VALU_DEP_1) | instskip(NEXT) | instid1(VALU_DEP_1)
	v_dual_cndmask_b32 v11, v25, v11, s0 :: v_dual_bitop2_b32 v22, v15, v20 bitop3:0x14
	v_xor_b32_e32 v23, v11, v20
	s_delay_alu instid0(VALU_DEP_1)
	v_sub_nc_u64_e32 v[20:21], v[22:23], v[20:21]
.LBB47_49:                              ;   in Loop: Header=BB47_39 Depth=1
	s_and_not1_saveexec_b32 s0, s16
	s_cbranch_execz .LBB47_51
; %bb.50:                               ;   in Loop: Header=BB47_39 Depth=1
	v_cvt_f32_u32_e32 v11, v14
	v_dual_sub_nc_u32 v15, 0, v14 :: v_dual_mov_b32 v21, v28
	s_delay_alu instid0(VALU_DEP_2) | instskip(SKIP_1) | instid1(TRANS32_DEP_1)
	v_rcp_iflag_f32_e32 v11, v11
	v_nop
	v_mul_f32_e32 v11, 0x4f7ffffe, v11
	s_delay_alu instid0(VALU_DEP_1) | instskip(NEXT) | instid1(VALU_DEP_1)
	v_cvt_u32_f32_e32 v11, v11
	v_mul_lo_u32 v15, v15, v11
	s_delay_alu instid0(VALU_DEP_1) | instskip(NEXT) | instid1(VALU_DEP_1)
	v_mul_hi_u32 v15, v11, v15
	v_add_nc_u32_e32 v11, v11, v15
	s_delay_alu instid0(VALU_DEP_1) | instskip(NEXT) | instid1(VALU_DEP_1)
	v_mul_hi_u32 v11, v10, v11
	v_mul_lo_u32 v15, v11, v14
	s_delay_alu instid0(VALU_DEP_1) | instskip(NEXT) | instid1(VALU_DEP_1)
	v_sub_nc_u32_e32 v10, v10, v15
	v_dual_add_nc_u32 v15, 1, v11 :: v_dual_sub_nc_u32 v20, v10, v14
	v_cmp_ge_u32_e32 vcc_lo, v10, v14
	s_delay_alu instid0(VALU_DEP_2) | instskip(NEXT) | instid1(VALU_DEP_1)
	v_dual_cndmask_b32 v10, v10, v20 :: v_dual_cndmask_b32 v11, v11, v15
	v_cmp_ge_u32_e32 vcc_lo, v10, v14
	s_delay_alu instid0(VALU_DEP_2) | instskip(NEXT) | instid1(VALU_DEP_1)
	v_add_nc_u32_e32 v15, 1, v11
	v_cndmask_b32_e32 v20, v11, v15, vcc_lo
.LBB47_51:                              ;   in Loop: Header=BB47_39 Depth=1
	s_or_b32 exec_lo, exec_lo, s0
	v_or_b32_e32 v29, v13, v17
                                        ; implicit-def: $vgpr10_vgpr11
	s_mov_b32 s0, exec_lo
	s_delay_alu instid0(VALU_DEP_1)
	v_cmpx_ne_u64_e32 0, v[28:29]
	s_xor_b32 s16, exec_lo, s0
	s_cbranch_execz .LBB47_53
; %bb.52:                               ;   in Loop: Header=BB47_39 Depth=1
	v_dual_mov_b32 v37, v28 :: v_dual_ashrrev_i32 v10, 31, v17
	s_delay_alu instid0(VALU_DEP_1) | instskip(NEXT) | instid1(VALU_DEP_1)
	v_dual_mov_b32 v39, v28 :: v_dual_mov_b32 v11, v10
	v_add_nc_u64_e32 v[14:15], v[16:17], v[10:11]
	s_delay_alu instid0(VALU_DEP_1) | instskip(NEXT) | instid1(VALU_DEP_2)
	v_xor_b32_e32 v14, v14, v10
	v_xor_b32_e32 v15, v15, v10
	s_delay_alu instid0(VALU_DEP_2) | instskip(NEXT) | instid1(VALU_DEP_2)
	v_cvt_f32_u32_e32 v11, v14
	v_cvt_f32_u32_e32 v16, v15
	s_delay_alu instid0(VALU_DEP_1) | instskip(NEXT) | instid1(VALU_DEP_1)
	v_fmac_f32_e32 v11, 0x4f800000, v16
	v_rcp_f32_e32 v11, v11
	v_nop
	s_delay_alu instid0(TRANS32_DEP_1) | instskip(NEXT) | instid1(VALU_DEP_1)
	v_mul_f32_e32 v11, 0x5f7ffffc, v11
	v_mul_f32_e32 v16, 0x2f800000, v11
	s_delay_alu instid0(VALU_DEP_1) | instskip(NEXT) | instid1(VALU_DEP_1)
	v_trunc_f32_e32 v17, v16
	v_cvt_u32_f32_e32 v25, v17
	v_fmac_f32_e32 v11, 0xcf800000, v17
	s_delay_alu instid0(VALU_DEP_2) | instskip(NEXT) | instid1(VALU_DEP_2)
	v_dual_mov_b32 v17, v28 :: v_dual_mov_b32 v38, v25
	v_cvt_u32_f32_e32 v16, v11
	s_delay_alu instid0(VALU_DEP_1) | instskip(SKIP_1) | instid1(VALU_DEP_1)
	v_mov_b32_e32 v24, v16
	v_sub_nc_u64_e32 v[22:23], 0, v[14:15]
	v_mul_u64_e32 v[34:35], v[22:23], v[24:25]
	s_delay_alu instid0(VALU_DEP_1) | instskip(NEXT) | instid1(VALU_DEP_1)
	v_dual_mov_b32 v36, v35 :: v_dual_mov_b32 v35, v28
	v_mul_u64_e32 v[40:41], v[16:17], v[36:37]
	s_delay_alu instid0(VALU_DEP_2) | instskip(SKIP_2) | instid1(VALU_DEP_1)
	v_mul_u64_e32 v[42:43], v[38:39], v[34:35]
	v_mul_u64_e32 v[36:37], v[38:39], v[36:37]
	v_mul_hi_u32 v34, v16, v34
	v_add_nc_u64_e32 v[34:35], v[34:35], v[40:41]
	v_ashrrev_i32_e32 v40, 31, v13
	s_delay_alu instid0(VALU_DEP_2) | instskip(NEXT) | instid1(VALU_DEP_3)
	v_add_co_u32 v11, vcc_lo, v34, v42
	v_add_co_ci_u32_e32 v38, vcc_lo, v35, v43, vcc_lo
	v_add_co_ci_u32_e32 v37, vcc_lo, 0, v37, vcc_lo
	s_delay_alu instid0(VALU_DEP_1) | instskip(NEXT) | instid1(VALU_DEP_1)
	v_add_nc_u64_e32 v[34:35], v[38:39], v[36:37]
	v_add_co_u32 v16, vcc_lo, v16, v34
	s_delay_alu instid0(VALU_DEP_1) | instskip(SKIP_1) | instid1(VALU_DEP_2)
	v_add_co_ci_u32_e64 v24, null, v25, v35, vcc_lo
	v_dual_mov_b32 v35, v28 :: v_dual_mov_b32 v25, v28
	v_mov_b32_e32 v17, v24
	s_delay_alu instid0(VALU_DEP_1) | instskip(NEXT) | instid1(VALU_DEP_1)
	v_mul_u64_e32 v[22:23], v[22:23], v[16:17]
	v_dual_mov_b32 v17, v28 :: v_dual_mov_b32 v34, v23
	s_delay_alu instid0(VALU_DEP_2) | instskip(SKIP_1) | instid1(VALU_DEP_3)
	v_dual_mov_b32 v38, v22 :: v_dual_mov_b32 v23, v28
	v_mul_hi_u32 v22, v16, v22
	v_mul_u64_e32 v[36:37], v[16:17], v[34:35]
	s_delay_alu instid0(VALU_DEP_3) | instskip(SKIP_1) | instid1(VALU_DEP_3)
	v_mul_u64_e32 v[38:39], v[24:25], v[38:39]
	v_mul_u64_e32 v[34:35], v[24:25], v[34:35]
	v_add_nc_u64_e32 v[22:23], v[22:23], v[36:37]
	v_dual_mov_b32 v37, v28 :: v_dual_mov_b32 v41, v40
	v_xor_b32_e32 v10, v40, v10
	s_delay_alu instid0(VALU_DEP_3) | instskip(NEXT) | instid1(VALU_DEP_4)
	v_add_co_u32 v11, vcc_lo, v22, v38
	v_add_co_ci_u32_e32 v36, vcc_lo, v23, v39, vcc_lo
	v_add_co_ci_u32_e32 v35, vcc_lo, 0, v35, vcc_lo
	s_delay_alu instid0(VALU_DEP_1) | instskip(SKIP_2) | instid1(VALU_DEP_3)
	v_add_nc_u64_e32 v[22:23], v[36:37], v[34:35]
	v_mov_b32_e32 v35, v28
	v_add_nc_u64_e32 v[12:13], v[12:13], v[40:41]
	v_add_co_u32 v22, vcc_lo, v16, v22
	s_delay_alu instid0(VALU_DEP_2) | instskip(SKIP_1) | instid1(VALU_DEP_4)
	v_xor_b32_e32 v34, v12, v40
	v_add_co_ci_u32_e64 v16, null, v24, v23, vcc_lo
	v_dual_mov_b32 v23, v28 :: v_dual_bitop2_b32 v24, v13, v40 bitop3:0x14
	s_delay_alu instid0(VALU_DEP_2) | instskip(NEXT) | instid1(VALU_DEP_2)
	v_mul_u64_e32 v[36:37], v[34:35], v[16:17]
	v_mul_u64_e32 v[12:13], v[24:25], v[22:23]
	;; [unrolled: 1-line block ×3, first 2 shown]
	v_mul_hi_u32 v22, v34, v22
	s_delay_alu instid0(VALU_DEP_1) | instskip(SKIP_1) | instid1(VALU_DEP_2)
	v_add_nc_u64_e32 v[22:23], v[22:23], v[36:37]
	v_mov_b32_e32 v37, v28
	v_add_co_u32 v11, vcc_lo, v22, v12
	s_delay_alu instid0(VALU_DEP_3) | instskip(SKIP_1) | instid1(VALU_DEP_1)
	v_add_co_ci_u32_e32 v36, vcc_lo, v23, v13, vcc_lo
	v_add_co_ci_u32_e32 v17, vcc_lo, 0, v17, vcc_lo
	v_add_nc_u64_e32 v[12:13], v[36:37], v[16:17]
	s_delay_alu instid0(VALU_DEP_1) | instskip(NEXT) | instid1(VALU_DEP_1)
	v_mul_u64_e32 v[16:17], v[14:15], v[12:13]
	v_sub_nc_u32_e32 v11, v24, v17
	s_delay_alu instid0(VALU_DEP_2) | instskip(NEXT) | instid1(VALU_DEP_1)
	v_sub_co_u32 v16, vcc_lo, v34, v16
	v_sub_co_ci_u32_e64 v24, null, v24, v17, vcc_lo
	s_delay_alu instid0(VALU_DEP_3) | instskip(NEXT) | instid1(VALU_DEP_3)
	v_sub_co_ci_u32_e64 v11, null, v11, v15, vcc_lo
	v_sub_co_u32 v22, s0, v16, v14
	s_delay_alu instid0(VALU_DEP_1) | instskip(NEXT) | instid1(VALU_DEP_2)
	v_subrev_co_ci_u32_e64 v11, null, 0, v11, s0
	v_cmp_ge_u32_e32 vcc_lo, v22, v14
	v_cndmask_b32_e64 v17, 0, -1, vcc_lo
	s_delay_alu instid0(VALU_DEP_3)
	v_cmp_ge_u32_e32 vcc_lo, v11, v15
	v_cndmask_b32_e64 v22, 0, -1, vcc_lo
	v_cmp_ge_u32_e32 vcc_lo, v16, v14
	v_cndmask_b32_e64 v14, 0, -1, vcc_lo
	;; [unrolled: 2-line block ×3, first 2 shown]
	v_cmp_eq_u32_e32 vcc_lo, v11, v15
	v_cndmask_b32_e32 v11, v22, v17, vcc_lo
	v_cmp_eq_u32_e32 vcc_lo, v24, v15
	v_add_nc_u64_e32 v[16:17], 2, v[12:13]
	v_add_nc_u64_e32 v[22:23], 1, v[12:13]
	v_cndmask_b32_e32 v14, v25, v14, vcc_lo
	v_cmp_ne_u32_e32 vcc_lo, 0, v11
	s_delay_alu instid0(VALU_DEP_2) | instskip(NEXT) | instid1(VALU_DEP_4)
	v_cmp_ne_u32_e64 s0, 0, v14
	v_dual_cndmask_b32 v11, v23, v17 :: v_dual_cndmask_b32 v14, v22, v16
                                        ; implicit-def: $vgpr16_vgpr17
	s_delay_alu instid0(VALU_DEP_1) | instskip(NEXT) | instid1(VALU_DEP_1)
	v_dual_cndmask_b32 v13, v13, v11, s0 :: v_dual_cndmask_b32 v12, v12, v14, s0
	v_dual_mov_b32 v11, v10 :: v_dual_bitop2_b32 v13, v13, v10 bitop3:0x14
	s_delay_alu instid0(VALU_DEP_2) | instskip(NEXT) | instid1(VALU_DEP_1)
	v_xor_b32_e32 v12, v12, v10
	v_sub_nc_u64_e32 v[10:11], v[12:13], v[10:11]
                                        ; implicit-def: $vgpr12_vgpr13
.LBB47_53:                              ;   in Loop: Header=BB47_39 Depth=1
	s_and_not1_saveexec_b32 s0, s16
	s_cbranch_execz .LBB47_38
; %bb.54:                               ;   in Loop: Header=BB47_39 Depth=1
	v_cvt_f32_u32_e32 v10, v16
	v_sub_nc_u32_e32 v11, 0, v16
	s_delay_alu instid0(VALU_DEP_2) | instskip(SKIP_1) | instid1(TRANS32_DEP_1)
	v_rcp_iflag_f32_e32 v10, v10
	v_nop
	v_mul_f32_e32 v10, 0x4f7ffffe, v10
	s_delay_alu instid0(VALU_DEP_1) | instskip(NEXT) | instid1(VALU_DEP_1)
	v_cvt_u32_f32_e32 v10, v10
	v_mul_lo_u32 v11, v11, v10
	s_delay_alu instid0(VALU_DEP_1) | instskip(NEXT) | instid1(VALU_DEP_1)
	v_mul_hi_u32 v11, v10, v11
	v_add_nc_u32_e32 v10, v10, v11
	s_delay_alu instid0(VALU_DEP_1) | instskip(NEXT) | instid1(VALU_DEP_1)
	v_mul_hi_u32 v10, v12, v10
	v_mul_lo_u32 v11, v10, v16
	s_delay_alu instid0(VALU_DEP_1) | instskip(NEXT) | instid1(VALU_DEP_1)
	v_dual_sub_nc_u32 v11, v12, v11 :: v_dual_add_nc_u32 v12, 1, v10
	v_sub_nc_u32_e32 v13, v11, v16
	v_cmp_ge_u32_e32 vcc_lo, v11, v16
	s_delay_alu instid0(VALU_DEP_2) | instskip(NEXT) | instid1(VALU_DEP_1)
	v_dual_cndmask_b32 v11, v11, v13 :: v_dual_cndmask_b32 v10, v10, v12
	v_cmp_ge_u32_e32 vcc_lo, v11, v16
	s_delay_alu instid0(VALU_DEP_2) | instskip(NEXT) | instid1(VALU_DEP_1)
	v_dual_mov_b32 v11, v28 :: v_dual_add_nc_u32 v12, 1, v10
	v_cndmask_b32_e32 v10, v10, v12, vcc_lo
	s_branch .LBB47_38
.LBB47_55:
	s_sendmsg sendmsg(MSG_DEALLOC_VGPRS)
	s_endpgm
	.section	.rodata,"a",@progbits
	.p2align	6, 0x0
	.amdhsa_kernel _ZN2at6native12_GLOBAL__N_125multi_tensor_apply_kernelINS1_18TensorListMetadataILi4EEENS1_24PointwiseOpScalarFunctorIlLi4ELi3ELi3EEEJSt7dividesIlElEEEvT_T0_DpT1_
		.amdhsa_group_segment_fixed_size 0
		.amdhsa_private_segment_fixed_size 0
		.amdhsa_kernarg_size 3320
		.amdhsa_user_sgpr_count 2
		.amdhsa_user_sgpr_dispatch_ptr 0
		.amdhsa_user_sgpr_queue_ptr 0
		.amdhsa_user_sgpr_kernarg_segment_ptr 1
		.amdhsa_user_sgpr_dispatch_id 0
		.amdhsa_user_sgpr_kernarg_preload_length 0
		.amdhsa_user_sgpr_kernarg_preload_offset 0
		.amdhsa_user_sgpr_private_segment_size 0
		.amdhsa_wavefront_size32 1
		.amdhsa_uses_dynamic_stack 0
		.amdhsa_enable_private_segment 0
		.amdhsa_system_sgpr_workgroup_id_x 1
		.amdhsa_system_sgpr_workgroup_id_y 0
		.amdhsa_system_sgpr_workgroup_id_z 0
		.amdhsa_system_sgpr_workgroup_info 0
		.amdhsa_system_vgpr_workitem_id 0
		.amdhsa_next_free_vgpr 88
		.amdhsa_next_free_sgpr 36
		.amdhsa_named_barrier_count 0
		.amdhsa_reserve_vcc 1
		.amdhsa_float_round_mode_32 0
		.amdhsa_float_round_mode_16_64 0
		.amdhsa_float_denorm_mode_32 3
		.amdhsa_float_denorm_mode_16_64 3
		.amdhsa_fp16_overflow 0
		.amdhsa_memory_ordered 1
		.amdhsa_forward_progress 1
		.amdhsa_inst_pref_size 66
		.amdhsa_round_robin_scheduling 0
		.amdhsa_exception_fp_ieee_invalid_op 0
		.amdhsa_exception_fp_denorm_src 0
		.amdhsa_exception_fp_ieee_div_zero 0
		.amdhsa_exception_fp_ieee_overflow 0
		.amdhsa_exception_fp_ieee_underflow 0
		.amdhsa_exception_fp_ieee_inexact 0
		.amdhsa_exception_int_div_zero 0
	.end_amdhsa_kernel
	.section	.text._ZN2at6native12_GLOBAL__N_125multi_tensor_apply_kernelINS1_18TensorListMetadataILi4EEENS1_24PointwiseOpScalarFunctorIlLi4ELi3ELi3EEEJSt7dividesIlElEEEvT_T0_DpT1_,"axG",@progbits,_ZN2at6native12_GLOBAL__N_125multi_tensor_apply_kernelINS1_18TensorListMetadataILi4EEENS1_24PointwiseOpScalarFunctorIlLi4ELi3ELi3EEEJSt7dividesIlElEEEvT_T0_DpT1_,comdat
.Lfunc_end47:
	.size	_ZN2at6native12_GLOBAL__N_125multi_tensor_apply_kernelINS1_18TensorListMetadataILi4EEENS1_24PointwiseOpScalarFunctorIlLi4ELi3ELi3EEEJSt7dividesIlElEEEvT_T0_DpT1_, .Lfunc_end47-_ZN2at6native12_GLOBAL__N_125multi_tensor_apply_kernelINS1_18TensorListMetadataILi4EEENS1_24PointwiseOpScalarFunctorIlLi4ELi3ELi3EEEJSt7dividesIlElEEEvT_T0_DpT1_
                                        ; -- End function
	.set _ZN2at6native12_GLOBAL__N_125multi_tensor_apply_kernelINS1_18TensorListMetadataILi4EEENS1_24PointwiseOpScalarFunctorIlLi4ELi3ELi3EEEJSt7dividesIlElEEEvT_T0_DpT1_.num_vgpr, 88
	.set _ZN2at6native12_GLOBAL__N_125multi_tensor_apply_kernelINS1_18TensorListMetadataILi4EEENS1_24PointwiseOpScalarFunctorIlLi4ELi3ELi3EEEJSt7dividesIlElEEEvT_T0_DpT1_.num_agpr, 0
	.set _ZN2at6native12_GLOBAL__N_125multi_tensor_apply_kernelINS1_18TensorListMetadataILi4EEENS1_24PointwiseOpScalarFunctorIlLi4ELi3ELi3EEEJSt7dividesIlElEEEvT_T0_DpT1_.numbered_sgpr, 36
	.set _ZN2at6native12_GLOBAL__N_125multi_tensor_apply_kernelINS1_18TensorListMetadataILi4EEENS1_24PointwiseOpScalarFunctorIlLi4ELi3ELi3EEEJSt7dividesIlElEEEvT_T0_DpT1_.num_named_barrier, 0
	.set _ZN2at6native12_GLOBAL__N_125multi_tensor_apply_kernelINS1_18TensorListMetadataILi4EEENS1_24PointwiseOpScalarFunctorIlLi4ELi3ELi3EEEJSt7dividesIlElEEEvT_T0_DpT1_.private_seg_size, 0
	.set _ZN2at6native12_GLOBAL__N_125multi_tensor_apply_kernelINS1_18TensorListMetadataILi4EEENS1_24PointwiseOpScalarFunctorIlLi4ELi3ELi3EEEJSt7dividesIlElEEEvT_T0_DpT1_.uses_vcc, 1
	.set _ZN2at6native12_GLOBAL__N_125multi_tensor_apply_kernelINS1_18TensorListMetadataILi4EEENS1_24PointwiseOpScalarFunctorIlLi4ELi3ELi3EEEJSt7dividesIlElEEEvT_T0_DpT1_.uses_flat_scratch, 0
	.set _ZN2at6native12_GLOBAL__N_125multi_tensor_apply_kernelINS1_18TensorListMetadataILi4EEENS1_24PointwiseOpScalarFunctorIlLi4ELi3ELi3EEEJSt7dividesIlElEEEvT_T0_DpT1_.has_dyn_sized_stack, 0
	.set _ZN2at6native12_GLOBAL__N_125multi_tensor_apply_kernelINS1_18TensorListMetadataILi4EEENS1_24PointwiseOpScalarFunctorIlLi4ELi3ELi3EEEJSt7dividesIlElEEEvT_T0_DpT1_.has_recursion, 0
	.set _ZN2at6native12_GLOBAL__N_125multi_tensor_apply_kernelINS1_18TensorListMetadataILi4EEENS1_24PointwiseOpScalarFunctorIlLi4ELi3ELi3EEEJSt7dividesIlElEEEvT_T0_DpT1_.has_indirect_call, 0
	.section	.AMDGPU.csdata,"",@progbits
; Kernel info:
; codeLenInByte = 8332
; TotalNumSgprs: 38
; NumVgprs: 88
; ScratchSize: 0
; MemoryBound: 1
; FloatMode: 240
; IeeeMode: 1
; LDSByteSize: 0 bytes/workgroup (compile time only)
; SGPRBlocks: 0
; VGPRBlocks: 5
; NumSGPRsForWavesPerEU: 38
; NumVGPRsForWavesPerEU: 88
; NamedBarCnt: 0
; Occupancy: 10
; WaveLimiterHint : 0
; COMPUTE_PGM_RSRC2:SCRATCH_EN: 0
; COMPUTE_PGM_RSRC2:USER_SGPR: 2
; COMPUTE_PGM_RSRC2:TRAP_HANDLER: 0
; COMPUTE_PGM_RSRC2:TGID_X_EN: 1
; COMPUTE_PGM_RSRC2:TGID_Y_EN: 0
; COMPUTE_PGM_RSRC2:TGID_Z_EN: 0
; COMPUTE_PGM_RSRC2:TIDIG_COMP_CNT: 0
	.section	.text._ZN2at6native12_GLOBAL__N_125multi_tensor_apply_kernelINS1_18TensorListMetadataILi4EEENS1_24PointwiseOpScalarFunctorIsLi4ELi3ELi3EEEJSt7dividesIsEsEEEvT_T0_DpT1_,"axG",@progbits,_ZN2at6native12_GLOBAL__N_125multi_tensor_apply_kernelINS1_18TensorListMetadataILi4EEENS1_24PointwiseOpScalarFunctorIsLi4ELi3ELi3EEEJSt7dividesIsEsEEEvT_T0_DpT1_,comdat
	.globl	_ZN2at6native12_GLOBAL__N_125multi_tensor_apply_kernelINS1_18TensorListMetadataILi4EEENS1_24PointwiseOpScalarFunctorIsLi4ELi3ELi3EEEJSt7dividesIsEsEEEvT_T0_DpT1_ ; -- Begin function _ZN2at6native12_GLOBAL__N_125multi_tensor_apply_kernelINS1_18TensorListMetadataILi4EEENS1_24PointwiseOpScalarFunctorIsLi4ELi3ELi3EEEJSt7dividesIsEsEEEvT_T0_DpT1_
	.p2align	8
	.type	_ZN2at6native12_GLOBAL__N_125multi_tensor_apply_kernelINS1_18TensorListMetadataILi4EEENS1_24PointwiseOpScalarFunctorIsLi4ELi3ELi3EEEJSt7dividesIsEsEEEvT_T0_DpT1_,@function
_ZN2at6native12_GLOBAL__N_125multi_tensor_apply_kernelINS1_18TensorListMetadataILi4EEENS1_24PointwiseOpScalarFunctorIsLi4ELi3ELi3EEEJSt7dividesIsEsEEEvT_T0_DpT1_: ; @_ZN2at6native12_GLOBAL__N_125multi_tensor_apply_kernelINS1_18TensorListMetadataILi4EEENS1_24PointwiseOpScalarFunctorIsLi4ELi3ELi3EEEJSt7dividesIsEsEEEvT_T0_DpT1_
; %bb.0:
	s_load_b32 s2, s[0:1], 0xbe8
	s_bfe_u32 s3, ttmp6, 0x4000c
	s_and_b32 s4, ttmp6, 15
	s_add_co_i32 s3, s3, 1
	s_getreg_b32 s5, hwreg(HW_REG_IB_STS2, 6, 4)
	s_mul_i32 s3, ttmp9, s3
	s_delay_alu instid0(SALU_CYCLE_1)
	s_add_co_i32 s4, s4, s3
	s_mov_b32 s3, 0
	s_wait_kmcnt 0x0
	s_lshr_b32 s24, s2, 16
	s_cmp_eq_u32 s5, 0
	s_cselect_b32 s2, ttmp9, s4
	s_load_u8 s14, s[0:1], s2 offset:0x5a0
	s_add_nc_u64 s[4:5], s[0:1], s[2:3]
	s_mul_u64 s[6:7], s[2:3], 3
	s_delay_alu instid0(SALU_CYCLE_1)
	s_add_nc_u64 s[4:5], s[4:5], s[6:7]
	s_load_b32 s16, s[4:5], 0x6e0
	s_wait_kmcnt 0x0
	s_clause 0x4
	s_load_b64 s[6:7], s[0:1], s14 offset:0x120 scale_offset
	s_load_b64 s[8:9], s[0:1], s14 offset:0x0 scale_offset
	;; [unrolled: 1-line block ×5, first 2 shown]
	s_ashr_i32 s17, s16, 31
	s_wait_xcnt 0x0
	s_lshl_b64 s[14:15], s[16:17], 17
	s_wait_kmcnt 0x0
	s_add_nc_u64 s[4:5], s[6:7], s[14:15]
	s_add_nc_u64 s[20:21], s[10:11], s[14:15]
	s_and_b32 s2, s4, 7
	s_and_b64 s[4:5], s[8:9], 7
	s_cmp_eq_u64 s[2:3], 0
	s_cselect_b32 s21, -1, 0
	s_or_b32 s2, s12, s20
	s_delay_alu instid0(SALU_CYCLE_1) | instskip(NEXT) | instid1(SALU_CYCLE_1)
	s_and_b32 s2, s2, 7
	s_cmp_eq_u32 s2, 0
	s_cselect_b32 s20, -1, 0
	s_and_b32 s2, s18, 3
	s_and_b32 s20, s20, s21
	s_or_b64 s[2:3], s[4:5], s[2:3]
	s_lshl_b64 s[4:5], s[16:17], 16
	s_cmp_eq_u64 s[2:3], 0
	s_sub_nc_u64 s[16:17], s[18:19], s[4:5]
	s_cselect_b32 s2, -1, 0
	s_delay_alu instid0(SALU_CYCLE_1) | instskip(NEXT) | instid1(SALU_CYCLE_1)
	s_and_b32 s2, s20, s2
	s_and_b32 vcc_lo, exec_lo, s2
	s_mov_b32 s2, -1
	s_cbranch_vccnz .LBB48_45
; %bb.1:
	v_cmp_lt_i64_e64 s2, s[16:17], 1
	s_and_b32 vcc_lo, exec_lo, s2
	s_cbranch_vccnz .LBB48_44
; %bb.2:
	s_load_b32 s2, s[0:1], 0xbfc
	v_min_i64 v[2:3], 0x10000, s[16:17]
	v_min_u64 v[4:5], 0x10000, s[16:17]
	v_dual_mov_b32 v1, 0 :: v_dual_lshlrev_b32 v16, 1, v0
	s_mov_b32 s21, 0
	s_and_b32 s4, 0xffff, s24
	s_mov_b32 s19, s21
	s_delay_alu instid0(VALU_DEP_1) | instskip(SKIP_3) | instid1(VALU_DEP_1)
	v_dual_mov_b32 v17, v1 :: v_dual_mov_b32 v43, v1
	s_mov_b32 s3, s21
	s_mov_b32 s5, s21
	s_mov_b64 s[22:23], 0
	v_add_nc_u64_e32 v[6:7], s[8:9], v[16:17]
	v_add_nc_u64_e32 v[8:9], s[6:7], v[16:17]
	;; [unrolled: 1-line block ×4, first 2 shown]
	s_wait_kmcnt 0x0
	s_and_b32 s20, s2, 0xffff
	s_delay_alu instid0(SALU_CYCLE_1)
	s_lshl_b32 s2, s20, 1
	v_add_nc_u64_e32 v[12:13], s[20:21], v[0:1]
	v_mad_nc_u64_u32 v[24:25], s20, 6, v[16:17]
	s_cmp_lg_u32 s4, 1
	s_mul_i32 s4, s20, 3
	s_cselect_b32 s25, -1, 0
	s_lshl_b32 s18, s20, 2
	v_add_nc_u64_e32 v[34:35], s[2:3], v[0:1]
	v_add_nc_u64_e32 v[32:33], s[18:19], v[16:17]
	v_lshlrev_b32_e32 v42, 1, v12
	v_add_nc_u64_e32 v[16:17], s[4:5], v[0:1]
	s_lshl_b32 s20, s20, 3
	v_add_nc_u64_e32 v[18:19], s[8:9], v[24:25]
	v_add_nc_u64_e32 v[20:21], s[6:7], v[24:25]
	;; [unrolled: 1-line block ×12, first 2 shown]
	s_branch .LBB48_4
.LBB48_3:                               ;   in Loop: Header=BB48_4 Depth=1
	s_wait_xcnt 0x0
	s_or_b32 exec_lo, exec_lo, s2
	s_add_nc_u64 s[22:23], s[22:23], s[18:19]
	v_add_nc_u64_e32 v[6:7], s[20:21], v[6:7]
	v_cmp_ge_i64_e32 vcc_lo, s[22:23], v[2:3]
	v_add_nc_u64_e32 v[8:9], s[20:21], v[8:9]
	v_add_nc_u64_e32 v[10:11], s[20:21], v[10:11]
	;; [unrolled: 1-line block ×15, first 2 shown]
	s_cbranch_vccnz .LBB48_44
.LBB48_4:                               ; =>This Inner Loop Header: Depth=1
	v_add_nc_u64_e32 v[44:45], s[22:23], v[0:1]
	v_dual_mov_b32 v52, 0 :: v_dual_mov_b32 v55, 0
	v_mov_b32_e32 v47, 0
	s_delay_alu instid0(VALU_DEP_3)
	v_cmp_lt_u64_e64 s2, v[44:45], v[4:5]
	s_and_saveexec_b32 s3, s2
	s_cbranch_execz .LBB48_6
; %bb.5:                                ;   in Loop: Header=BB48_4 Depth=1
	v_add_nc_u64_e32 v[44:45], s[14:15], v[6:7]
	v_add_nc_u64_e32 v[48:49], s[14:15], v[8:9]
	global_load_u16 v47, v[44:45], off
	global_load_i16 v55, v[48:49], off
.LBB48_6:                               ;   in Loop: Header=BB48_4 Depth=1
	s_wait_xcnt 0x0
	s_or_b32 exec_lo, exec_lo, s3
	s_and_saveexec_b32 s3, s2
	s_cbranch_execz .LBB48_8
; %bb.7:                                ;   in Loop: Header=BB48_4 Depth=1
	v_add_nc_u64_e32 v[44:45], s[14:15], v[10:11]
	global_load_i16 v52, v[44:45], off
.LBB48_8:                               ;   in Loop: Header=BB48_4 Depth=1
	s_wait_xcnt 0x0
	s_or_b32 exec_lo, exec_lo, s3
	v_add_nc_u64_e32 v[44:45], s[22:23], v[12:13]
	v_dual_mov_b32 v46, 0 :: v_dual_mov_b32 v53, 0
	v_mov_b32_e32 v54, 0
	s_delay_alu instid0(VALU_DEP_3)
	v_cmp_lt_u64_e64 s3, v[44:45], v[4:5]
	s_and_saveexec_b32 s4, s3
	s_cbranch_execz .LBB48_10
; %bb.9:                                ;   in Loop: Header=BB48_4 Depth=1
	v_add_nc_u64_e32 v[44:45], s[14:15], v[36:37]
	v_add_nc_u64_e32 v[48:49], s[14:15], v[38:39]
	global_load_u16 v46, v[44:45], off
	global_load_i16 v54, v[48:49], off
.LBB48_10:                              ;   in Loop: Header=BB48_4 Depth=1
	s_wait_xcnt 0x0
	s_or_b32 exec_lo, exec_lo, s4
	s_and_saveexec_b32 s4, s3
	s_cbranch_execz .LBB48_12
; %bb.11:                               ;   in Loop: Header=BB48_4 Depth=1
	v_add_nc_u64_e32 v[44:45], s[14:15], v[40:41]
	global_load_i16 v53, v[44:45], off
.LBB48_12:                              ;   in Loop: Header=BB48_4 Depth=1
	s_wait_xcnt 0x0
	s_or_b32 exec_lo, exec_lo, s4
	v_add_nc_u64_e32 v[44:45], s[22:23], v[34:35]
	v_dual_mov_b32 v51, 0 :: v_dual_mov_b32 v50, 0
	s_delay_alu instid0(VALU_DEP_2)
	v_cmp_lt_u64_e64 s4, v[44:45], v[4:5]
	v_mov_b32_e32 v45, 0
	s_and_saveexec_b32 s5, s4
	s_cbranch_execz .LBB48_14
; %bb.13:                               ;   in Loop: Header=BB48_4 Depth=1
	v_add_nc_u64_e32 v[48:49], s[14:15], v[26:27]
	v_add_nc_u64_e32 v[56:57], s[14:15], v[28:29]
	global_load_u16 v45, v[48:49], off
	global_load_i16 v51, v[56:57], off
.LBB48_14:                              ;   in Loop: Header=BB48_4 Depth=1
	s_wait_xcnt 0x0
	s_or_b32 exec_lo, exec_lo, s5
	s_and_saveexec_b32 s5, s4
	s_cbranch_execz .LBB48_16
; %bb.15:                               ;   in Loop: Header=BB48_4 Depth=1
	v_add_nc_u64_e32 v[48:49], s[14:15], v[30:31]
	global_load_i16 v50, v[48:49], off
.LBB48_16:                              ;   in Loop: Header=BB48_4 Depth=1
	s_wait_xcnt 0x0
	s_or_b32 exec_lo, exec_lo, s5
	v_add_nc_u64_e32 v[48:49], s[22:23], v[16:17]
	v_mov_b32_e32 v44, 0
	s_delay_alu instid0(VALU_DEP_2)
	v_cmp_lt_u64_e64 s5, v[48:49], v[4:5]
	v_dual_mov_b32 v48, 0 :: v_dual_mov_b32 v49, 0
	s_and_saveexec_b32 s26, s5
	s_cbranch_execz .LBB48_18
; %bb.17:                               ;   in Loop: Header=BB48_4 Depth=1
	v_add_nc_u64_e32 v[56:57], s[14:15], v[18:19]
	v_add_nc_u64_e32 v[58:59], s[14:15], v[20:21]
	global_load_u16 v44, v[56:57], off
	global_load_i16 v49, v[58:59], off
.LBB48_18:                              ;   in Loop: Header=BB48_4 Depth=1
	s_wait_xcnt 0x0
	s_or_b32 exec_lo, exec_lo, s26
	s_and_saveexec_b32 s26, s5
	s_cbranch_execz .LBB48_20
; %bb.19:                               ;   in Loop: Header=BB48_4 Depth=1
	v_add_nc_u64_e32 v[56:57], s[14:15], v[22:23]
	global_load_i16 v48, v[56:57], off
.LBB48_20:                              ;   in Loop: Header=BB48_4 Depth=1
	s_wait_xcnt 0x0
	s_or_b32 exec_lo, exec_lo, s26
	s_wait_loadcnt 0x0
	v_cvt_f32_i32_e32 v56, v52
	v_cvt_f32_i32_e32 v58, v55
	s_mov_b32 s26, -1
	v_xor_b32_e32 v52, v55, v52
	s_delay_alu instid0(VALU_DEP_3) | instskip(SKIP_1) | instid1(TRANS32_DEP_1)
	v_rcp_iflag_f32_e32 v57, v56
	v_nop
	v_dual_mul_f32 v57, v58, v57 :: v_dual_ashrrev_i32 v52, 30, v52
	s_delay_alu instid0(VALU_DEP_1) | instskip(NEXT) | instid1(VALU_DEP_2)
	v_or_b32_e32 v52, 1, v52
	v_trunc_f32_e32 v55, v57
	s_delay_alu instid0(VALU_DEP_1) | instskip(SKIP_1) | instid1(VALU_DEP_2)
	v_fma_f32 v57, -v55, v56, v58
	v_cvt_i32_f32_e32 v55, v55
	v_cmp_ge_f32_e64 vcc_lo, |v57|, |v56|
	v_cndmask_b32_e32 v52, 0, v52, vcc_lo
	s_and_b32 vcc_lo, exec_lo, s25
	s_delay_alu instid0(VALU_DEP_1)
	v_add_nc_u32_e32 v55, v55, v52
                                        ; implicit-def: $vgpr52
	s_cbranch_vccz .LBB48_22
; %bb.21:                               ;   in Loop: Header=BB48_4 Depth=1
	s_delay_alu instid0(VALU_DEP_1)
	v_mad_u16 v52, s24, v55, v47
	s_mov_b32 s26, 0
.LBB48_22:                              ;   in Loop: Header=BB48_4 Depth=1
	s_delay_alu instid0(SALU_CYCLE_1)
	s_and_not1_b32 vcc_lo, exec_lo, s26
	s_cbranch_vccnz .LBB48_24
; %bb.23:                               ;   in Loop: Header=BB48_4 Depth=1
	s_delay_alu instid0(VALU_DEP_1)
	v_add_nc_u16 v52, v47, v55
.LBB48_24:                              ;   in Loop: Header=BB48_4 Depth=1
	v_cvt_f32_i32_e32 v47, v53
	v_cvt_f32_i32_e32 v56, v54
	s_mov_b32 s26, -1
	v_xor_b32_e32 v53, v54, v53
	s_delay_alu instid0(VALU_DEP_3) | instskip(SKIP_1) | instid1(TRANS32_DEP_1)
	v_rcp_iflag_f32_e32 v55, v47
	v_nop
	v_mul_f32_e32 v55, v56, v55
	s_delay_alu instid0(VALU_DEP_1) | instskip(NEXT) | instid1(VALU_DEP_1)
	v_trunc_f32_e32 v54, v55
	v_dual_ashrrev_i32 v53, 30, v53 :: v_dual_fma_f32 v55, -v54, v47, v56
	s_delay_alu instid0(VALU_DEP_1) | instskip(SKIP_1) | instid1(VALU_DEP_3)
	v_or_b32_e32 v53, 1, v53
	v_cvt_i32_f32_e32 v54, v54
	v_cmp_ge_f32_e64 vcc_lo, |v55|, |v47|
	s_delay_alu instid0(VALU_DEP_3) | instskip(SKIP_1) | instid1(VALU_DEP_1)
	v_cndmask_b32_e32 v47, 0, v53, vcc_lo
	s_and_not1_b32 vcc_lo, exec_lo, s25
	v_add_nc_u32_e32 v53, v54, v47
                                        ; implicit-def: $vgpr47
	s_cbranch_vccnz .LBB48_26
; %bb.25:                               ;   in Loop: Header=BB48_4 Depth=1
	s_delay_alu instid0(VALU_DEP_1)
	v_mad_u16 v47, s24, v53, v46
	s_mov_b32 s26, 0
.LBB48_26:                              ;   in Loop: Header=BB48_4 Depth=1
	s_delay_alu instid0(SALU_CYCLE_1)
	s_and_not1_b32 vcc_lo, exec_lo, s26
	s_cbranch_vccnz .LBB48_28
; %bb.27:                               ;   in Loop: Header=BB48_4 Depth=1
	s_delay_alu instid0(VALU_DEP_1)
	v_add_nc_u16 v47, v46, v53
.LBB48_28:                              ;   in Loop: Header=BB48_4 Depth=1
	v_cvt_f32_i32_e32 v46, v50
	v_cvt_f32_i32_e32 v54, v51
	s_mov_b32 s26, -1
	v_xor_b32_e32 v50, v51, v50
	s_delay_alu instid0(VALU_DEP_3) | instskip(SKIP_1) | instid1(TRANS32_DEP_1)
	v_rcp_iflag_f32_e32 v53, v46
	v_nop
	v_dual_mul_f32 v53, v54, v53 :: v_dual_ashrrev_i32 v50, 30, v50
	s_delay_alu instid0(VALU_DEP_1) | instskip(NEXT) | instid1(VALU_DEP_2)
	v_or_b32_e32 v50, 1, v50
	v_trunc_f32_e32 v51, v53
	s_delay_alu instid0(VALU_DEP_1) | instskip(SKIP_1) | instid1(VALU_DEP_2)
	v_fma_f32 v53, -v51, v46, v54
	v_cvt_i32_f32_e32 v51, v51
	v_cmp_ge_f32_e64 vcc_lo, |v53|, |v46|
	v_cndmask_b32_e32 v46, 0, v50, vcc_lo
	s_and_not1_b32 vcc_lo, exec_lo, s25
	s_delay_alu instid0(VALU_DEP_1)
	v_add_nc_u32_e32 v50, v51, v46
                                        ; implicit-def: $vgpr46
	s_cbranch_vccnz .LBB48_30
; %bb.29:                               ;   in Loop: Header=BB48_4 Depth=1
	s_delay_alu instid0(VALU_DEP_1)
	v_mad_u16 v46, s24, v50, v45
	s_mov_b32 s26, 0
.LBB48_30:                              ;   in Loop: Header=BB48_4 Depth=1
	s_delay_alu instid0(SALU_CYCLE_1)
	s_and_not1_b32 vcc_lo, exec_lo, s26
	s_cbranch_vccnz .LBB48_32
; %bb.31:                               ;   in Loop: Header=BB48_4 Depth=1
	s_delay_alu instid0(VALU_DEP_1)
	v_add_nc_u16 v46, v45, v50
.LBB48_32:                              ;   in Loop: Header=BB48_4 Depth=1
	v_cvt_f32_i32_e32 v45, v48
	v_cvt_f32_i32_e32 v51, v49
	s_mov_b32 s26, -1
	v_xor_b32_e32 v48, v49, v48
	s_delay_alu instid0(VALU_DEP_3) | instskip(SKIP_1) | instid1(TRANS32_DEP_1)
	v_rcp_iflag_f32_e32 v50, v45
	v_nop
	v_mul_f32_e32 v50, v51, v50
	s_delay_alu instid0(VALU_DEP_1) | instskip(NEXT) | instid1(VALU_DEP_1)
	v_trunc_f32_e32 v49, v50
	v_dual_ashrrev_i32 v48, 30, v48 :: v_dual_fma_f32 v50, -v49, v45, v51
	s_delay_alu instid0(VALU_DEP_1) | instskip(SKIP_1) | instid1(VALU_DEP_3)
	v_or_b32_e32 v48, 1, v48
	v_cvt_i32_f32_e32 v49, v49
	v_cmp_ge_f32_e64 vcc_lo, |v50|, |v45|
	s_delay_alu instid0(VALU_DEP_3) | instskip(SKIP_1) | instid1(VALU_DEP_1)
	v_cndmask_b32_e32 v45, 0, v48, vcc_lo
	s_and_not1_b32 vcc_lo, exec_lo, s25
	v_add_nc_u32_e32 v48, v49, v45
                                        ; implicit-def: $vgpr45
	s_cbranch_vccz .LBB48_38
; %bb.33:                               ;   in Loop: Header=BB48_4 Depth=1
	s_and_not1_b32 vcc_lo, exec_lo, s26
	s_cbranch_vccz .LBB48_39
.LBB48_34:                              ;   in Loop: Header=BB48_4 Depth=1
	s_and_saveexec_b32 s26, s2
	s_delay_alu instid0(SALU_CYCLE_1)
	s_xor_b32 s2, exec_lo, s26
	s_cbranch_execnz .LBB48_40
.LBB48_35:                              ;   in Loop: Header=BB48_4 Depth=1
	s_or_b32 exec_lo, exec_lo, s2
	s_and_saveexec_b32 s2, s3
	s_cbranch_execnz .LBB48_41
.LBB48_36:                              ;   in Loop: Header=BB48_4 Depth=1
	s_or_b32 exec_lo, exec_lo, s2
	s_and_saveexec_b32 s2, s4
	s_cbranch_execnz .LBB48_42
.LBB48_37:                              ;   in Loop: Header=BB48_4 Depth=1
	s_or_b32 exec_lo, exec_lo, s2
	s_and_saveexec_b32 s2, s5
	s_cbranch_execz .LBB48_3
	s_branch .LBB48_43
.LBB48_38:                              ;   in Loop: Header=BB48_4 Depth=1
	s_delay_alu instid0(VALU_DEP_1)
	v_mad_u16 v45, s24, v48, v44
	s_cbranch_execnz .LBB48_34
.LBB48_39:                              ;   in Loop: Header=BB48_4 Depth=1
	s_delay_alu instid0(VALU_DEP_1) | instskip(SKIP_1) | instid1(SALU_CYCLE_1)
	v_add_nc_u16 v45, v44, v48
	s_and_saveexec_b32 s26, s2
	s_xor_b32 s2, exec_lo, s26
	s_cbranch_execz .LBB48_35
.LBB48_40:                              ;   in Loop: Header=BB48_4 Depth=1
	v_add_nc_u64_e32 v[48:49], s[14:15], v[14:15]
	global_store_b16 v[48:49], v52, off
	s_wait_xcnt 0x0
	s_or_b32 exec_lo, exec_lo, s2
	s_and_saveexec_b32 s2, s3
	s_cbranch_execz .LBB48_36
.LBB48_41:                              ;   in Loop: Header=BB48_4 Depth=1
	v_add_nc_u64_e32 v[48:49], s[14:15], v[42:43]
	global_store_b16 v[48:49], v47, off
	s_wait_xcnt 0x0
	s_or_b32 exec_lo, exec_lo, s2
	s_and_saveexec_b32 s2, s4
	s_cbranch_execz .LBB48_37
.LBB48_42:                              ;   in Loop: Header=BB48_4 Depth=1
	v_add_nc_u64_e32 v[48:49], s[14:15], v[32:33]
	global_store_b16 v[48:49], v46, off
	s_wait_xcnt 0x0
	s_or_b32 exec_lo, exec_lo, s2
	s_and_saveexec_b32 s2, s5
	s_cbranch_execz .LBB48_3
.LBB48_43:                              ;   in Loop: Header=BB48_4 Depth=1
	v_add_nc_u64_e32 v[46:47], s[14:15], v[24:25]
	global_store_b16 v[46:47], v45, off
	s_branch .LBB48_3
.LBB48_44:
	s_mov_b32 s2, 0
.LBB48_45:
	s_delay_alu instid0(SALU_CYCLE_1)
	s_and_not1_b32 vcc_lo, exec_lo, s2
	s_cbranch_vccnz .LBB48_49
; %bb.46:
	v_min_i64 v[2:3], 0x10000, s[16:17]
	v_dual_mov_b32 v5, 0 :: v_dual_lshlrev_b32 v4, 2, v0
	s_mov_b32 s2, exec_lo
	s_delay_alu instid0(VALU_DEP_1)
	v_cmpx_lt_i64_e64 v[4:5], v[2:3]
	s_cbranch_execz .LBB48_49
; %bb.47:
	s_load_b32 s0, s[0:1], 0xbfc
	v_dual_mov_b32 v1, v5 :: v_dual_lshlrev_b32 v4, 3, v0
	s_wait_xcnt 0x0
	s_mov_b32 s1, 0
	s_delay_alu instid0(SALU_CYCLE_1) | instskip(NEXT) | instid1(VALU_DEP_1)
	s_mov_b32 s3, s1
	v_add_nc_u64_e32 v[4:5], s[14:15], v[4:5]
	s_mov_b32 s4, s1
	s_wait_kmcnt 0x0
	s_and_b32 s0, s0, 0xffff
	s_delay_alu instid0(SALU_CYCLE_1)
	s_lshl_b32 s2, s0, 3
.LBB48_48:                              ; =>This Inner Loop Header: Depth=1
	s_delay_alu instid0(VALU_DEP_1)
	v_add_nc_u64_e32 v[6:7], s[6:7], v[4:5]
	v_add_nc_u64_e32 v[8:9], s[10:11], v[4:5]
	;; [unrolled: 1-line block ×4, first 2 shown]
	global_load_b64 v[12:13], v[6:7], off
	global_load_b64 v[14:15], v[8:9], off
	;; [unrolled: 1-line block ×3, first 2 shown]
	s_wait_loadcnt 0x2
	s_wait_xcnt 0x2
	v_bfe_i32 v6, v12, 0, 16
	s_wait_loadcnt 0x1
	v_bfe_i32 v7, v14, 0, 16
	s_wait_loadcnt 0x0
	s_wait_xcnt 0x0
	v_dual_lshrrev_b32 v8, 16, v16 :: v_dual_ashrrev_i32 v10, 16, v14
	v_ashrrev_i32_e32 v9, 16, v12
	v_alignbit_b32 v11, v13, v12, 16
	v_alignbit_b32 v12, v15, v14, 16
	v_dual_ashrrev_i32 v13, 16, v13 :: v_dual_ashrrev_i32 v14, 16, v15
	s_delay_alu instid0(VALU_DEP_4) | instskip(NEXT) | instid1(VALU_DEP_3)
	v_xor_b32_e32 v18, v9, v10
	v_dual_ashrrev_i32 v12, 16, v12 :: v_dual_bitop2_b32 v15, v6, v7 bitop3:0x14
	v_cvt_f32_i32_e32 v7, v7
	v_cvt_f32_i32_e32 v10, v10
	v_dual_ashrrev_i32 v11, 16, v11 :: v_dual_bitop2_b32 v19, v13, v14 bitop3:0x14
	v_cvt_f32_i32_e32 v6, v6
	s_delay_alu instid0(VALU_DEP_4)
	v_rcp_iflag_f32_e32 v20, v7
	v_dual_ashrrev_i32 v15, 30, v15 :: v_dual_ashrrev_i32 v18, 30, v18
	v_cvt_f32_i32_e32 v14, v14
	v_rcp_iflag_f32_e32 v21, v10
	v_dual_ashrrev_i32 v19, 30, v19 :: v_dual_bitop2_b32 v22, v11, v12 bitop3:0x14
	v_cvt_f32_i32_e32 v12, v12
	v_cvt_f32_i32_e32 v9, v9
	v_dual_mul_f32 v20, v6, v20 :: v_dual_bitop2_b32 v18, 1, v18 bitop3:0x54
	v_rcp_iflag_f32_e32 v23, v14
	s_delay_alu instid0(VALU_DEP_3)
	v_rcp_iflag_f32_e32 v24, v12
	v_cvt_f32_i32_e32 v13, v13
	v_cvt_f32_i32_e32 v11, v11
	v_dual_mul_f32 v21, v9, v21 :: v_dual_bitop2_b32 v19, 1, v19 bitop3:0x54
	v_trunc_f32_e32 v20, v20
	v_dual_ashrrev_i32 v22, 30, v22 :: v_dual_bitop2_b32 v15, 1, v15 bitop3:0x54
	v_mul_f32_e32 v23, v13, v23
	s_delay_alu instid0(VALU_DEP_4) | instskip(NEXT) | instid1(VALU_DEP_4)
	v_trunc_f32_e32 v21, v21
	v_dual_mul_f32 v24, v11, v24 :: v_dual_fma_f32 v6, -v20, v7, v6
	s_delay_alu instid0(VALU_DEP_4) | instskip(NEXT) | instid1(VALU_DEP_4)
	v_or_b32_e32 v22, 1, v22
	v_trunc_f32_e32 v23, v23
	v_cvt_i32_f32_e32 v20, v20
	s_delay_alu instid0(VALU_DEP_4)
	v_trunc_f32_e32 v24, v24
	v_cmp_ge_f32_e64 vcc_lo, |v6|, |v7|
	v_fma_f32 v9, -v21, v10, v9
	v_fma_f32 v13, -v23, v14, v13
	v_cvt_i32_f32_e32 v21, v21
	v_cvt_i32_f32_e32 v23, v23
	v_cndmask_b32_e32 v6, 0, v15, vcc_lo
	v_cmp_ge_f32_e64 vcc_lo, |v9|, |v10|
	v_fma_f32 v9, -v24, v12, v11
	v_cvt_i32_f32_e32 v10, v24
	v_cndmask_b32_e32 v7, 0, v18, vcc_lo
	v_cmp_ge_f32_e64 vcc_lo, |v13|, |v14|
	v_cndmask_b32_e32 v11, 0, v19, vcc_lo
	v_cmp_ge_f32_e64 vcc_lo, |v9|, |v12|
	s_delay_alu instid0(VALU_DEP_4) | instskip(SKIP_1) | instid1(VALU_DEP_4)
	v_dual_add_nc_u32 v6, v20, v6 :: v_dual_add_nc_u32 v7, v21, v7
	v_dual_cndmask_b32 v9, 0, v22 :: v_dual_lshrrev_b32 v12, 16, v17
	v_add_nc_u32_e32 v11, v23, v11
	s_delay_alu instid0(VALU_DEP_3) | instskip(NEXT) | instid1(VALU_DEP_4)
	v_mad_u16 v13, s24, v6, v16
	v_mad_u16 v8, s24, v7, v8
	v_lshlrev_b64_e32 v[6:7], 2, v[0:1]
	v_add_nc_u32_e32 v9, v10, v9
	v_mad_u16 v10, s24, v11, v12
	v_and_b32_e32 v11, 0xffff, v13
	v_lshlrev_b32_e32 v8, 16, v8
	s_delay_alu instid0(VALU_DEP_4) | instskip(NEXT) | instid1(VALU_DEP_4)
	v_mad_u16 v9, s24, v9, v17
	v_lshlrev_b32_e32 v10, 16, v10
	v_cmp_ge_i64_e32 vcc_lo, v[6:7], v[2:3]
	s_delay_alu instid0(VALU_DEP_4) | instskip(SKIP_3) | instid1(VALU_DEP_4)
	v_or_b32_e32 v8, v8, v11
	v_add_nc_u64_e32 v[6:7], s[12:13], v[4:5]
	v_and_b32_e32 v9, 0xffff, v9
	v_add_nc_u64_e32 v[4:5], s[2:3], v[4:5]
	v_or3_b32 v8, 0, v8, 0
	s_or_b32 s4, vcc_lo, s4
	s_delay_alu instid0(VALU_DEP_3)
	v_or3_b32 v9, v9, 0, v10
	global_store_b64 v[6:7], v[8:9], off
	s_wait_xcnt 0x0
	s_and_not1_b32 exec_lo, exec_lo, s4
	s_cbranch_execnz .LBB48_48
.LBB48_49:
	s_endpgm
	.section	.rodata,"a",@progbits
	.p2align	6, 0x0
	.amdhsa_kernel _ZN2at6native12_GLOBAL__N_125multi_tensor_apply_kernelINS1_18TensorListMetadataILi4EEENS1_24PointwiseOpScalarFunctorIsLi4ELi3ELi3EEEJSt7dividesIsEsEEEvT_T0_DpT1_
		.amdhsa_group_segment_fixed_size 0
		.amdhsa_private_segment_fixed_size 0
		.amdhsa_kernarg_size 3312
		.amdhsa_user_sgpr_count 2
		.amdhsa_user_sgpr_dispatch_ptr 0
		.amdhsa_user_sgpr_queue_ptr 0
		.amdhsa_user_sgpr_kernarg_segment_ptr 1
		.amdhsa_user_sgpr_dispatch_id 0
		.amdhsa_user_sgpr_kernarg_preload_length 0
		.amdhsa_user_sgpr_kernarg_preload_offset 0
		.amdhsa_user_sgpr_private_segment_size 0
		.amdhsa_wavefront_size32 1
		.amdhsa_uses_dynamic_stack 0
		.amdhsa_enable_private_segment 0
		.amdhsa_system_sgpr_workgroup_id_x 1
		.amdhsa_system_sgpr_workgroup_id_y 0
		.amdhsa_system_sgpr_workgroup_id_z 0
		.amdhsa_system_sgpr_workgroup_info 0
		.amdhsa_system_vgpr_workitem_id 0
		.amdhsa_next_free_vgpr 60
		.amdhsa_next_free_sgpr 27
		.amdhsa_named_barrier_count 0
		.amdhsa_reserve_vcc 1
		.amdhsa_float_round_mode_32 0
		.amdhsa_float_round_mode_16_64 0
		.amdhsa_float_denorm_mode_32 3
		.amdhsa_float_denorm_mode_16_64 3
		.amdhsa_fp16_overflow 0
		.amdhsa_memory_ordered 1
		.amdhsa_forward_progress 1
		.amdhsa_inst_pref_size 19
		.amdhsa_round_robin_scheduling 0
		.amdhsa_exception_fp_ieee_invalid_op 0
		.amdhsa_exception_fp_denorm_src 0
		.amdhsa_exception_fp_ieee_div_zero 0
		.amdhsa_exception_fp_ieee_overflow 0
		.amdhsa_exception_fp_ieee_underflow 0
		.amdhsa_exception_fp_ieee_inexact 0
		.amdhsa_exception_int_div_zero 0
	.end_amdhsa_kernel
	.section	.text._ZN2at6native12_GLOBAL__N_125multi_tensor_apply_kernelINS1_18TensorListMetadataILi4EEENS1_24PointwiseOpScalarFunctorIsLi4ELi3ELi3EEEJSt7dividesIsEsEEEvT_T0_DpT1_,"axG",@progbits,_ZN2at6native12_GLOBAL__N_125multi_tensor_apply_kernelINS1_18TensorListMetadataILi4EEENS1_24PointwiseOpScalarFunctorIsLi4ELi3ELi3EEEJSt7dividesIsEsEEEvT_T0_DpT1_,comdat
.Lfunc_end48:
	.size	_ZN2at6native12_GLOBAL__N_125multi_tensor_apply_kernelINS1_18TensorListMetadataILi4EEENS1_24PointwiseOpScalarFunctorIsLi4ELi3ELi3EEEJSt7dividesIsEsEEEvT_T0_DpT1_, .Lfunc_end48-_ZN2at6native12_GLOBAL__N_125multi_tensor_apply_kernelINS1_18TensorListMetadataILi4EEENS1_24PointwiseOpScalarFunctorIsLi4ELi3ELi3EEEJSt7dividesIsEsEEEvT_T0_DpT1_
                                        ; -- End function
	.set _ZN2at6native12_GLOBAL__N_125multi_tensor_apply_kernelINS1_18TensorListMetadataILi4EEENS1_24PointwiseOpScalarFunctorIsLi4ELi3ELi3EEEJSt7dividesIsEsEEEvT_T0_DpT1_.num_vgpr, 60
	.set _ZN2at6native12_GLOBAL__N_125multi_tensor_apply_kernelINS1_18TensorListMetadataILi4EEENS1_24PointwiseOpScalarFunctorIsLi4ELi3ELi3EEEJSt7dividesIsEsEEEvT_T0_DpT1_.num_agpr, 0
	.set _ZN2at6native12_GLOBAL__N_125multi_tensor_apply_kernelINS1_18TensorListMetadataILi4EEENS1_24PointwiseOpScalarFunctorIsLi4ELi3ELi3EEEJSt7dividesIsEsEEEvT_T0_DpT1_.numbered_sgpr, 27
	.set _ZN2at6native12_GLOBAL__N_125multi_tensor_apply_kernelINS1_18TensorListMetadataILi4EEENS1_24PointwiseOpScalarFunctorIsLi4ELi3ELi3EEEJSt7dividesIsEsEEEvT_T0_DpT1_.num_named_barrier, 0
	.set _ZN2at6native12_GLOBAL__N_125multi_tensor_apply_kernelINS1_18TensorListMetadataILi4EEENS1_24PointwiseOpScalarFunctorIsLi4ELi3ELi3EEEJSt7dividesIsEsEEEvT_T0_DpT1_.private_seg_size, 0
	.set _ZN2at6native12_GLOBAL__N_125multi_tensor_apply_kernelINS1_18TensorListMetadataILi4EEENS1_24PointwiseOpScalarFunctorIsLi4ELi3ELi3EEEJSt7dividesIsEsEEEvT_T0_DpT1_.uses_vcc, 1
	.set _ZN2at6native12_GLOBAL__N_125multi_tensor_apply_kernelINS1_18TensorListMetadataILi4EEENS1_24PointwiseOpScalarFunctorIsLi4ELi3ELi3EEEJSt7dividesIsEsEEEvT_T0_DpT1_.uses_flat_scratch, 0
	.set _ZN2at6native12_GLOBAL__N_125multi_tensor_apply_kernelINS1_18TensorListMetadataILi4EEENS1_24PointwiseOpScalarFunctorIsLi4ELi3ELi3EEEJSt7dividesIsEsEEEvT_T0_DpT1_.has_dyn_sized_stack, 0
	.set _ZN2at6native12_GLOBAL__N_125multi_tensor_apply_kernelINS1_18TensorListMetadataILi4EEENS1_24PointwiseOpScalarFunctorIsLi4ELi3ELi3EEEJSt7dividesIsEsEEEvT_T0_DpT1_.has_recursion, 0
	.set _ZN2at6native12_GLOBAL__N_125multi_tensor_apply_kernelINS1_18TensorListMetadataILi4EEENS1_24PointwiseOpScalarFunctorIsLi4ELi3ELi3EEEJSt7dividesIsEsEEEvT_T0_DpT1_.has_indirect_call, 0
	.section	.AMDGPU.csdata,"",@progbits
; Kernel info:
; codeLenInByte = 2416
; TotalNumSgprs: 29
; NumVgprs: 60
; ScratchSize: 0
; MemoryBound: 0
; FloatMode: 240
; IeeeMode: 1
; LDSByteSize: 0 bytes/workgroup (compile time only)
; SGPRBlocks: 0
; VGPRBlocks: 3
; NumSGPRsForWavesPerEU: 29
; NumVGPRsForWavesPerEU: 60
; NamedBarCnt: 0
; Occupancy: 16
; WaveLimiterHint : 0
; COMPUTE_PGM_RSRC2:SCRATCH_EN: 0
; COMPUTE_PGM_RSRC2:USER_SGPR: 2
; COMPUTE_PGM_RSRC2:TRAP_HANDLER: 0
; COMPUTE_PGM_RSRC2:TGID_X_EN: 1
; COMPUTE_PGM_RSRC2:TGID_Y_EN: 0
; COMPUTE_PGM_RSRC2:TGID_Z_EN: 0
; COMPUTE_PGM_RSRC2:TIDIG_COMP_CNT: 0
	.section	.text._ZN2at6native12_GLOBAL__N_125multi_tensor_apply_kernelINS1_18TensorListMetadataILi4EEENS1_24PointwiseOpScalarFunctorIdLi4ELi3ELi3EEEJSt7dividesIdEdEEEvT_T0_DpT1_,"axG",@progbits,_ZN2at6native12_GLOBAL__N_125multi_tensor_apply_kernelINS1_18TensorListMetadataILi4EEENS1_24PointwiseOpScalarFunctorIdLi4ELi3ELi3EEEJSt7dividesIdEdEEEvT_T0_DpT1_,comdat
	.globl	_ZN2at6native12_GLOBAL__N_125multi_tensor_apply_kernelINS1_18TensorListMetadataILi4EEENS1_24PointwiseOpScalarFunctorIdLi4ELi3ELi3EEEJSt7dividesIdEdEEEvT_T0_DpT1_ ; -- Begin function _ZN2at6native12_GLOBAL__N_125multi_tensor_apply_kernelINS1_18TensorListMetadataILi4EEENS1_24PointwiseOpScalarFunctorIdLi4ELi3ELi3EEEJSt7dividesIdEdEEEvT_T0_DpT1_
	.p2align	8
	.type	_ZN2at6native12_GLOBAL__N_125multi_tensor_apply_kernelINS1_18TensorListMetadataILi4EEENS1_24PointwiseOpScalarFunctorIdLi4ELi3ELi3EEEJSt7dividesIdEdEEEvT_T0_DpT1_,@function
_ZN2at6native12_GLOBAL__N_125multi_tensor_apply_kernelINS1_18TensorListMetadataILi4EEENS1_24PointwiseOpScalarFunctorIdLi4ELi3ELi3EEEJSt7dividesIdEdEEEvT_T0_DpT1_: ; @_ZN2at6native12_GLOBAL__N_125multi_tensor_apply_kernelINS1_18TensorListMetadataILi4EEENS1_24PointwiseOpScalarFunctorIdLi4ELi3ELi3EEEJSt7dividesIdEdEEEvT_T0_DpT1_
; %bb.0:
	s_bfe_u32 s2, ttmp6, 0x4000c
	s_and_b32 s3, ttmp6, 15
	s_add_co_i32 s2, s2, 1
	s_getreg_b32 s4, hwreg(HW_REG_IB_STS2, 6, 4)
	s_mul_i32 s2, ttmp9, s2
	s_mov_b32 s19, 0
	s_add_co_i32 s3, s3, s2
	s_cmp_eq_u32 s4, 0
	s_load_b64 s[14:15], s[0:1], 0xbf0
	s_cselect_b32 s18, ttmp9, s3
	s_load_u8 s8, s[0:1], s18 offset:0x5a0
	s_add_nc_u64 s[2:3], s[0:1], s[18:19]
	s_mul_u64 s[4:5], s[18:19], 3
	s_delay_alu instid0(SALU_CYCLE_1)
	s_add_nc_u64 s[6:7], s[2:3], s[4:5]
	s_load_b32 s24, s[6:7], 0x6e0
	s_wait_kmcnt 0x0
	s_clause 0x4
	s_load_b64 s[2:3], s[0:1], s8 offset:0x0 scale_offset
	s_load_b64 s[4:5], s[0:1], s8 offset:0x120 scale_offset
	;; [unrolled: 1-line block ×5, first 2 shown]
	s_ashr_i32 s25, s24, 31
	s_delay_alu instid0(SALU_CYCLE_1)
	s_lshl_b64 s[16:17], s[24:25], 19
	s_wait_kmcnt 0x0
	s_add_nc_u64 s[8:9], s[4:5], s[16:17]
	s_add_nc_u64 s[6:7], s[2:3], s[16:17]
	s_and_b32 s18, s8, 31
	s_and_b64 s[28:29], s[6:7], 31
	s_add_nc_u64 s[10:11], s[20:21], s[16:17]
	s_cmp_eq_u64 s[18:19], 0
	s_add_nc_u64 s[12:13], s[22:23], s[16:17]
	s_cselect_b32 s30, -1, 0
	s_or_b32 s18, s12, s10
	s_delay_alu instid0(SALU_CYCLE_1) | instskip(NEXT) | instid1(SALU_CYCLE_1)
	s_and_b32 s18, s18, 31
	s_cmp_eq_u32 s18, 0
	s_cselect_b32 s31, -1, 0
	s_and_b32 s18, s26, 3
	s_and_b32 s30, s31, s30
	s_or_b64 s[18:19], s[28:29], s[18:19]
	s_lshl_b64 s[24:25], s[24:25], 16
	s_cmp_eq_u64 s[18:19], 0
	s_cselect_b32 s18, -1, 0
	s_delay_alu instid0(SALU_CYCLE_1)
	s_and_b32 s28, s30, s18
	s_sub_nc_u64 s[18:19], s[26:27], s[24:25]
	s_and_b32 vcc_lo, exec_lo, s28
	s_mov_b32 s24, -1
	s_cbranch_vccnz .LBB49_45
; %bb.1:
	v_cmp_lt_i64_e64 s24, s[18:19], 1
	s_and_b32 vcc_lo, exec_lo, s24
	s_cbranch_vccnz .LBB49_44
; %bb.2:
	s_load_b32 s24, s[0:1], 0xc04
	v_min_i64 v[2:3], 0x10000, s[18:19]
	v_min_u64 v[4:5], 0x10000, s[18:19]
	v_cmp_neq_f64_e64 s26, s[14:15], 1.0
	v_dual_mov_b32 v1, 0 :: v_dual_lshlrev_b32 v14, 3, v0
	s_mov_b32 s25, 0
	s_delay_alu instid0(SALU_CYCLE_1) | instskip(NEXT) | instid1(VALU_DEP_1)
	s_mov_b32 s35, s25
	v_dual_mov_b32 v15, v1 :: v_dual_mov_b32 v43, v1
	s_mov_b32 s29, s25
	s_mov_b32 s31, s25
	s_delay_alu instid0(VALU_DEP_1) | instskip(SKIP_4) | instid1(SALU_CYCLE_1)
	v_add_nc_u64_e32 v[6:7], s[2:3], v[14:15]
	v_add_nc_u64_e32 v[8:9], s[4:5], v[14:15]
	;; [unrolled: 1-line block ×3, first 2 shown]
	s_wait_kmcnt 0x0
	s_and_b32 s24, s24, 0xffff
	v_add_nc_u64_e32 v[12:13], s[24:25], v[0:1]
	v_mad_nc_u64_u32 v[34:35], s24, 24, v[14:15]
	s_lshl_b32 s34, s24, 4
	s_mul_i32 s30, s24, 3
	v_add_nc_u64_e32 v[26:27], s[34:35], v[14:15]
	s_lshl_b32 s28, s24, 1
	v_add_nc_u64_e32 v[14:15], s[22:23], v[14:15]
	v_lshlrev_b32_e32 v42, 3, v12
	v_add_nc_u64_e32 v[16:17], s[30:31], v[0:1]
	v_add_nc_u64_e32 v[18:19], s[28:29], v[0:1]
	;; [unrolled: 1-line block ×14, first 2 shown]
	s_lshl_b32 s20, s24, 2
	s_mov_b32 s21, s25
	s_lshl_b32 s22, s24, 5
	s_mov_b32 s23, s25
	s_mov_b64 s[24:25], 0
	s_branch .LBB49_4
.LBB49_3:                               ;   in Loop: Header=BB49_4 Depth=1
	s_wait_xcnt 0x0
	s_or_b32 exec_lo, exec_lo, s2
	s_add_nc_u64 s[24:25], s[24:25], s[20:21]
	v_add_nc_u64_e32 v[6:7], s[22:23], v[6:7]
	v_cmp_ge_i64_e32 vcc_lo, s[24:25], v[2:3]
	v_add_nc_u64_e32 v[8:9], s[22:23], v[8:9]
	v_add_nc_u64_e32 v[10:11], s[22:23], v[10:11]
	;; [unrolled: 1-line block ×15, first 2 shown]
	s_cbranch_vccnz .LBB49_44
.LBB49_4:                               ; =>This Inner Loop Header: Depth=1
	v_add_nc_u64_e32 v[44:45], s[24:25], v[0:1]
	v_mov_b64_e32 v[64:65], 0
	v_mov_b64_e32 v[66:67], 0
	;; [unrolled: 1-line block ×3, first 2 shown]
	s_delay_alu instid0(VALU_DEP_4)
	v_cmp_lt_u64_e64 s2, v[44:45], v[4:5]
	s_and_saveexec_b32 s3, s2
	s_cbranch_execz .LBB49_6
; %bb.5:                                ;   in Loop: Header=BB49_4 Depth=1
	v_add_nc_u64_e32 v[44:45], s[16:17], v[6:7]
	v_add_nc_u64_e32 v[46:47], s[16:17], v[8:9]
	global_load_b64 v[50:51], v[44:45], off
	global_load_b64 v[66:67], v[46:47], off
.LBB49_6:                               ;   in Loop: Header=BB49_4 Depth=1
	s_wait_xcnt 0x0
	s_or_b32 exec_lo, exec_lo, s3
	s_and_saveexec_b32 s3, s2
	s_cbranch_execz .LBB49_8
; %bb.7:                                ;   in Loop: Header=BB49_4 Depth=1
	v_add_nc_u64_e32 v[44:45], s[16:17], v[10:11]
	global_load_b64 v[64:65], v[44:45], off
.LBB49_8:                               ;   in Loop: Header=BB49_4 Depth=1
	s_wait_xcnt 0x0
	s_or_b32 exec_lo, exec_lo, s3
	v_add_nc_u64_e32 v[44:45], s[24:25], v[12:13]
	v_mov_b64_e32 v[60:61], 0
	v_mov_b64_e32 v[62:63], 0
	;; [unrolled: 1-line block ×3, first 2 shown]
	s_delay_alu instid0(VALU_DEP_4)
	v_cmp_lt_u64_e64 s3, v[44:45], v[4:5]
	s_and_saveexec_b32 s4, s3
	s_cbranch_execz .LBB49_10
; %bb.9:                                ;   in Loop: Header=BB49_4 Depth=1
	v_add_nc_u64_e32 v[44:45], s[16:17], v[36:37]
	v_add_nc_u64_e32 v[46:47], s[16:17], v[38:39]
	global_load_b64 v[48:49], v[44:45], off
	global_load_b64 v[62:63], v[46:47], off
.LBB49_10:                              ;   in Loop: Header=BB49_4 Depth=1
	s_wait_xcnt 0x0
	s_or_b32 exec_lo, exec_lo, s4
	s_and_saveexec_b32 s4, s3
	s_cbranch_execz .LBB49_12
; %bb.11:                               ;   in Loop: Header=BB49_4 Depth=1
	v_add_nc_u64_e32 v[44:45], s[16:17], v[40:41]
	global_load_b64 v[60:61], v[44:45], off
.LBB49_12:                              ;   in Loop: Header=BB49_4 Depth=1
	s_wait_xcnt 0x0
	s_or_b32 exec_lo, exec_lo, s4
	v_add_nc_u64_e32 v[44:45], s[24:25], v[18:19]
	v_mov_b64_e32 v[56:57], 0
	v_mov_b64_e32 v[58:59], 0
	;; [unrolled: 1-line block ×3, first 2 shown]
	s_delay_alu instid0(VALU_DEP_4)
	v_cmp_lt_u64_e64 s4, v[44:45], v[4:5]
	s_and_saveexec_b32 s5, s4
	s_cbranch_execz .LBB49_14
; %bb.13:                               ;   in Loop: Header=BB49_4 Depth=1
	v_add_nc_u64_e32 v[44:45], s[16:17], v[20:21]
	v_add_nc_u64_e32 v[52:53], s[16:17], v[22:23]
	global_load_b64 v[46:47], v[44:45], off
	global_load_b64 v[58:59], v[52:53], off
.LBB49_14:                              ;   in Loop: Header=BB49_4 Depth=1
	s_wait_xcnt 0x0
	s_or_b32 exec_lo, exec_lo, s5
	s_and_saveexec_b32 s5, s4
	s_cbranch_execz .LBB49_16
; %bb.15:                               ;   in Loop: Header=BB49_4 Depth=1
	v_add_nc_u64_e32 v[44:45], s[16:17], v[24:25]
	global_load_b64 v[56:57], v[44:45], off
.LBB49_16:                              ;   in Loop: Header=BB49_4 Depth=1
	s_wait_xcnt 0x0
	s_or_b32 exec_lo, exec_lo, s5
	v_add_nc_u64_e32 v[44:45], s[24:25], v[16:17]
	v_mov_b64_e32 v[52:53], 0
	v_mov_b64_e32 v[54:55], 0
	s_delay_alu instid0(VALU_DEP_3)
	v_cmp_lt_u64_e64 s5, v[44:45], v[4:5]
	v_mov_b64_e32 v[44:45], 0
	s_and_saveexec_b32 s27, s5
	s_cbranch_execz .LBB49_18
; %bb.17:                               ;   in Loop: Header=BB49_4 Depth=1
	v_add_nc_u64_e32 v[68:69], s[16:17], v[28:29]
	v_add_nc_u64_e32 v[70:71], s[16:17], v[30:31]
	global_load_b64 v[44:45], v[68:69], off
	global_load_b64 v[54:55], v[70:71], off
.LBB49_18:                              ;   in Loop: Header=BB49_4 Depth=1
	s_wait_xcnt 0x0
	s_or_b32 exec_lo, exec_lo, s27
	s_and_saveexec_b32 s27, s5
	s_cbranch_execz .LBB49_20
; %bb.19:                               ;   in Loop: Header=BB49_4 Depth=1
	v_add_nc_u64_e32 v[52:53], s[16:17], v[32:33]
	global_load_b64 v[52:53], v[52:53], off
.LBB49_20:                              ;   in Loop: Header=BB49_4 Depth=1
	s_wait_xcnt 0x0
	s_or_b32 exec_lo, exec_lo, s27
	s_wait_loadcnt 0x0
	v_div_scale_f64 v[68:69], null, v[64:65], v[64:65], v[66:67]
	s_delay_alu instid0(VALU_DEP_1) | instskip(SKIP_1) | instid1(TRANS32_DEP_1)
	v_rcp_f64_e32 v[70:71], v[68:69]
	v_nop
	v_fma_f64 v[72:73], -v[68:69], v[70:71], 1.0
	s_delay_alu instid0(VALU_DEP_1) | instskip(NEXT) | instid1(VALU_DEP_1)
	v_fmac_f64_e32 v[70:71], v[70:71], v[72:73]
	v_fma_f64 v[72:73], -v[68:69], v[70:71], 1.0
	s_delay_alu instid0(VALU_DEP_1) | instskip(SKIP_1) | instid1(VALU_DEP_1)
	v_fmac_f64_e32 v[70:71], v[70:71], v[72:73]
	v_div_scale_f64 v[72:73], vcc_lo, v[66:67], v[64:65], v[66:67]
	v_mul_f64_e32 v[74:75], v[72:73], v[70:71]
	s_delay_alu instid0(VALU_DEP_1) | instskip(NEXT) | instid1(VALU_DEP_1)
	v_fma_f64 v[68:69], -v[68:69], v[74:75], v[72:73]
	v_div_fmas_f64 v[68:69], v[68:69], v[70:71], v[74:75]
	s_and_b32 vcc_lo, exec_lo, s26
	s_delay_alu instid0(VALU_DEP_1)
	v_div_fixup_f64 v[66:67], v[68:69], v[64:65], v[66:67]
	s_cbranch_vccz .LBB49_40
; %bb.21:                               ;   in Loop: Header=BB49_4 Depth=1
	s_delay_alu instid0(VALU_DEP_1)
	v_fma_f64 v[64:65], s[14:15], v[66:67], v[50:51]
	s_cbranch_execnz .LBB49_23
.LBB49_22:                              ;   in Loop: Header=BB49_4 Depth=1
	s_delay_alu instid0(VALU_DEP_1)
	v_add_f64_e32 v[64:65], v[50:51], v[66:67]
.LBB49_23:                              ;   in Loop: Header=BB49_4 Depth=1
	v_div_scale_f64 v[50:51], null, v[60:61], v[60:61], v[62:63]
	s_delay_alu instid0(VALU_DEP_1) | instskip(SKIP_1) | instid1(TRANS32_DEP_1)
	v_rcp_f64_e32 v[66:67], v[50:51]
	v_nop
	v_fma_f64 v[68:69], -v[50:51], v[66:67], 1.0
	s_delay_alu instid0(VALU_DEP_1) | instskip(NEXT) | instid1(VALU_DEP_1)
	v_fmac_f64_e32 v[66:67], v[66:67], v[68:69]
	v_fma_f64 v[68:69], -v[50:51], v[66:67], 1.0
	s_delay_alu instid0(VALU_DEP_1) | instskip(SKIP_1) | instid1(VALU_DEP_1)
	v_fmac_f64_e32 v[66:67], v[66:67], v[68:69]
	v_div_scale_f64 v[68:69], vcc_lo, v[62:63], v[60:61], v[62:63]
	v_mul_f64_e32 v[70:71], v[68:69], v[66:67]
	s_delay_alu instid0(VALU_DEP_1) | instskip(NEXT) | instid1(VALU_DEP_1)
	v_fma_f64 v[50:51], -v[50:51], v[70:71], v[68:69]
	v_div_fmas_f64 v[50:51], v[50:51], v[66:67], v[70:71]
	s_and_not1_b32 vcc_lo, exec_lo, s26
	s_delay_alu instid0(VALU_DEP_1)
	v_div_fixup_f64 v[60:61], v[50:51], v[60:61], v[62:63]
	s_cbranch_vccnz .LBB49_41
; %bb.24:                               ;   in Loop: Header=BB49_4 Depth=1
	s_delay_alu instid0(VALU_DEP_1)
	v_fma_f64 v[50:51], s[14:15], v[60:61], v[48:49]
	s_cbranch_execnz .LBB49_26
.LBB49_25:                              ;   in Loop: Header=BB49_4 Depth=1
	s_delay_alu instid0(VALU_DEP_1)
	v_add_f64_e32 v[50:51], v[48:49], v[60:61]
.LBB49_26:                              ;   in Loop: Header=BB49_4 Depth=1
	v_div_scale_f64 v[48:49], null, v[56:57], v[56:57], v[58:59]
	s_delay_alu instid0(VALU_DEP_1) | instskip(SKIP_1) | instid1(TRANS32_DEP_1)
	v_rcp_f64_e32 v[60:61], v[48:49]
	v_nop
	v_fma_f64 v[62:63], -v[48:49], v[60:61], 1.0
	s_delay_alu instid0(VALU_DEP_1) | instskip(NEXT) | instid1(VALU_DEP_1)
	v_fmac_f64_e32 v[60:61], v[60:61], v[62:63]
	v_fma_f64 v[62:63], -v[48:49], v[60:61], 1.0
	s_delay_alu instid0(VALU_DEP_1) | instskip(SKIP_1) | instid1(VALU_DEP_1)
	v_fmac_f64_e32 v[60:61], v[60:61], v[62:63]
	v_div_scale_f64 v[62:63], vcc_lo, v[58:59], v[56:57], v[58:59]
	v_mul_f64_e32 v[66:67], v[62:63], v[60:61]
	s_delay_alu instid0(VALU_DEP_1) | instskip(NEXT) | instid1(VALU_DEP_1)
	v_fma_f64 v[48:49], -v[48:49], v[66:67], v[62:63]
	v_div_fmas_f64 v[48:49], v[48:49], v[60:61], v[66:67]
	s_and_not1_b32 vcc_lo, exec_lo, s26
	s_delay_alu instid0(VALU_DEP_1)
	v_div_fixup_f64 v[56:57], v[48:49], v[56:57], v[58:59]
	s_cbranch_vccnz .LBB49_42
; %bb.27:                               ;   in Loop: Header=BB49_4 Depth=1
	s_delay_alu instid0(VALU_DEP_1)
	v_fma_f64 v[48:49], s[14:15], v[56:57], v[46:47]
	s_cbranch_execnz .LBB49_29
.LBB49_28:                              ;   in Loop: Header=BB49_4 Depth=1
	s_delay_alu instid0(VALU_DEP_1)
	v_add_f64_e32 v[48:49], v[46:47], v[56:57]
.LBB49_29:                              ;   in Loop: Header=BB49_4 Depth=1
	v_div_scale_f64 v[46:47], null, v[52:53], v[52:53], v[54:55]
	s_delay_alu instid0(VALU_DEP_1) | instskip(SKIP_1) | instid1(TRANS32_DEP_1)
	v_rcp_f64_e32 v[56:57], v[46:47]
	v_nop
	v_fma_f64 v[58:59], -v[46:47], v[56:57], 1.0
	s_delay_alu instid0(VALU_DEP_1) | instskip(NEXT) | instid1(VALU_DEP_1)
	v_fmac_f64_e32 v[56:57], v[56:57], v[58:59]
	v_fma_f64 v[58:59], -v[46:47], v[56:57], 1.0
	s_delay_alu instid0(VALU_DEP_1) | instskip(SKIP_1) | instid1(VALU_DEP_1)
	v_fmac_f64_e32 v[56:57], v[56:57], v[58:59]
	v_div_scale_f64 v[58:59], vcc_lo, v[54:55], v[52:53], v[54:55]
	v_mul_f64_e32 v[60:61], v[58:59], v[56:57]
	s_delay_alu instid0(VALU_DEP_1) | instskip(NEXT) | instid1(VALU_DEP_1)
	v_fma_f64 v[46:47], -v[46:47], v[60:61], v[58:59]
	v_div_fmas_f64 v[46:47], v[46:47], v[56:57], v[60:61]
	s_and_not1_b32 vcc_lo, exec_lo, s26
	s_delay_alu instid0(VALU_DEP_1)
	v_div_fixup_f64 v[52:53], v[46:47], v[52:53], v[54:55]
	s_cbranch_vccnz .LBB49_43
; %bb.30:                               ;   in Loop: Header=BB49_4 Depth=1
	s_delay_alu instid0(VALU_DEP_1)
	v_fma_f64 v[46:47], s[14:15], v[52:53], v[44:45]
	s_cbranch_execnz .LBB49_32
.LBB49_31:                              ;   in Loop: Header=BB49_4 Depth=1
	s_delay_alu instid0(VALU_DEP_1)
	v_add_f64_e32 v[46:47], v[44:45], v[52:53]
.LBB49_32:                              ;   in Loop: Header=BB49_4 Depth=1
	s_and_saveexec_b32 s27, s2
	s_delay_alu instid0(SALU_CYCLE_1)
	s_xor_b32 s2, exec_lo, s27
	s_cbranch_execnz .LBB49_36
; %bb.33:                               ;   in Loop: Header=BB49_4 Depth=1
	s_or_b32 exec_lo, exec_lo, s2
	s_and_saveexec_b32 s2, s3
	s_cbranch_execnz .LBB49_37
.LBB49_34:                              ;   in Loop: Header=BB49_4 Depth=1
	s_or_b32 exec_lo, exec_lo, s2
	s_and_saveexec_b32 s2, s4
	s_cbranch_execnz .LBB49_38
.LBB49_35:                              ;   in Loop: Header=BB49_4 Depth=1
	s_or_b32 exec_lo, exec_lo, s2
	s_and_saveexec_b32 s2, s5
	s_cbranch_execz .LBB49_3
	s_branch .LBB49_39
.LBB49_36:                              ;   in Loop: Header=BB49_4 Depth=1
	v_add_nc_u64_e32 v[44:45], s[16:17], v[14:15]
	global_store_b64 v[44:45], v[64:65], off
	s_wait_xcnt 0x0
	s_or_b32 exec_lo, exec_lo, s2
	s_and_saveexec_b32 s2, s3
	s_cbranch_execz .LBB49_34
.LBB49_37:                              ;   in Loop: Header=BB49_4 Depth=1
	v_add_nc_u64_e32 v[44:45], s[16:17], v[42:43]
	global_store_b64 v[44:45], v[50:51], off
	s_wait_xcnt 0x0
	s_or_b32 exec_lo, exec_lo, s2
	s_and_saveexec_b32 s2, s4
	s_cbranch_execz .LBB49_35
.LBB49_38:                              ;   in Loop: Header=BB49_4 Depth=1
	v_add_nc_u64_e32 v[44:45], s[16:17], v[26:27]
	global_store_b64 v[44:45], v[48:49], off
	s_wait_xcnt 0x0
	s_or_b32 exec_lo, exec_lo, s2
	s_and_saveexec_b32 s2, s5
	s_cbranch_execz .LBB49_3
.LBB49_39:                              ;   in Loop: Header=BB49_4 Depth=1
	v_add_nc_u64_e32 v[44:45], s[16:17], v[34:35]
	global_store_b64 v[44:45], v[46:47], off
	s_branch .LBB49_3
.LBB49_40:                              ;   in Loop: Header=BB49_4 Depth=1
                                        ; implicit-def: $vgpr64_vgpr65
	s_branch .LBB49_22
.LBB49_41:                              ;   in Loop: Header=BB49_4 Depth=1
                                        ; implicit-def: $vgpr50_vgpr51
	s_branch .LBB49_25
.LBB49_42:                              ;   in Loop: Header=BB49_4 Depth=1
                                        ; implicit-def: $vgpr48_vgpr49
	s_branch .LBB49_28
.LBB49_43:                              ;   in Loop: Header=BB49_4 Depth=1
                                        ; implicit-def: $vgpr46_vgpr47
	s_branch .LBB49_31
.LBB49_44:
	s_mov_b32 s24, 0
.LBB49_45:
	s_delay_alu instid0(SALU_CYCLE_1)
	s_and_not1_b32 vcc_lo, exec_lo, s24
	s_cbranch_vccnz .LBB49_65
; %bb.46:
	v_min_i64 v[26:27], 0x10000, s[18:19]
	v_dual_mov_b32 v29, 0 :: v_dual_lshlrev_b32 v28, 2, v0
	s_mov_b32 s2, exec_lo
	s_delay_alu instid0(VALU_DEP_1)
	v_cmpx_lt_i64_e64 v[28:29], v[26:27]
	s_cbranch_execz .LBB49_65
; %bb.47:
	v_cmp_neq_f64_e64 s4, s[14:15], 1.0
	s_load_b32 s0, s[0:1], 0xc04
	v_dual_mov_b32 v1, v29 :: v_dual_lshlrev_b32 v28, 5, v0
	s_wait_xcnt 0x0
	s_mov_b32 s1, 0
	s_delay_alu instid0(SALU_CYCLE_1) | instskip(SKIP_3) | instid1(SALU_CYCLE_1)
	s_mov_b32 s3, s1
	s_mov_b32 s5, s1
	s_wait_kmcnt 0x0
	s_and_b32 s0, s0, 0xffff
	s_lshl_b32 s2, s0, 5
	s_branch .LBB49_49
.LBB49_48:                              ;   in Loop: Header=BB49_49 Depth=1
	v_add_nc_u64_e32 v[0:1], s[0:1], v[0:1]
	s_add_nc_u64 s[6:7], s[6:7], s[2:3]
	s_add_nc_u64 s[10:11], s[10:11], s[2:3]
	;; [unrolled: 1-line block ×3, first 2 shown]
	s_delay_alu instid0(VALU_DEP_1) | instskip(NEXT) | instid1(VALU_DEP_1)
	v_lshlrev_b64_e32 v[6:7], 2, v[0:1]
	v_cmp_ge_i64_e32 vcc_lo, v[6:7], v[26:27]
	v_add_nc_u64_e32 v[6:7], s[12:13], v[28:29]
	s_add_nc_u64 s[12:13], s[12:13], s[2:3]
	s_clause 0x1
	global_store_b128 v[6:7], v[2:5], off
	global_store_b128 v[6:7], v[10:13], off offset:16
	s_or_b32 s5, vcc_lo, s5
	s_wait_xcnt 0x0
	s_and_not1_b32 exec_lo, exec_lo, s5
	s_cbranch_execz .LBB49_65
.LBB49_49:                              ; =>This Inner Loop Header: Depth=1
	v_add_nc_u64_e32 v[30:31], s[8:9], v[28:29]
	v_add_nc_u64_e32 v[32:33], s[10:11], v[28:29]
	;; [unrolled: 1-line block ×3, first 2 shown]
	global_load_b128 v[2:5], v[30:31], off
	global_load_b128 v[22:25], v[32:33], off
	global_load_b128 v[10:13], v[30:31], off offset:16
	global_load_b128 v[14:17], v[32:33], off offset:16
	s_clause 0x1
	global_load_b128 v[6:9], v[34:35], off offset:16
	global_load_b128 v[18:21], v[34:35], off
	s_wait_loadcnt 0x4
	v_div_scale_f64 v[36:37], null, v[22:23], v[22:23], v[2:3]
	s_wait_xcnt 0x3
	s_delay_alu instid0(VALU_DEP_1) | instskip(SKIP_2) | instid1(TRANS32_DEP_1)
	v_rcp_f64_e32 v[30:31], v[36:37]
	s_wait_xcnt 0x2
	v_nop
	v_fma_f64 v[32:33], -v[36:37], v[30:31], 1.0
	s_delay_alu instid0(VALU_DEP_1) | instskip(NEXT) | instid1(VALU_DEP_1)
	v_fmac_f64_e32 v[30:31], v[30:31], v[32:33]
	v_fma_f64 v[32:33], -v[36:37], v[30:31], 1.0
	s_delay_alu instid0(VALU_DEP_1) | instskip(SKIP_2) | instid1(VALU_DEP_1)
	v_fmac_f64_e32 v[30:31], v[30:31], v[32:33]
	v_div_scale_f64 v[32:33], vcc_lo, v[2:3], v[22:23], v[2:3]
	s_wait_xcnt 0x0
	v_mul_f64_e32 v[34:35], v[32:33], v[30:31]
	s_delay_alu instid0(VALU_DEP_1) | instskip(NEXT) | instid1(VALU_DEP_1)
	v_fma_f64 v[32:33], -v[36:37], v[34:35], v[32:33]
	v_div_fmas_f64 v[30:31], v[32:33], v[30:31], v[34:35]
	s_and_b32 vcc_lo, exec_lo, s4
	s_delay_alu instid0(VALU_DEP_1)
	v_div_fixup_f64 v[22:23], v[30:31], v[22:23], v[2:3]
	s_cbranch_vccz .LBB49_60
; %bb.50:                               ;   in Loop: Header=BB49_49 Depth=1
	s_wait_loadcnt 0x0
	s_delay_alu instid0(VALU_DEP_1)
	v_fma_f64 v[2:3], s[14:15], v[22:23], v[18:19]
	s_cbranch_execnz .LBB49_52
.LBB49_51:                              ;   in Loop: Header=BB49_49 Depth=1
	s_wait_loadcnt 0x0
	s_delay_alu instid0(VALU_DEP_1)
	v_add_f64_e32 v[2:3], v[18:19], v[22:23]
.LBB49_52:                              ;   in Loop: Header=BB49_49 Depth=1
	s_wait_loadcnt 0x0
	v_div_scale_f64 v[18:19], null, v[24:25], v[24:25], v[4:5]
	s_delay_alu instid0(VALU_DEP_1) | instskip(SKIP_1) | instid1(TRANS32_DEP_1)
	v_rcp_f64_e32 v[22:23], v[18:19]
	v_nop
	v_fma_f64 v[30:31], -v[18:19], v[22:23], 1.0
	s_delay_alu instid0(VALU_DEP_1) | instskip(NEXT) | instid1(VALU_DEP_1)
	v_fmac_f64_e32 v[22:23], v[22:23], v[30:31]
	v_fma_f64 v[30:31], -v[18:19], v[22:23], 1.0
	s_delay_alu instid0(VALU_DEP_1) | instskip(SKIP_1) | instid1(VALU_DEP_1)
	v_fmac_f64_e32 v[22:23], v[22:23], v[30:31]
	v_div_scale_f64 v[30:31], vcc_lo, v[4:5], v[24:25], v[4:5]
	v_mul_f64_e32 v[32:33], v[30:31], v[22:23]
	s_delay_alu instid0(VALU_DEP_1) | instskip(NEXT) | instid1(VALU_DEP_1)
	v_fma_f64 v[18:19], -v[18:19], v[32:33], v[30:31]
	v_div_fmas_f64 v[18:19], v[18:19], v[22:23], v[32:33]
	s_and_not1_b32 vcc_lo, exec_lo, s4
	s_delay_alu instid0(VALU_DEP_1)
	v_div_fixup_f64 v[18:19], v[18:19], v[24:25], v[4:5]
	s_cbranch_vccnz .LBB49_61
; %bb.53:                               ;   in Loop: Header=BB49_49 Depth=1
	s_delay_alu instid0(VALU_DEP_1)
	v_fma_f64 v[4:5], s[14:15], v[18:19], v[20:21]
	s_cbranch_execnz .LBB49_55
.LBB49_54:                              ;   in Loop: Header=BB49_49 Depth=1
	s_delay_alu instid0(VALU_DEP_1)
	v_add_f64_e32 v[4:5], v[20:21], v[18:19]
.LBB49_55:                              ;   in Loop: Header=BB49_49 Depth=1
	v_div_scale_f64 v[18:19], null, v[14:15], v[14:15], v[10:11]
	s_delay_alu instid0(VALU_DEP_1) | instskip(SKIP_1) | instid1(TRANS32_DEP_1)
	v_rcp_f64_e32 v[20:21], v[18:19]
	v_nop
	v_fma_f64 v[22:23], -v[18:19], v[20:21], 1.0
	s_delay_alu instid0(VALU_DEP_1) | instskip(NEXT) | instid1(VALU_DEP_1)
	v_fmac_f64_e32 v[20:21], v[20:21], v[22:23]
	v_fma_f64 v[22:23], -v[18:19], v[20:21], 1.0
	s_delay_alu instid0(VALU_DEP_1) | instskip(SKIP_1) | instid1(VALU_DEP_1)
	v_fmac_f64_e32 v[20:21], v[20:21], v[22:23]
	v_div_scale_f64 v[22:23], vcc_lo, v[10:11], v[14:15], v[10:11]
	v_mul_f64_e32 v[24:25], v[22:23], v[20:21]
	s_delay_alu instid0(VALU_DEP_1) | instskip(NEXT) | instid1(VALU_DEP_1)
	v_fma_f64 v[18:19], -v[18:19], v[24:25], v[22:23]
	v_div_fmas_f64 v[18:19], v[18:19], v[20:21], v[24:25]
	s_and_not1_b32 vcc_lo, exec_lo, s4
	s_delay_alu instid0(VALU_DEP_1)
	v_div_fixup_f64 v[14:15], v[18:19], v[14:15], v[10:11]
	s_cbranch_vccnz .LBB49_62
; %bb.56:                               ;   in Loop: Header=BB49_49 Depth=1
	s_delay_alu instid0(VALU_DEP_1)
	v_fma_f64 v[10:11], s[14:15], v[14:15], v[6:7]
	s_cbranch_execnz .LBB49_58
.LBB49_57:                              ;   in Loop: Header=BB49_49 Depth=1
	s_delay_alu instid0(VALU_DEP_1)
	v_add_f64_e32 v[10:11], v[6:7], v[14:15]
.LBB49_58:                              ;   in Loop: Header=BB49_49 Depth=1
	v_div_scale_f64 v[6:7], null, v[16:17], v[16:17], v[12:13]
	s_delay_alu instid0(VALU_DEP_1) | instskip(SKIP_1) | instid1(TRANS32_DEP_1)
	v_rcp_f64_e32 v[14:15], v[6:7]
	v_nop
	v_fma_f64 v[18:19], -v[6:7], v[14:15], 1.0
	s_delay_alu instid0(VALU_DEP_1) | instskip(NEXT) | instid1(VALU_DEP_1)
	v_fmac_f64_e32 v[14:15], v[14:15], v[18:19]
	v_fma_f64 v[18:19], -v[6:7], v[14:15], 1.0
	s_delay_alu instid0(VALU_DEP_1) | instskip(SKIP_1) | instid1(VALU_DEP_1)
	v_fmac_f64_e32 v[14:15], v[14:15], v[18:19]
	v_div_scale_f64 v[18:19], vcc_lo, v[12:13], v[16:17], v[12:13]
	v_mul_f64_e32 v[20:21], v[18:19], v[14:15]
	s_delay_alu instid0(VALU_DEP_1) | instskip(NEXT) | instid1(VALU_DEP_1)
	v_fma_f64 v[6:7], -v[6:7], v[20:21], v[18:19]
	v_div_fmas_f64 v[6:7], v[6:7], v[14:15], v[20:21]
	s_and_not1_b32 vcc_lo, exec_lo, s4
	s_delay_alu instid0(VALU_DEP_1)
	v_div_fixup_f64 v[6:7], v[6:7], v[16:17], v[12:13]
	s_cbranch_vccnz .LBB49_63
; %bb.59:                               ;   in Loop: Header=BB49_49 Depth=1
	s_delay_alu instid0(VALU_DEP_1)
	v_fma_f64 v[12:13], s[14:15], v[6:7], v[8:9]
	s_cbranch_execnz .LBB49_48
	s_branch .LBB49_64
.LBB49_60:                              ;   in Loop: Header=BB49_49 Depth=1
                                        ; implicit-def: $vgpr2_vgpr3
	s_branch .LBB49_51
.LBB49_61:                              ;   in Loop: Header=BB49_49 Depth=1
	s_branch .LBB49_54
.LBB49_62:                              ;   in Loop: Header=BB49_49 Depth=1
                                        ; implicit-def: $vgpr10_vgpr11
	s_branch .LBB49_57
.LBB49_63:                              ;   in Loop: Header=BB49_49 Depth=1
.LBB49_64:                              ;   in Loop: Header=BB49_49 Depth=1
	s_delay_alu instid0(VALU_DEP_1)
	v_add_f64_e32 v[12:13], v[8:9], v[6:7]
	s_branch .LBB49_48
.LBB49_65:
	s_sendmsg sendmsg(MSG_DEALLOC_VGPRS)
	s_endpgm
	.section	.rodata,"a",@progbits
	.p2align	6, 0x0
	.amdhsa_kernel _ZN2at6native12_GLOBAL__N_125multi_tensor_apply_kernelINS1_18TensorListMetadataILi4EEENS1_24PointwiseOpScalarFunctorIdLi4ELi3ELi3EEEJSt7dividesIdEdEEEvT_T0_DpT1_
		.amdhsa_group_segment_fixed_size 0
		.amdhsa_private_segment_fixed_size 0
		.amdhsa_kernarg_size 3320
		.amdhsa_user_sgpr_count 2
		.amdhsa_user_sgpr_dispatch_ptr 0
		.amdhsa_user_sgpr_queue_ptr 0
		.amdhsa_user_sgpr_kernarg_segment_ptr 1
		.amdhsa_user_sgpr_dispatch_id 0
		.amdhsa_user_sgpr_kernarg_preload_length 0
		.amdhsa_user_sgpr_kernarg_preload_offset 0
		.amdhsa_user_sgpr_private_segment_size 0
		.amdhsa_wavefront_size32 1
		.amdhsa_uses_dynamic_stack 0
		.amdhsa_enable_private_segment 0
		.amdhsa_system_sgpr_workgroup_id_x 1
		.amdhsa_system_sgpr_workgroup_id_y 0
		.amdhsa_system_sgpr_workgroup_id_z 0
		.amdhsa_system_sgpr_workgroup_info 0
		.amdhsa_system_vgpr_workitem_id 0
		.amdhsa_next_free_vgpr 76
		.amdhsa_next_free_sgpr 36
		.amdhsa_named_barrier_count 0
		.amdhsa_reserve_vcc 1
		.amdhsa_float_round_mode_32 0
		.amdhsa_float_round_mode_16_64 0
		.amdhsa_float_denorm_mode_32 3
		.amdhsa_float_denorm_mode_16_64 3
		.amdhsa_fp16_overflow 0
		.amdhsa_memory_ordered 1
		.amdhsa_forward_progress 1
		.amdhsa_inst_pref_size 20
		.amdhsa_round_robin_scheduling 0
		.amdhsa_exception_fp_ieee_invalid_op 0
		.amdhsa_exception_fp_denorm_src 0
		.amdhsa_exception_fp_ieee_div_zero 0
		.amdhsa_exception_fp_ieee_overflow 0
		.amdhsa_exception_fp_ieee_underflow 0
		.amdhsa_exception_fp_ieee_inexact 0
		.amdhsa_exception_int_div_zero 0
	.end_amdhsa_kernel
	.section	.text._ZN2at6native12_GLOBAL__N_125multi_tensor_apply_kernelINS1_18TensorListMetadataILi4EEENS1_24PointwiseOpScalarFunctorIdLi4ELi3ELi3EEEJSt7dividesIdEdEEEvT_T0_DpT1_,"axG",@progbits,_ZN2at6native12_GLOBAL__N_125multi_tensor_apply_kernelINS1_18TensorListMetadataILi4EEENS1_24PointwiseOpScalarFunctorIdLi4ELi3ELi3EEEJSt7dividesIdEdEEEvT_T0_DpT1_,comdat
.Lfunc_end49:
	.size	_ZN2at6native12_GLOBAL__N_125multi_tensor_apply_kernelINS1_18TensorListMetadataILi4EEENS1_24PointwiseOpScalarFunctorIdLi4ELi3ELi3EEEJSt7dividesIdEdEEEvT_T0_DpT1_, .Lfunc_end49-_ZN2at6native12_GLOBAL__N_125multi_tensor_apply_kernelINS1_18TensorListMetadataILi4EEENS1_24PointwiseOpScalarFunctorIdLi4ELi3ELi3EEEJSt7dividesIdEdEEEvT_T0_DpT1_
                                        ; -- End function
	.set _ZN2at6native12_GLOBAL__N_125multi_tensor_apply_kernelINS1_18TensorListMetadataILi4EEENS1_24PointwiseOpScalarFunctorIdLi4ELi3ELi3EEEJSt7dividesIdEdEEEvT_T0_DpT1_.num_vgpr, 76
	.set _ZN2at6native12_GLOBAL__N_125multi_tensor_apply_kernelINS1_18TensorListMetadataILi4EEENS1_24PointwiseOpScalarFunctorIdLi4ELi3ELi3EEEJSt7dividesIdEdEEEvT_T0_DpT1_.num_agpr, 0
	.set _ZN2at6native12_GLOBAL__N_125multi_tensor_apply_kernelINS1_18TensorListMetadataILi4EEENS1_24PointwiseOpScalarFunctorIdLi4ELi3ELi3EEEJSt7dividesIdEdEEEvT_T0_DpT1_.numbered_sgpr, 36
	.set _ZN2at6native12_GLOBAL__N_125multi_tensor_apply_kernelINS1_18TensorListMetadataILi4EEENS1_24PointwiseOpScalarFunctorIdLi4ELi3ELi3EEEJSt7dividesIdEdEEEvT_T0_DpT1_.num_named_barrier, 0
	.set _ZN2at6native12_GLOBAL__N_125multi_tensor_apply_kernelINS1_18TensorListMetadataILi4EEENS1_24PointwiseOpScalarFunctorIdLi4ELi3ELi3EEEJSt7dividesIdEdEEEvT_T0_DpT1_.private_seg_size, 0
	.set _ZN2at6native12_GLOBAL__N_125multi_tensor_apply_kernelINS1_18TensorListMetadataILi4EEENS1_24PointwiseOpScalarFunctorIdLi4ELi3ELi3EEEJSt7dividesIdEdEEEvT_T0_DpT1_.uses_vcc, 1
	.set _ZN2at6native12_GLOBAL__N_125multi_tensor_apply_kernelINS1_18TensorListMetadataILi4EEENS1_24PointwiseOpScalarFunctorIdLi4ELi3ELi3EEEJSt7dividesIdEdEEEvT_T0_DpT1_.uses_flat_scratch, 0
	.set _ZN2at6native12_GLOBAL__N_125multi_tensor_apply_kernelINS1_18TensorListMetadataILi4EEENS1_24PointwiseOpScalarFunctorIdLi4ELi3ELi3EEEJSt7dividesIdEdEEEvT_T0_DpT1_.has_dyn_sized_stack, 0
	.set _ZN2at6native12_GLOBAL__N_125multi_tensor_apply_kernelINS1_18TensorListMetadataILi4EEENS1_24PointwiseOpScalarFunctorIdLi4ELi3ELi3EEEJSt7dividesIdEdEEEvT_T0_DpT1_.has_recursion, 0
	.set _ZN2at6native12_GLOBAL__N_125multi_tensor_apply_kernelINS1_18TensorListMetadataILi4EEENS1_24PointwiseOpScalarFunctorIdLi4ELi3ELi3EEEJSt7dividesIdEdEEEvT_T0_DpT1_.has_indirect_call, 0
	.section	.AMDGPU.csdata,"",@progbits
; Kernel info:
; codeLenInByte = 2560
; TotalNumSgprs: 38
; NumVgprs: 76
; ScratchSize: 0
; MemoryBound: 1
; FloatMode: 240
; IeeeMode: 1
; LDSByteSize: 0 bytes/workgroup (compile time only)
; SGPRBlocks: 0
; VGPRBlocks: 4
; NumSGPRsForWavesPerEU: 38
; NumVGPRsForWavesPerEU: 76
; NamedBarCnt: 0
; Occupancy: 12
; WaveLimiterHint : 0
; COMPUTE_PGM_RSRC2:SCRATCH_EN: 0
; COMPUTE_PGM_RSRC2:USER_SGPR: 2
; COMPUTE_PGM_RSRC2:TRAP_HANDLER: 0
; COMPUTE_PGM_RSRC2:TGID_X_EN: 1
; COMPUTE_PGM_RSRC2:TGID_Y_EN: 0
; COMPUTE_PGM_RSRC2:TGID_Z_EN: 0
; COMPUTE_PGM_RSRC2:TIDIG_COMP_CNT: 0
	.section	.text._ZN2at6native12_GLOBAL__N_125multi_tensor_apply_kernelINS1_18TensorListMetadataILi4EEENS1_24PointwiseOpScalarFunctorIfLi4ELi3ELi3EEEJSt7dividesIfEfEEEvT_T0_DpT1_,"axG",@progbits,_ZN2at6native12_GLOBAL__N_125multi_tensor_apply_kernelINS1_18TensorListMetadataILi4EEENS1_24PointwiseOpScalarFunctorIfLi4ELi3ELi3EEEJSt7dividesIfEfEEEvT_T0_DpT1_,comdat
	.globl	_ZN2at6native12_GLOBAL__N_125multi_tensor_apply_kernelINS1_18TensorListMetadataILi4EEENS1_24PointwiseOpScalarFunctorIfLi4ELi3ELi3EEEJSt7dividesIfEfEEEvT_T0_DpT1_ ; -- Begin function _ZN2at6native12_GLOBAL__N_125multi_tensor_apply_kernelINS1_18TensorListMetadataILi4EEENS1_24PointwiseOpScalarFunctorIfLi4ELi3ELi3EEEJSt7dividesIfEfEEEvT_T0_DpT1_
	.p2align	8
	.type	_ZN2at6native12_GLOBAL__N_125multi_tensor_apply_kernelINS1_18TensorListMetadataILi4EEENS1_24PointwiseOpScalarFunctorIfLi4ELi3ELi3EEEJSt7dividesIfEfEEEvT_T0_DpT1_,@function
_ZN2at6native12_GLOBAL__N_125multi_tensor_apply_kernelINS1_18TensorListMetadataILi4EEENS1_24PointwiseOpScalarFunctorIfLi4ELi3ELi3EEEJSt7dividesIfEfEEEvT_T0_DpT1_: ; @_ZN2at6native12_GLOBAL__N_125multi_tensor_apply_kernelINS1_18TensorListMetadataILi4EEENS1_24PointwiseOpScalarFunctorIfLi4ELi3ELi3EEEJSt7dividesIfEfEEEvT_T0_DpT1_
; %bb.0:
	s_bfe_u32 s2, ttmp6, 0x4000c
	s_and_b32 s3, ttmp6, 15
	s_add_co_i32 s2, s2, 1
	s_getreg_b32 s4, hwreg(HW_REG_IB_STS2, 6, 4)
	s_mul_i32 s2, ttmp9, s2
	s_delay_alu instid0(SALU_CYCLE_1)
	s_add_co_i32 s3, s3, s2
	s_cmp_eq_u32 s4, 0
	s_cselect_b32 s2, ttmp9, s3
	s_mov_b32 s3, 0
	s_load_u8 s14, s[0:1], s2 offset:0x5a0
	s_add_nc_u64 s[4:5], s[0:1], s[2:3]
	s_mul_u64 s[6:7], s[2:3], 3
	s_delay_alu instid0(SALU_CYCLE_1)
	s_add_nc_u64 s[4:5], s[4:5], s[6:7]
	s_load_b32 s18, s[4:5], 0x6e0
	s_wait_kmcnt 0x0
	s_clause 0x4
	s_load_b64 s[10:11], s[0:1], s14 offset:0x120 scale_offset
	s_load_b64 s[12:13], s[0:1], s14 offset:0x0 scale_offset
	;; [unrolled: 1-line block ×5, first 2 shown]
	s_ashr_i32 s19, s18, 31
	s_wait_xcnt 0x0
	s_lshl_b64 s[14:15], s[18:19], 18
	s_wait_kmcnt 0x0
	s_add_nc_u64 s[4:5], s[10:11], s[14:15]
	s_add_nc_u64 s[16:17], s[6:7], s[14:15]
	s_and_b32 s2, s4, 15
	s_and_b64 s[4:5], s[12:13], 15
	s_cmp_eq_u64 s[2:3], 0
	s_cselect_b32 s17, -1, 0
	s_or_b32 s2, s8, s16
	s_load_b32 s16, s[0:1], 0xbec
	s_and_b32 s2, s2, 15
	s_delay_alu instid0(SALU_CYCLE_1)
	s_cmp_eq_u32 s2, 0
	s_cselect_b32 s22, -1, 0
	s_and_b32 s2, s20, 3
	s_and_b32 s17, s22, s17
	s_or_b64 s[2:3], s[4:5], s[2:3]
	s_lshl_b64 s[4:5], s[18:19], 16
	s_cmp_eq_u64 s[2:3], 0
	s_sub_nc_u64 s[18:19], s[20:21], s[4:5]
	s_cselect_b32 s2, -1, 0
	s_delay_alu instid0(SALU_CYCLE_1) | instskip(NEXT) | instid1(SALU_CYCLE_1)
	s_and_b32 s2, s17, s2
	s_and_b32 vcc_lo, exec_lo, s2
	s_mov_b32 s2, -1
	s_cbranch_vccnz .LBB50_29
; %bb.1:
	v_cmp_lt_i64_e64 s2, s[18:19], 1
	s_and_b32 vcc_lo, exec_lo, s2
	s_cbranch_vccnz .LBB50_28
; %bb.2:
	s_load_b32 s2, s[0:1], 0xbfc
	v_min_i64 v[2:3], 0x10000, s[18:19]
	v_min_u64 v[4:5], 0x10000, s[18:19]
	v_dual_mov_b32 v1, 0 :: v_dual_lshlrev_b32 v20, 2, v0
	s_mov_b32 s23, 0
	s_mov_b64 s[24:25], 0
	s_mov_b32 s3, s23
	s_delay_alu instid0(VALU_DEP_1) | instskip(SKIP_2) | instid1(VALU_DEP_1)
	v_dual_mov_b32 v21, v1 :: v_dual_mov_b32 v43, v1
	s_mov_b32 s21, s23
	s_mov_b32 s5, s23
	v_add_nc_u64_e32 v[6:7], s[12:13], v[20:21]
	v_add_nc_u64_e32 v[8:9], s[10:11], v[20:21]
	;; [unrolled: 1-line block ×4, first 2 shown]
	s_wait_kmcnt 0x0
	s_and_b32 s22, s2, 0xffff
	s_delay_alu instid0(SALU_CYCLE_1)
	s_lshl_b32 s4, s22, 1
	s_cmp_eq_f32 s16, 1.0
	v_add_nc_u64_e32 v[12:13], s[22:23], v[0:1]
	v_mad_nc_u64_u32 v[26:27], s22, 12, v[20:21]
	s_mul_i32 s2, s22, 3
	v_add_nc_u64_e32 v[18:19], s[4:5], v[0:1]
	v_add_nc_u64_e32 v[16:17], s[2:3], v[0:1]
	s_cselect_b32 s2, -1, 0
	s_lshl_b32 s20, s22, 3
	v_lshlrev_b32_e32 v42, 2, v12
	v_add_nc_u64_e32 v[38:39], s[20:21], v[20:21]
	s_lshl_b32 s20, s22, 2
	s_lshl_b32 s22, s22, 4
	v_add_nc_u64_e32 v[20:21], s[12:13], v[26:27]
	v_add_nc_u64_e32 v[22:23], s[10:11], v[26:27]
	;; [unrolled: 1-line block ×12, first 2 shown]
	s_branch .LBB50_4
.LBB50_3:                               ;   in Loop: Header=BB50_4 Depth=1
	s_wait_xcnt 0x0
	s_or_b32 exec_lo, exec_lo, s3
	s_add_nc_u64 s[24:25], s[24:25], s[20:21]
	v_add_nc_u64_e32 v[6:7], s[22:23], v[6:7]
	v_cmp_lt_i64_e32 vcc_lo, s[24:25], v[2:3]
	v_add_nc_u64_e32 v[8:9], s[22:23], v[8:9]
	v_add_nc_u64_e32 v[10:11], s[22:23], v[10:11]
	;; [unrolled: 1-line block ×15, first 2 shown]
	s_cbranch_vccz .LBB50_28
.LBB50_4:                               ; =>This Inner Loop Header: Depth=1
	s_wait_loadcnt 0x0
	v_add_nc_u64_e32 v[44:45], s[24:25], v[0:1]
	v_mov_b32_e32 v47, 0
	s_delay_alu instid0(VALU_DEP_2)
	v_cmp_lt_u64_e32 vcc_lo, v[44:45], v[4:5]
	v_mov_b32_e32 v45, 0
	s_and_saveexec_b32 s3, vcc_lo
	s_cbranch_execz .LBB50_6
; %bb.5:                                ;   in Loop: Header=BB50_4 Depth=1
	v_add_nc_u64_e32 v[48:49], s[14:15], v[6:7]
	v_add_nc_u64_e32 v[50:51], s[14:15], v[8:9]
	global_load_b32 v45, v[48:49], off
	global_load_b32 v47, v[50:51], off
.LBB50_6:                               ;   in Loop: Header=BB50_4 Depth=1
	s_wait_xcnt 0x0
	s_or_b32 exec_lo, exec_lo, s3
	v_dual_mov_b32 v44, 0 :: v_dual_mov_b32 v52, 0
	s_and_saveexec_b32 s3, vcc_lo
	s_cbranch_execz .LBB50_8
; %bb.7:                                ;   in Loop: Header=BB50_4 Depth=1
	v_add_nc_u64_e32 v[48:49], s[14:15], v[10:11]
	global_load_b32 v52, v[48:49], off
.LBB50_8:                               ;   in Loop: Header=BB50_4 Depth=1
	s_wait_xcnt 0x0
	s_or_b32 exec_lo, exec_lo, s3
	v_add_nc_u64_e32 v[48:49], s[24:25], v[12:13]
	s_delay_alu instid0(VALU_DEP_1)
	v_cmp_lt_u64_e64 s3, v[48:49], v[4:5]
	v_mov_b32_e32 v48, 0
	s_and_saveexec_b32 s4, s3
	s_cbranch_execz .LBB50_10
; %bb.9:                                ;   in Loop: Header=BB50_4 Depth=1
	v_add_nc_u64_e32 v[50:51], s[14:15], v[28:29]
	v_add_nc_u64_e32 v[54:55], s[14:15], v[30:31]
	global_load_b32 v48, v[50:51], off
	global_load_b32 v44, v[54:55], off
.LBB50_10:                              ;   in Loop: Header=BB50_4 Depth=1
	s_wait_xcnt 0x0
	s_or_b32 exec_lo, exec_lo, s4
	v_dual_mov_b32 v46, 0 :: v_dual_mov_b32 v53, 0
	s_and_saveexec_b32 s4, s3
	s_cbranch_execz .LBB50_12
; %bb.11:                               ;   in Loop: Header=BB50_4 Depth=1
	v_add_nc_u64_e32 v[50:51], s[14:15], v[40:41]
	global_load_b32 v53, v[50:51], off
.LBB50_12:                              ;   in Loop: Header=BB50_4 Depth=1
	s_wait_xcnt 0x0
	s_or_b32 exec_lo, exec_lo, s4
	v_add_nc_u64_e32 v[50:51], s[24:25], v[18:19]
	s_delay_alu instid0(VALU_DEP_1)
	v_cmp_lt_u64_e64 s4, v[50:51], v[4:5]
	v_mov_b32_e32 v50, 0
	s_and_saveexec_b32 s5, s4
	s_cbranch_execz .LBB50_14
; %bb.13:                               ;   in Loop: Header=BB50_4 Depth=1
	v_add_nc_u64_e32 v[54:55], s[14:15], v[32:33]
	v_add_nc_u64_e32 v[56:57], s[14:15], v[34:35]
	global_load_b32 v50, v[54:55], off
	global_load_b32 v46, v[56:57], off
.LBB50_14:                              ;   in Loop: Header=BB50_4 Depth=1
	s_wait_xcnt 0x0
	s_or_b32 exec_lo, exec_lo, s5
	v_dual_mov_b32 v49, 0 :: v_dual_mov_b32 v54, 0
	s_and_saveexec_b32 s5, s4
	s_cbranch_execz .LBB50_16
; %bb.15:                               ;   in Loop: Header=BB50_4 Depth=1
	v_add_nc_u64_e32 v[54:55], s[14:15], v[36:37]
	global_load_b32 v54, v[54:55], off
.LBB50_16:                              ;   in Loop: Header=BB50_4 Depth=1
	s_wait_xcnt 0x0
	s_or_b32 exec_lo, exec_lo, s5
	v_add_nc_u64_e32 v[56:57], s[24:25], v[16:17]
	v_mov_b32_e32 v51, 0
	s_delay_alu instid0(VALU_DEP_2)
	v_cmp_lt_u64_e64 s5, v[56:57], v[4:5]
	s_and_saveexec_b32 s17, s5
	s_cbranch_execnz .LBB50_22
; %bb.17:                               ;   in Loop: Header=BB50_4 Depth=1
	s_or_b32 exec_lo, exec_lo, s17
	v_mov_b32_e32 v55, 0
	s_and_saveexec_b32 s17, s5
	s_cbranch_execnz .LBB50_23
.LBB50_18:                              ;   in Loop: Header=BB50_4 Depth=1
	s_or_b32 exec_lo, exec_lo, s17
	s_and_saveexec_b32 s17, vcc_lo
	s_cbranch_execnz .LBB50_24
.LBB50_19:                              ;   in Loop: Header=BB50_4 Depth=1
	s_or_b32 exec_lo, exec_lo, s17
	s_and_saveexec_b32 s17, s3
	s_cbranch_execnz .LBB50_25
.LBB50_20:                              ;   in Loop: Header=BB50_4 Depth=1
	s_or_b32 exec_lo, exec_lo, s17
	s_and_saveexec_b32 s3, s4
	s_cbranch_execnz .LBB50_26
.LBB50_21:                              ;   in Loop: Header=BB50_4 Depth=1
	s_or_b32 exec_lo, exec_lo, s3
	s_and_saveexec_b32 s3, s5
	s_cbranch_execz .LBB50_3
	s_branch .LBB50_27
.LBB50_22:                              ;   in Loop: Header=BB50_4 Depth=1
	v_add_nc_u64_e32 v[56:57], s[14:15], v[20:21]
	v_add_nc_u64_e32 v[58:59], s[14:15], v[22:23]
	global_load_b32 v51, v[56:57], off
	global_load_b32 v49, v[58:59], off
	s_wait_xcnt 0x0
	s_or_b32 exec_lo, exec_lo, s17
	v_mov_b32_e32 v55, 0
	s_and_saveexec_b32 s17, s5
	s_cbranch_execz .LBB50_18
.LBB50_23:                              ;   in Loop: Header=BB50_4 Depth=1
	v_add_nc_u64_e32 v[56:57], s[14:15], v[24:25]
	global_load_b32 v55, v[56:57], off
	s_wait_xcnt 0x0
	s_or_b32 exec_lo, exec_lo, s17
	s_and_saveexec_b32 s17, vcc_lo
	s_cbranch_execz .LBB50_19
.LBB50_24:                              ;   in Loop: Header=BB50_4 Depth=1
	s_wait_loadcnt 0x0
	v_div_scale_f32 v56, null, v52, v52, v47
	v_div_scale_f32 v59, vcc_lo, v47, v52, v47
	s_delay_alu instid0(VALU_DEP_2) | instskip(SKIP_1) | instid1(TRANS32_DEP_1)
	v_rcp_f32_e32 v57, v56
	v_nop
	v_fma_f32 v58, -v56, v57, 1.0
	s_delay_alu instid0(VALU_DEP_1) | instskip(NEXT) | instid1(VALU_DEP_1)
	v_fmac_f32_e32 v57, v58, v57
	v_mul_f32_e32 v58, v59, v57
	s_delay_alu instid0(VALU_DEP_1) | instskip(NEXT) | instid1(VALU_DEP_1)
	v_fma_f32 v60, -v56, v58, v59
	v_fmac_f32_e32 v58, v60, v57
	s_delay_alu instid0(VALU_DEP_1) | instskip(NEXT) | instid1(VALU_DEP_1)
	v_fma_f32 v56, -v56, v58, v59
	v_div_fmas_f32 v56, v56, v57, v58
	s_delay_alu instid0(VALU_DEP_1) | instskip(SKIP_1) | instid1(VALU_DEP_2)
	v_div_fixup_f32 v47, v56, v52, v47
	v_add_nc_u64_e32 v[56:57], s[14:15], v[14:15]
	v_dual_add_f32 v52, v45, v47 :: v_dual_fmac_f32 v45, s16, v47
	s_delay_alu instid0(VALU_DEP_1)
	v_cndmask_b32_e64 v45, v45, v52, s2
	global_store_b32 v[56:57], v45, off
	s_wait_xcnt 0x0
	s_or_b32 exec_lo, exec_lo, s17
	s_and_saveexec_b32 s17, s3
	s_cbranch_execz .LBB50_20
.LBB50_25:                              ;   in Loop: Header=BB50_4 Depth=1
	s_wait_loadcnt 0x0
	v_div_scale_f32 v45, null, v53, v53, v44
	v_div_scale_f32 v56, vcc_lo, v44, v53, v44
	s_delay_alu instid0(VALU_DEP_2) | instskip(SKIP_1) | instid1(TRANS32_DEP_1)
	v_rcp_f32_e32 v47, v45
	v_nop
	v_fma_f32 v52, -v45, v47, 1.0
	s_delay_alu instid0(VALU_DEP_1) | instskip(NEXT) | instid1(VALU_DEP_1)
	v_fmac_f32_e32 v47, v52, v47
	v_mul_f32_e32 v52, v56, v47
	s_delay_alu instid0(VALU_DEP_1) | instskip(NEXT) | instid1(VALU_DEP_1)
	v_fma_f32 v57, -v45, v52, v56
	v_fmac_f32_e32 v52, v57, v47
	s_delay_alu instid0(VALU_DEP_1) | instskip(NEXT) | instid1(VALU_DEP_1)
	v_fma_f32 v45, -v45, v52, v56
	v_div_fmas_f32 v45, v45, v47, v52
	s_delay_alu instid0(VALU_DEP_1) | instskip(NEXT) | instid1(VALU_DEP_1)
	v_div_fixup_f32 v44, v45, v53, v44
	v_dual_add_f32 v47, v48, v44 :: v_dual_fmac_f32 v48, s16, v44
	v_add_nc_u64_e32 v[44:45], s[14:15], v[42:43]
	s_delay_alu instid0(VALU_DEP_2)
	v_cndmask_b32_e64 v47, v48, v47, s2
	global_store_b32 v[44:45], v47, off
	s_wait_xcnt 0x0
	s_or_b32 exec_lo, exec_lo, s17
	s_and_saveexec_b32 s3, s4
	s_cbranch_execz .LBB50_21
.LBB50_26:                              ;   in Loop: Header=BB50_4 Depth=1
	s_wait_loadcnt 0x0
	v_div_scale_f32 v44, null, v54, v54, v46
	v_div_scale_f32 v48, vcc_lo, v46, v54, v46
	s_delay_alu instid0(VALU_DEP_2) | instskip(SKIP_1) | instid1(TRANS32_DEP_1)
	v_rcp_f32_e32 v45, v44
	v_nop
	v_fma_f32 v47, -v44, v45, 1.0
	s_delay_alu instid0(VALU_DEP_1) | instskip(NEXT) | instid1(VALU_DEP_1)
	v_fmac_f32_e32 v45, v47, v45
	v_mul_f32_e32 v47, v48, v45
	s_delay_alu instid0(VALU_DEP_1) | instskip(NEXT) | instid1(VALU_DEP_1)
	v_fma_f32 v52, -v44, v47, v48
	v_fmac_f32_e32 v47, v52, v45
	s_delay_alu instid0(VALU_DEP_1) | instskip(NEXT) | instid1(VALU_DEP_1)
	v_fma_f32 v44, -v44, v47, v48
	v_div_fmas_f32 v44, v44, v45, v47
	s_delay_alu instid0(VALU_DEP_1) | instskip(NEXT) | instid1(VALU_DEP_1)
	v_div_fixup_f32 v44, v44, v54, v46
	v_dual_add_f32 v46, v50, v44 :: v_dual_fmac_f32 v50, s16, v44
	v_add_nc_u64_e32 v[44:45], s[14:15], v[38:39]
	s_delay_alu instid0(VALU_DEP_2)
	v_cndmask_b32_e64 v46, v50, v46, s2
	global_store_b32 v[44:45], v46, off
	s_wait_xcnt 0x0
	s_or_b32 exec_lo, exec_lo, s3
	s_and_saveexec_b32 s3, s5
	s_cbranch_execz .LBB50_3
.LBB50_27:                              ;   in Loop: Header=BB50_4 Depth=1
	s_wait_loadcnt 0x0
	v_div_scale_f32 v44, null, v55, v55, v49
	v_div_scale_f32 v47, vcc_lo, v49, v55, v49
	s_delay_alu instid0(VALU_DEP_2) | instskip(SKIP_1) | instid1(TRANS32_DEP_1)
	v_rcp_f32_e32 v45, v44
	v_nop
	v_fma_f32 v46, -v44, v45, 1.0
	s_delay_alu instid0(VALU_DEP_1) | instskip(NEXT) | instid1(VALU_DEP_1)
	v_fmac_f32_e32 v45, v46, v45
	v_mul_f32_e32 v46, v47, v45
	s_delay_alu instid0(VALU_DEP_1) | instskip(NEXT) | instid1(VALU_DEP_1)
	v_fma_f32 v48, -v44, v46, v47
	v_fmac_f32_e32 v46, v48, v45
	s_delay_alu instid0(VALU_DEP_1) | instskip(NEXT) | instid1(VALU_DEP_1)
	v_fma_f32 v44, -v44, v46, v47
	v_div_fmas_f32 v44, v44, v45, v46
	s_delay_alu instid0(VALU_DEP_1) | instskip(NEXT) | instid1(VALU_DEP_1)
	v_div_fixup_f32 v44, v44, v55, v49
	v_dual_add_f32 v46, v51, v44 :: v_dual_fmac_f32 v51, s16, v44
	v_add_nc_u64_e32 v[44:45], s[14:15], v[26:27]
	s_delay_alu instid0(VALU_DEP_2)
	v_cndmask_b32_e64 v46, v51, v46, s2
	global_store_b32 v[44:45], v46, off
	s_branch .LBB50_3
.LBB50_28:
	s_mov_b32 s2, 0
.LBB50_29:
	s_delay_alu instid0(SALU_CYCLE_1)
	s_and_not1_b32 vcc_lo, exec_lo, s2
	s_cbranch_vccnz .LBB50_33
; %bb.30:
	v_min_i64 v[2:3], 0x10000, s[18:19]
	v_dual_mov_b32 v7, 0 :: v_dual_lshlrev_b32 v6, 2, v0
	s_mov_b32 s2, exec_lo
	s_delay_alu instid0(VALU_DEP_1)
	v_cmpx_lt_i64_e64 v[6:7], v[2:3]
	s_cbranch_execz .LBB50_33
; %bb.31:
	s_wait_xcnt 0x0
	s_load_b32 s1, s[0:1], 0xbfc
	v_dual_mov_b32 v1, v7 :: v_dual_lshlrev_b32 v6, 4, v0
	s_wait_kmcnt 0x0
	s_mov_b32 s17, s16
	s_cmp_eq_f32 s16, 1.0
	v_mov_b64_e32 v[4:5], s[16:17]
	s_mov_b32 s5, 0
	v_add_nc_u64_e32 v[6:7], s[14:15], v[6:7]
	s_cselect_b32 s0, -1, 0
	s_add_nc_u64 s[12:13], s[12:13], 8
	s_add_nc_u64 s[10:11], s[10:11], 8
	s_mov_b32 s15, s5
	s_mov_b32 s16, s5
	s_and_b32 s4, s1, 0xffff
	s_delay_alu instid0(SALU_CYCLE_1)
	s_lshl_b32 s14, s4, 4
.LBB50_32:                              ; =>This Inner Loop Header: Depth=1
	v_add_nc_u64_e32 v[16:17], s[10:11], v[6:7]
	v_add_nc_u64_e32 v[18:19], s[6:7], v[6:7]
	;; [unrolled: 1-line block ×4, first 2 shown]
	global_load_b128 v[8:11], v[16:17], off offset:-8
	global_load_b128 v[12:15], v[18:19], off
	s_wait_xcnt 0x1
	v_add_nc_u64_e32 v[16:17], s[12:13], v[6:7]
	v_lshlrev_b64_e32 v[22:23], 2, v[0:1]
	v_add_nc_u64_e32 v[6:7], s[14:15], v[6:7]
	global_load_b128 v[16:19], v[16:17], off offset:-8
	s_wait_loadcnt 0x1
	v_div_scale_f32 v24, null, v13, v13, v9
	v_div_scale_f32 v26, null, v12, v12, v8
	;; [unrolled: 1-line block ×3, first 2 shown]
	s_delay_alu instid0(VALU_DEP_3) | instskip(SKIP_1) | instid1(VALU_DEP_3)
	v_rcp_f32_e32 v32, v24
	v_div_scale_f32 v30, null, v14, v14, v10
	v_rcp_f32_e32 v33, v26
	s_delay_alu instid0(VALU_DEP_2) | instskip(SKIP_1) | instid1(VALU_DEP_2)
	v_rcp_f32_e32 v34, v28
	v_div_scale_f32 v25, vcc_lo, v9, v13, v9
	v_rcp_f32_e32 v35, v30
	v_fma_f32 v36, -v24, v32, 1.0
	v_div_scale_f32 v27, s1, v8, v12, v8
	s_delay_alu instid0(TRANS32_DEP_3) | instskip(NEXT) | instid1(TRANS32_DEP_2)
	v_fma_f32 v37, -v26, v33, 1.0
	v_fma_f32 v38, -v28, v34, 1.0
	s_delay_alu instid0(VALU_DEP_4) | instskip(NEXT) | instid1(TRANS32_DEP_1)
	v_fmac_f32_e32 v32, v36, v32
	v_fma_f32 v39, -v30, v35, 1.0
	v_div_scale_f32 v29, s2, v11, v15, v11
	s_delay_alu instid0(VALU_DEP_4) | instskip(NEXT) | instid1(VALU_DEP_3)
	v_dual_fmac_f32 v33, v37, v33 :: v_dual_fmac_f32 v34, v38, v34
	v_dual_fmac_f32 v35, v39, v35 :: v_dual_mul_f32 v36, v25, v32
	v_div_scale_f32 v31, s3, v10, v14, v10
	s_delay_alu instid0(VALU_DEP_3) | instskip(NEXT) | instid1(VALU_DEP_2)
	v_dual_mul_f32 v37, v27, v33 :: v_dual_mul_f32 v38, v29, v34
	v_dual_fma_f32 v40, -v24, v36, v25 :: v_dual_mul_f32 v39, v31, v35
	s_delay_alu instid0(VALU_DEP_2) | instskip(NEXT) | instid1(VALU_DEP_2)
	v_dual_fma_f32 v41, -v26, v37, v27 :: v_dual_fma_f32 v42, -v28, v38, v29
	v_dual_fmac_f32 v36, v40, v32 :: v_dual_fma_f32 v43, -v30, v39, v31
	s_delay_alu instid0(VALU_DEP_2) | instskip(NEXT) | instid1(VALU_DEP_2)
	v_dual_fmac_f32 v37, v41, v33 :: v_dual_fmac_f32 v38, v42, v34
	v_dual_fma_f32 v24, -v24, v36, v25 :: v_dual_fmac_f32 v39, v43, v35
	s_delay_alu instid0(VALU_DEP_2) | instskip(NEXT) | instid1(VALU_DEP_2)
	v_dual_fma_f32 v25, -v26, v37, v27 :: v_dual_fma_f32 v26, -v28, v38, v29
	v_div_fmas_f32 v24, v24, v32, v36
	s_mov_b32 vcc_lo, s1
	s_delay_alu instid0(VALU_DEP_3) | instskip(NEXT) | instid1(VALU_DEP_3)
	v_fma_f32 v27, -v30, v39, v31
	v_div_fmas_f32 v25, v25, v33, v37
	s_mov_b32 vcc_lo, s2
	v_div_fixup_f32 v9, v24, v13, v9
	v_div_fmas_f32 v26, v26, v34, v38
	s_mov_b32 vcc_lo, s3
	v_div_fixup_f32 v8, v25, v12, v8
	v_div_fmas_f32 v13, v27, v35, v39
	v_cmp_ge_i64_e32 vcc_lo, v[22:23], v[2:3]
	v_div_fixup_f32 v11, v26, v15, v11
	s_delay_alu instid0(VALU_DEP_3)
	v_div_fixup_f32 v10, v13, v14, v10
	s_wait_loadcnt 0x0
	v_pk_add_f32 v[12:13], v[16:17], v[8:9]
	v_pk_fma_f32 v[8:9], v[4:5], v[8:9], v[16:17]
	s_or_b32 s16, vcc_lo, s16
	v_pk_add_f32 v[14:15], v[18:19], v[10:11]
	v_pk_fma_f32 v[10:11], v[4:5], v[10:11], v[18:19]
	s_delay_alu instid0(VALU_DEP_3) | instskip(NEXT) | instid1(VALU_DEP_2)
	v_dual_cndmask_b32 v9, v9, v13, s0 :: v_dual_cndmask_b32 v8, v8, v12, s0
	v_dual_cndmask_b32 v11, v11, v15, s0 :: v_dual_cndmask_b32 v10, v10, v14, s0
	global_store_b128 v[20:21], v[8:11], off
	s_wait_xcnt 0x0
	s_and_not1_b32 exec_lo, exec_lo, s16
	s_cbranch_execnz .LBB50_32
.LBB50_33:
	s_endpgm
	.section	.rodata,"a",@progbits
	.p2align	6, 0x0
	.amdhsa_kernel _ZN2at6native12_GLOBAL__N_125multi_tensor_apply_kernelINS1_18TensorListMetadataILi4EEENS1_24PointwiseOpScalarFunctorIfLi4ELi3ELi3EEEJSt7dividesIfEfEEEvT_T0_DpT1_
		.amdhsa_group_segment_fixed_size 0
		.amdhsa_private_segment_fixed_size 0
		.amdhsa_kernarg_size 3312
		.amdhsa_user_sgpr_count 2
		.amdhsa_user_sgpr_dispatch_ptr 0
		.amdhsa_user_sgpr_queue_ptr 0
		.amdhsa_user_sgpr_kernarg_segment_ptr 1
		.amdhsa_user_sgpr_dispatch_id 0
		.amdhsa_user_sgpr_kernarg_preload_length 0
		.amdhsa_user_sgpr_kernarg_preload_offset 0
		.amdhsa_user_sgpr_private_segment_size 0
		.amdhsa_wavefront_size32 1
		.amdhsa_uses_dynamic_stack 0
		.amdhsa_enable_private_segment 0
		.amdhsa_system_sgpr_workgroup_id_x 1
		.amdhsa_system_sgpr_workgroup_id_y 0
		.amdhsa_system_sgpr_workgroup_id_z 0
		.amdhsa_system_sgpr_workgroup_info 0
		.amdhsa_system_vgpr_workitem_id 0
		.amdhsa_next_free_vgpr 61
		.amdhsa_next_free_sgpr 26
		.amdhsa_named_barrier_count 0
		.amdhsa_reserve_vcc 1
		.amdhsa_float_round_mode_32 0
		.amdhsa_float_round_mode_16_64 0
		.amdhsa_float_denorm_mode_32 3
		.amdhsa_float_denorm_mode_16_64 3
		.amdhsa_fp16_overflow 0
		.amdhsa_memory_ordered 1
		.amdhsa_forward_progress 1
		.amdhsa_inst_pref_size 19
		.amdhsa_round_robin_scheduling 0
		.amdhsa_exception_fp_ieee_invalid_op 0
		.amdhsa_exception_fp_denorm_src 0
		.amdhsa_exception_fp_ieee_div_zero 0
		.amdhsa_exception_fp_ieee_overflow 0
		.amdhsa_exception_fp_ieee_underflow 0
		.amdhsa_exception_fp_ieee_inexact 0
		.amdhsa_exception_int_div_zero 0
	.end_amdhsa_kernel
	.section	.text._ZN2at6native12_GLOBAL__N_125multi_tensor_apply_kernelINS1_18TensorListMetadataILi4EEENS1_24PointwiseOpScalarFunctorIfLi4ELi3ELi3EEEJSt7dividesIfEfEEEvT_T0_DpT1_,"axG",@progbits,_ZN2at6native12_GLOBAL__N_125multi_tensor_apply_kernelINS1_18TensorListMetadataILi4EEENS1_24PointwiseOpScalarFunctorIfLi4ELi3ELi3EEEJSt7dividesIfEfEEEvT_T0_DpT1_,comdat
.Lfunc_end50:
	.size	_ZN2at6native12_GLOBAL__N_125multi_tensor_apply_kernelINS1_18TensorListMetadataILi4EEENS1_24PointwiseOpScalarFunctorIfLi4ELi3ELi3EEEJSt7dividesIfEfEEEvT_T0_DpT1_, .Lfunc_end50-_ZN2at6native12_GLOBAL__N_125multi_tensor_apply_kernelINS1_18TensorListMetadataILi4EEENS1_24PointwiseOpScalarFunctorIfLi4ELi3ELi3EEEJSt7dividesIfEfEEEvT_T0_DpT1_
                                        ; -- End function
	.set _ZN2at6native12_GLOBAL__N_125multi_tensor_apply_kernelINS1_18TensorListMetadataILi4EEENS1_24PointwiseOpScalarFunctorIfLi4ELi3ELi3EEEJSt7dividesIfEfEEEvT_T0_DpT1_.num_vgpr, 61
	.set _ZN2at6native12_GLOBAL__N_125multi_tensor_apply_kernelINS1_18TensorListMetadataILi4EEENS1_24PointwiseOpScalarFunctorIfLi4ELi3ELi3EEEJSt7dividesIfEfEEEvT_T0_DpT1_.num_agpr, 0
	.set _ZN2at6native12_GLOBAL__N_125multi_tensor_apply_kernelINS1_18TensorListMetadataILi4EEENS1_24PointwiseOpScalarFunctorIfLi4ELi3ELi3EEEJSt7dividesIfEfEEEvT_T0_DpT1_.numbered_sgpr, 26
	.set _ZN2at6native12_GLOBAL__N_125multi_tensor_apply_kernelINS1_18TensorListMetadataILi4EEENS1_24PointwiseOpScalarFunctorIfLi4ELi3ELi3EEEJSt7dividesIfEfEEEvT_T0_DpT1_.num_named_barrier, 0
	.set _ZN2at6native12_GLOBAL__N_125multi_tensor_apply_kernelINS1_18TensorListMetadataILi4EEENS1_24PointwiseOpScalarFunctorIfLi4ELi3ELi3EEEJSt7dividesIfEfEEEvT_T0_DpT1_.private_seg_size, 0
	.set _ZN2at6native12_GLOBAL__N_125multi_tensor_apply_kernelINS1_18TensorListMetadataILi4EEENS1_24PointwiseOpScalarFunctorIfLi4ELi3ELi3EEEJSt7dividesIfEfEEEvT_T0_DpT1_.uses_vcc, 1
	.set _ZN2at6native12_GLOBAL__N_125multi_tensor_apply_kernelINS1_18TensorListMetadataILi4EEENS1_24PointwiseOpScalarFunctorIfLi4ELi3ELi3EEEJSt7dividesIfEfEEEvT_T0_DpT1_.uses_flat_scratch, 0
	.set _ZN2at6native12_GLOBAL__N_125multi_tensor_apply_kernelINS1_18TensorListMetadataILi4EEENS1_24PointwiseOpScalarFunctorIfLi4ELi3ELi3EEEJSt7dividesIfEfEEEvT_T0_DpT1_.has_dyn_sized_stack, 0
	.set _ZN2at6native12_GLOBAL__N_125multi_tensor_apply_kernelINS1_18TensorListMetadataILi4EEENS1_24PointwiseOpScalarFunctorIfLi4ELi3ELi3EEEJSt7dividesIfEfEEEvT_T0_DpT1_.has_recursion, 0
	.set _ZN2at6native12_GLOBAL__N_125multi_tensor_apply_kernelINS1_18TensorListMetadataILi4EEENS1_24PointwiseOpScalarFunctorIfLi4ELi3ELi3EEEJSt7dividesIfEfEEEvT_T0_DpT1_.has_indirect_call, 0
	.section	.AMDGPU.csdata,"",@progbits
; Kernel info:
; codeLenInByte = 2312
; TotalNumSgprs: 28
; NumVgprs: 61
; ScratchSize: 0
; MemoryBound: 0
; FloatMode: 240
; IeeeMode: 1
; LDSByteSize: 0 bytes/workgroup (compile time only)
; SGPRBlocks: 0
; VGPRBlocks: 3
; NumSGPRsForWavesPerEU: 28
; NumVGPRsForWavesPerEU: 61
; NamedBarCnt: 0
; Occupancy: 16
; WaveLimiterHint : 0
; COMPUTE_PGM_RSRC2:SCRATCH_EN: 0
; COMPUTE_PGM_RSRC2:USER_SGPR: 2
; COMPUTE_PGM_RSRC2:TRAP_HANDLER: 0
; COMPUTE_PGM_RSRC2:TGID_X_EN: 1
; COMPUTE_PGM_RSRC2:TGID_Y_EN: 0
; COMPUTE_PGM_RSRC2:TGID_Z_EN: 0
; COMPUTE_PGM_RSRC2:TIDIG_COMP_CNT: 0
	.section	.text._ZN2at6native12_GLOBAL__N_125multi_tensor_apply_kernelINS1_18TensorListMetadataILi4EEENS1_24PointwiseOpScalarFunctorIN3c107complexIdEELi4ELi3ELi3EEEJSt7dividesIS8_ES8_EEEvT_T0_DpT1_,"axG",@progbits,_ZN2at6native12_GLOBAL__N_125multi_tensor_apply_kernelINS1_18TensorListMetadataILi4EEENS1_24PointwiseOpScalarFunctorIN3c107complexIdEELi4ELi3ELi3EEEJSt7dividesIS8_ES8_EEEvT_T0_DpT1_,comdat
	.globl	_ZN2at6native12_GLOBAL__N_125multi_tensor_apply_kernelINS1_18TensorListMetadataILi4EEENS1_24PointwiseOpScalarFunctorIN3c107complexIdEELi4ELi3ELi3EEEJSt7dividesIS8_ES8_EEEvT_T0_DpT1_ ; -- Begin function _ZN2at6native12_GLOBAL__N_125multi_tensor_apply_kernelINS1_18TensorListMetadataILi4EEENS1_24PointwiseOpScalarFunctorIN3c107complexIdEELi4ELi3ELi3EEEJSt7dividesIS8_ES8_EEEvT_T0_DpT1_
	.p2align	8
	.type	_ZN2at6native12_GLOBAL__N_125multi_tensor_apply_kernelINS1_18TensorListMetadataILi4EEENS1_24PointwiseOpScalarFunctorIN3c107complexIdEELi4ELi3ELi3EEEJSt7dividesIS8_ES8_EEEvT_T0_DpT1_,@function
_ZN2at6native12_GLOBAL__N_125multi_tensor_apply_kernelINS1_18TensorListMetadataILi4EEENS1_24PointwiseOpScalarFunctorIN3c107complexIdEELi4ELi3ELi3EEEJSt7dividesIS8_ES8_EEEvT_T0_DpT1_: ; @_ZN2at6native12_GLOBAL__N_125multi_tensor_apply_kernelINS1_18TensorListMetadataILi4EEENS1_24PointwiseOpScalarFunctorIN3c107complexIdEELi4ELi3ELi3EEEJSt7dividesIS8_ES8_EEEvT_T0_DpT1_
; %bb.0:
	s_bfe_u32 s2, ttmp6, 0x4000c
	s_and_b32 s3, ttmp6, 15
	s_add_co_i32 s2, s2, 1
	s_getreg_b32 s4, hwreg(HW_REG_IB_STS2, 6, 4)
	s_mul_i32 s2, ttmp9, s2
	s_delay_alu instid0(SALU_CYCLE_1)
	s_add_co_i32 s3, s3, s2
	s_cmp_eq_u32 s4, 0
	s_cselect_b32 s2, ttmp9, s3
	s_mov_b32 s3, 0
	s_load_u8 s12, s[0:1], s2 offset:0x5a0
	s_add_nc_u64 s[4:5], s[0:1], s[2:3]
	s_mul_u64 s[6:7], s[2:3], 3
	s_delay_alu instid0(SALU_CYCLE_1)
	s_add_nc_u64 s[4:5], s[4:5], s[6:7]
	s_load_b32 s6, s[4:5], 0x6e0
	s_wait_kmcnt 0x0
	s_clause 0x4
	s_load_b64 s[8:9], s[0:1], s12 offset:0x240 scale_offset
	s_load_b64 s[10:11], s[0:1], s12 offset:0x360 scale_offset
	;; [unrolled: 1-line block ×5, first 2 shown]
	s_ashr_i32 s7, s6, 31
	s_delay_alu instid0(SALU_CYCLE_1)
	s_lshl_b64 s[4:5], s[6:7], 20
	s_wait_kmcnt 0x0
	s_add_nc_u64 s[12:13], s[8:9], s[4:5]
	s_add_nc_u64 s[14:15], s[10:11], s[4:5]
	s_load_b128 s[8:11], s[0:1], 0xbf0
	s_or_b32 s2, s14, s12
	s_add_nc_u64 s[16:17], s[16:17], s[4:5]
	s_and_b32 s22, s2, 63
	s_and_b32 s2, s16, 63
	s_cmp_eq_u32 s22, 0
	s_add_nc_u64 s[18:19], s[18:19], s[4:5]
	s_cselect_b32 s22, -1, 0
	s_and_b64 s[4:5], s[18:19], 63
	s_cmp_eq_u64 s[2:3], 0
	s_cselect_b32 s23, -1, 0
	s_and_b32 s2, s20, 3
	s_and_b32 s22, s22, s23
	s_or_b64 s[2:3], s[4:5], s[2:3]
	s_lshl_b64 s[4:5], s[6:7], 16
	s_cmp_eq_u64 s[2:3], 0
	s_sub_nc_u64 s[20:21], s[20:21], s[4:5]
	s_cselect_b32 s2, -1, 0
	s_delay_alu instid0(SALU_CYCLE_1) | instskip(NEXT) | instid1(SALU_CYCLE_1)
	s_and_b32 s2, s22, s2
	s_and_b32 vcc_lo, exec_lo, s2
	s_mov_b32 s2, -1
	s_cbranch_vccnz .LBB51_109
; %bb.1:
	v_cmp_lt_i64_e64 s2, s[20:21], 1
	s_and_b32 vcc_lo, exec_lo, s2
	s_cbranch_vccnz .LBB51_108
; %bb.2:
	s_wait_kmcnt 0x0
	v_cmp_neq_f64_e64 s2, s[8:9], 1.0
	v_cmp_neq_f64_e64 s3, s[10:11], 0
	v_min_i64 v[50:51], 0x10000, s[20:21]
	v_min_u64 v[52:53], 0x10000, s[20:21]
	s_load_b32 s4, s[0:1], 0xc0c
	v_mov_b32_e32 v1, 0
	s_mov_b32 s23, 0
	s_mov_b64 s[24:25], 0
	s_mov_b32 s27, s23
	s_mov_b32 s29, s23
	;; [unrolled: 1-line block ×3, first 2 shown]
	s_wait_kmcnt 0x0
	s_and_b32 s22, s4, 0xffff
	s_delay_alu instid0(SALU_CYCLE_1)
	s_lshl_b32 s26, s22, 1
	s_mul_i32 s28, s22, 3
	s_lshl_b32 s30, s22, 2
	s_or_b32 s33, s2, s3
	s_branch .LBB51_4
.LBB51_3:                               ;   in Loop: Header=BB51_4 Depth=1
	s_wait_xcnt 0x0
	s_or_b32 exec_lo, exec_lo, s2
	s_add_nc_u64 s[24:25], s[24:25], s[30:31]
	s_delay_alu instid0(SALU_CYCLE_1)
	v_cmp_ge_i64_e32 vcc_lo, s[24:25], v[50:51]
	s_cbranch_vccnz .LBB51_108
.LBB51_4:                               ; =>This Inner Loop Header: Depth=1
	v_add_nc_u64_e32 v[54:55], s[24:25], v[0:1]
	v_mov_b64_e32 v[48:49], 0
	v_mov_b64_e32 v[44:45], 0
	;; [unrolled: 1-line block ×5, first 2 shown]
	v_cmp_lt_u64_e64 s2, v[54:55], v[52:53]
	s_and_saveexec_b32 s3, s2
	s_cbranch_execz .LBB51_6
; %bb.5:                                ;   in Loop: Header=BB51_4 Depth=1
	v_lshlrev_b64_e32 v[2:3], 4, v[54:55]
	s_delay_alu instid0(VALU_DEP_1)
	v_add_nc_u64_e32 v[6:7], s[18:19], v[2:3]
	v_add_nc_u64_e32 v[8:9], s[16:17], v[2:3]
	global_load_b128 v[2:5], v[6:7], off
	global_load_b128 v[42:45], v[8:9], off
.LBB51_6:                               ;   in Loop: Header=BB51_4 Depth=1
	s_wait_xcnt 0x0
	s_or_b32 exec_lo, exec_lo, s3
	v_mov_b64_e32 v[46:47], 0
	s_and_saveexec_b32 s3, s2
	s_cbranch_execz .LBB51_8
; %bb.7:                                ;   in Loop: Header=BB51_4 Depth=1
	v_lshl_add_u64 v[6:7], v[54:55], 4, s[12:13]
	global_load_b128 v[46:49], v[6:7], off
.LBB51_8:                               ;   in Loop: Header=BB51_4 Depth=1
	s_wait_xcnt 0x0
	s_or_b32 exec_lo, exec_lo, s3
	v_add_nc_u64_e32 v[56:57], s[22:23], v[54:55]
	v_mov_b64_e32 v[40:41], 0
	v_mov_b64_e32 v[36:37], 0
	;; [unrolled: 1-line block ×5, first 2 shown]
	v_cmp_lt_u64_e64 s3, v[56:57], v[52:53]
	s_and_saveexec_b32 s4, s3
	s_cbranch_execz .LBB51_10
; %bb.9:                                ;   in Loop: Header=BB51_4 Depth=1
	v_lshlrev_b64_e32 v[6:7], 4, v[56:57]
	s_delay_alu instid0(VALU_DEP_1)
	v_add_nc_u64_e32 v[10:11], s[18:19], v[6:7]
	v_add_nc_u64_e32 v[12:13], s[16:17], v[6:7]
	global_load_b128 v[6:9], v[10:11], off
	global_load_b128 v[34:37], v[12:13], off
.LBB51_10:                              ;   in Loop: Header=BB51_4 Depth=1
	s_wait_xcnt 0x0
	s_or_b32 exec_lo, exec_lo, s4
	v_mov_b64_e32 v[38:39], 0
	s_and_saveexec_b32 s4, s3
	s_cbranch_execz .LBB51_12
; %bb.11:                               ;   in Loop: Header=BB51_4 Depth=1
	v_lshl_add_u64 v[10:11], v[56:57], 4, s[12:13]
	global_load_b128 v[38:41], v[10:11], off
.LBB51_12:                              ;   in Loop: Header=BB51_4 Depth=1
	s_wait_xcnt 0x0
	s_or_b32 exec_lo, exec_lo, s4
	v_add_nc_u64_e32 v[58:59], s[26:27], v[54:55]
	v_mov_b64_e32 v[32:33], 0
	v_mov_b64_e32 v[28:29], 0
	;; [unrolled: 1-line block ×5, first 2 shown]
	v_cmp_lt_u64_e64 s4, v[58:59], v[52:53]
	s_and_saveexec_b32 s5, s4
	s_cbranch_execz .LBB51_14
; %bb.13:                               ;   in Loop: Header=BB51_4 Depth=1
	v_lshlrev_b64_e32 v[10:11], 4, v[58:59]
	s_delay_alu instid0(VALU_DEP_1)
	v_add_nc_u64_e32 v[14:15], s[18:19], v[10:11]
	v_add_nc_u64_e32 v[16:17], s[16:17], v[10:11]
	global_load_b128 v[10:13], v[14:15], off
	global_load_b128 v[26:29], v[16:17], off
.LBB51_14:                              ;   in Loop: Header=BB51_4 Depth=1
	s_wait_xcnt 0x0
	s_or_b32 exec_lo, exec_lo, s5
	v_mov_b64_e32 v[30:31], 0
	s_and_saveexec_b32 s5, s4
	s_cbranch_execz .LBB51_16
; %bb.15:                               ;   in Loop: Header=BB51_4 Depth=1
	v_lshl_add_u64 v[14:15], v[58:59], 4, s[12:13]
	global_load_b128 v[30:33], v[14:15], off
.LBB51_16:                              ;   in Loop: Header=BB51_4 Depth=1
	s_wait_xcnt 0x0
	s_or_b32 exec_lo, exec_lo, s5
	v_add_nc_u64_e32 v[60:61], s[28:29], v[54:55]
	v_mov_b64_e32 v[24:25], 0
	v_mov_b64_e32 v[20:21], 0
	v_mov_b64_e32 v[18:19], 0
	v_mov_b64_e32 v[16:17], 0
	v_mov_b64_e32 v[14:15], 0
	v_cmp_lt_u64_e64 s5, v[60:61], v[52:53]
	s_and_saveexec_b32 s6, s5
	s_cbranch_execz .LBB51_18
; %bb.17:                               ;   in Loop: Header=BB51_4 Depth=1
	v_lshlrev_b64_e32 v[14:15], 4, v[60:61]
	s_delay_alu instid0(VALU_DEP_1)
	v_add_nc_u64_e32 v[22:23], s[18:19], v[14:15]
	v_add_nc_u64_e32 v[62:63], s[16:17], v[14:15]
	global_load_b128 v[14:17], v[22:23], off
	global_load_b128 v[18:21], v[62:63], off
.LBB51_18:                              ;   in Loop: Header=BB51_4 Depth=1
	s_wait_xcnt 0x0
	s_or_b32 exec_lo, exec_lo, s6
	v_mov_b64_e32 v[22:23], 0
	s_and_saveexec_b32 s6, s5
	s_cbranch_execz .LBB51_20
; %bb.19:                               ;   in Loop: Header=BB51_4 Depth=1
	v_lshl_add_u64 v[22:23], v[60:61], 4, s[12:13]
	global_load_b128 v[22:25], v[22:23], off
.LBB51_20:                              ;   in Loop: Header=BB51_4 Depth=1
	s_wait_xcnt 0x0
	s_or_b32 exec_lo, exec_lo, s6
	s_wait_loadcnt 0x0
	v_cmp_gt_f64_e32 vcc_lo, 0, v[46:47]
	v_xor_b32_e32 v62, 0x80000000, v47
	v_mov_b32_e32 v66, v46
	v_xor_b32_e32 v63, 0x80000000, v49
	s_mov_b32 s7, -1
                                        ; implicit-def: $vgpr64_vgpr65
	s_delay_alu instid0(VALU_DEP_3) | instskip(SKIP_1) | instid1(VALU_DEP_3)
	v_dual_mov_b32 v68, v48 :: v_dual_cndmask_b32 v67, v47, v62
	v_cmp_gt_f64_e32 vcc_lo, 0, v[48:49]
	v_cndmask_b32_e32 v69, v49, v63, vcc_lo
	s_and_b32 vcc_lo, exec_lo, s33
                                        ; implicit-def: $vgpr62_vgpr63
	s_delay_alu instid0(VALU_DEP_1)
	v_cmp_ge_f64_e64 s6, v[66:67], v[68:69]
	s_cbranch_vccz .LBB51_30
; %bb.21:                               ;   in Loop: Header=BB51_4 Depth=1
                                        ; implicit-def: $vgpr62_vgpr63
                                        ; implicit-def: $vgpr70_vgpr71
	s_and_saveexec_b32 s7, s6
	s_delay_alu instid0(SALU_CYCLE_1)
	s_xor_b32 s34, exec_lo, s7
	s_cbranch_execz .LBB51_27
; %bb.22:                               ;   in Loop: Header=BB51_4 Depth=1
	v_cmp_neq_f64_e32 vcc_lo, 0, v[46:47]
	v_cmp_neq_f64_e64 s7, 0, v[48:49]
                                        ; implicit-def: $vgpr62_vgpr63
                                        ; implicit-def: $vgpr70_vgpr71
	s_or_b32 s7, s7, vcc_lo
	s_delay_alu instid0(SALU_CYCLE_1) | instskip(NEXT) | instid1(SALU_CYCLE_1)
	s_and_saveexec_b32 s35, s7
	s_xor_b32 s7, exec_lo, s35
	s_cbranch_execz .LBB51_24
; %bb.23:                               ;   in Loop: Header=BB51_4 Depth=1
	v_div_scale_f64 v[62:63], null, v[46:47], v[46:47], v[48:49]
	v_div_scale_f64 v[72:73], vcc_lo, v[48:49], v[46:47], v[48:49]
	s_delay_alu instid0(VALU_DEP_2) | instskip(SKIP_1) | instid1(TRANS32_DEP_1)
	v_rcp_f64_e32 v[64:65], v[62:63]
	v_nop
	v_fma_f64 v[70:71], -v[62:63], v[64:65], 1.0
	s_delay_alu instid0(VALU_DEP_1) | instskip(NEXT) | instid1(VALU_DEP_1)
	v_fmac_f64_e32 v[64:65], v[64:65], v[70:71]
	v_fma_f64 v[70:71], -v[62:63], v[64:65], 1.0
	s_delay_alu instid0(VALU_DEP_1) | instskip(NEXT) | instid1(VALU_DEP_1)
	v_fmac_f64_e32 v[64:65], v[64:65], v[70:71]
	v_mul_f64_e32 v[70:71], v[72:73], v[64:65]
	s_delay_alu instid0(VALU_DEP_1) | instskip(NEXT) | instid1(VALU_DEP_1)
	v_fma_f64 v[62:63], -v[62:63], v[70:71], v[72:73]
	v_div_fmas_f64 v[62:63], v[62:63], v[64:65], v[70:71]
	s_delay_alu instid0(VALU_DEP_1) | instskip(NEXT) | instid1(VALU_DEP_1)
	v_div_fixup_f64 v[62:63], v[62:63], v[46:47], v[48:49]
	v_fma_f64 v[64:65], v[48:49], v[62:63], v[46:47]
	s_delay_alu instid0(VALU_DEP_1) | instskip(SKIP_1) | instid1(VALU_DEP_2)
	v_div_scale_f64 v[70:71], null, v[64:65], v[64:65], 1.0
	v_div_scale_f64 v[76:77], vcc_lo, 1.0, v[64:65], 1.0
	v_rcp_f64_e32 v[72:73], v[70:71]
	v_nop
	s_delay_alu instid0(TRANS32_DEP_1) | instskip(NEXT) | instid1(VALU_DEP_1)
	v_fma_f64 v[74:75], -v[70:71], v[72:73], 1.0
	v_fmac_f64_e32 v[72:73], v[72:73], v[74:75]
	s_delay_alu instid0(VALU_DEP_1) | instskip(NEXT) | instid1(VALU_DEP_1)
	v_fma_f64 v[74:75], -v[70:71], v[72:73], 1.0
	v_fmac_f64_e32 v[72:73], v[72:73], v[74:75]
	s_delay_alu instid0(VALU_DEP_1) | instskip(NEXT) | instid1(VALU_DEP_1)
	v_mul_f64_e32 v[74:75], v[76:77], v[72:73]
	v_fma_f64 v[70:71], -v[70:71], v[74:75], v[76:77]
	s_delay_alu instid0(VALU_DEP_1) | instskip(SKIP_2) | instid1(VALU_DEP_3)
	v_div_fmas_f64 v[70:71], v[70:71], v[72:73], v[74:75]
	v_fma_f64 v[72:73], v[44:45], v[62:63], v[42:43]
	v_fma_f64 v[62:63], -v[42:43], v[62:63], v[44:45]
	v_div_fixup_f64 v[64:65], v[70:71], v[64:65], 1.0
	s_delay_alu instid0(VALU_DEP_1) | instskip(NEXT) | instid1(VALU_DEP_3)
	v_mul_f64_e32 v[70:71], v[72:73], v[64:65]
	v_mul_f64_e32 v[62:63], v[62:63], v[64:65]
.LBB51_24:                              ;   in Loop: Header=BB51_4 Depth=1
	s_and_not1_saveexec_b32 s35, s7
	s_cbranch_execz .LBB51_26
; %bb.25:                               ;   in Loop: Header=BB51_4 Depth=1
	v_div_scale_f64 v[62:63], null, v[66:67], v[66:67], v[42:43]
	v_div_scale_f64 v[64:65], null, v[68:69], v[68:69], v[44:45]
	v_div_scale_f64 v[78:79], vcc_lo, v[42:43], v[66:67], v[42:43]
	s_delay_alu instid0(VALU_DEP_3) | instskip(NEXT) | instid1(VALU_DEP_2)
	v_rcp_f64_e32 v[70:71], v[62:63]
	v_rcp_f64_e32 v[72:73], v[64:65]
	s_delay_alu instid0(TRANS32_DEP_2) | instskip(NEXT) | instid1(TRANS32_DEP_1)
	v_fma_f64 v[74:75], -v[62:63], v[70:71], 1.0
	v_fma_f64 v[76:77], -v[64:65], v[72:73], 1.0
	s_delay_alu instid0(VALU_DEP_2) | instskip(NEXT) | instid1(VALU_DEP_2)
	v_fmac_f64_e32 v[70:71], v[70:71], v[74:75]
	v_fmac_f64_e32 v[72:73], v[72:73], v[76:77]
	s_delay_alu instid0(VALU_DEP_2) | instskip(NEXT) | instid1(VALU_DEP_2)
	v_fma_f64 v[74:75], -v[62:63], v[70:71], 1.0
	v_fma_f64 v[76:77], -v[64:65], v[72:73], 1.0
	s_delay_alu instid0(VALU_DEP_2) | instskip(SKIP_1) | instid1(VALU_DEP_3)
	v_fmac_f64_e32 v[70:71], v[70:71], v[74:75]
	v_div_scale_f64 v[74:75], s7, v[44:45], v[68:69], v[44:45]
	v_fmac_f64_e32 v[72:73], v[72:73], v[76:77]
	s_delay_alu instid0(VALU_DEP_3) | instskip(NEXT) | instid1(VALU_DEP_2)
	v_mul_f64_e32 v[76:77], v[78:79], v[70:71]
	v_mul_f64_e32 v[80:81], v[74:75], v[72:73]
	s_delay_alu instid0(VALU_DEP_2) | instskip(NEXT) | instid1(VALU_DEP_2)
	v_fma_f64 v[62:63], -v[62:63], v[76:77], v[78:79]
	v_fma_f64 v[64:65], -v[64:65], v[80:81], v[74:75]
	s_delay_alu instid0(VALU_DEP_2) | instskip(SKIP_1) | instid1(VALU_DEP_2)
	v_div_fmas_f64 v[62:63], v[62:63], v[70:71], v[76:77]
	s_mov_b32 vcc_lo, s7
	v_div_fmas_f64 v[64:65], v[64:65], v[72:73], v[80:81]
	s_delay_alu instid0(VALU_DEP_2) | instskip(NEXT) | instid1(VALU_DEP_2)
	v_div_fixup_f64 v[70:71], v[62:63], v[66:67], v[42:43]
	v_div_fixup_f64 v[62:63], v[64:65], v[68:69], v[44:45]
.LBB51_26:                              ;   in Loop: Header=BB51_4 Depth=1
	s_or_b32 exec_lo, exec_lo, s35
.LBB51_27:                              ;   in Loop: Header=BB51_4 Depth=1
	s_and_not1_saveexec_b32 s7, s34
	s_cbranch_execz .LBB51_29
; %bb.28:                               ;   in Loop: Header=BB51_4 Depth=1
	v_div_scale_f64 v[62:63], null, v[48:49], v[48:49], v[46:47]
	v_div_scale_f64 v[72:73], vcc_lo, v[46:47], v[48:49], v[46:47]
	s_delay_alu instid0(VALU_DEP_2) | instskip(SKIP_1) | instid1(TRANS32_DEP_1)
	v_rcp_f64_e32 v[64:65], v[62:63]
	v_nop
	v_fma_f64 v[70:71], -v[62:63], v[64:65], 1.0
	s_delay_alu instid0(VALU_DEP_1) | instskip(NEXT) | instid1(VALU_DEP_1)
	v_fmac_f64_e32 v[64:65], v[64:65], v[70:71]
	v_fma_f64 v[70:71], -v[62:63], v[64:65], 1.0
	s_delay_alu instid0(VALU_DEP_1) | instskip(NEXT) | instid1(VALU_DEP_1)
	v_fmac_f64_e32 v[64:65], v[64:65], v[70:71]
	v_mul_f64_e32 v[70:71], v[72:73], v[64:65]
	s_delay_alu instid0(VALU_DEP_1) | instskip(NEXT) | instid1(VALU_DEP_1)
	v_fma_f64 v[62:63], -v[62:63], v[70:71], v[72:73]
	v_div_fmas_f64 v[62:63], v[62:63], v[64:65], v[70:71]
	s_delay_alu instid0(VALU_DEP_1) | instskip(NEXT) | instid1(VALU_DEP_1)
	v_div_fixup_f64 v[62:63], v[62:63], v[48:49], v[46:47]
	v_fma_f64 v[64:65], v[46:47], v[62:63], v[48:49]
	s_delay_alu instid0(VALU_DEP_1) | instskip(SKIP_1) | instid1(VALU_DEP_2)
	v_div_scale_f64 v[70:71], null, v[64:65], v[64:65], 1.0
	v_div_scale_f64 v[76:77], vcc_lo, 1.0, v[64:65], 1.0
	v_rcp_f64_e32 v[72:73], v[70:71]
	v_nop
	s_delay_alu instid0(TRANS32_DEP_1) | instskip(NEXT) | instid1(VALU_DEP_1)
	v_fma_f64 v[74:75], -v[70:71], v[72:73], 1.0
	v_fmac_f64_e32 v[72:73], v[72:73], v[74:75]
	s_delay_alu instid0(VALU_DEP_1) | instskip(NEXT) | instid1(VALU_DEP_1)
	v_fma_f64 v[74:75], -v[70:71], v[72:73], 1.0
	v_fmac_f64_e32 v[72:73], v[72:73], v[74:75]
	s_delay_alu instid0(VALU_DEP_1) | instskip(NEXT) | instid1(VALU_DEP_1)
	v_mul_f64_e32 v[74:75], v[76:77], v[72:73]
	v_fma_f64 v[70:71], -v[70:71], v[74:75], v[76:77]
	s_delay_alu instid0(VALU_DEP_1) | instskip(SKIP_2) | instid1(VALU_DEP_3)
	v_div_fmas_f64 v[70:71], v[70:71], v[72:73], v[74:75]
	v_fma_f64 v[72:73], v[42:43], v[62:63], v[44:45]
	v_fma_f64 v[62:63], v[44:45], v[62:63], -v[42:43]
	v_div_fixup_f64 v[64:65], v[70:71], v[64:65], 1.0
	s_delay_alu instid0(VALU_DEP_1) | instskip(NEXT) | instid1(VALU_DEP_3)
	v_mul_f64_e32 v[70:71], v[72:73], v[64:65]
	v_mul_f64_e32 v[62:63], v[62:63], v[64:65]
.LBB51_29:                              ;   in Loop: Header=BB51_4 Depth=1
	s_or_b32 exec_lo, exec_lo, s7
	s_delay_alu instid0(VALU_DEP_1) | instskip(SKIP_2) | instid1(VALU_DEP_2)
	v_mul_f64_e32 v[64:65], s[10:11], v[62:63]
	v_mul_f64_e32 v[62:63], s[8:9], v[62:63]
	s_mov_b32 s7, 0
	v_fma_f64 v[64:65], s[8:9], v[70:71], -v[64:65]
	s_delay_alu instid0(VALU_DEP_2)
	v_fmac_f64_e32 v[62:63], s[10:11], v[70:71]
.LBB51_30:                              ;   in Loop: Header=BB51_4 Depth=1
	s_and_b32 vcc_lo, exec_lo, s7
	s_cbranch_vccz .LBB51_40
; %bb.31:                               ;   in Loop: Header=BB51_4 Depth=1
                                        ; implicit-def: $vgpr62_vgpr63
                                        ; implicit-def: $vgpr64_vgpr65
	s_and_saveexec_b32 s7, s6
	s_delay_alu instid0(SALU_CYCLE_1)
	s_xor_b32 s7, exec_lo, s7
	s_cbranch_execz .LBB51_37
; %bb.32:                               ;   in Loop: Header=BB51_4 Depth=1
	v_cmp_neq_f64_e32 vcc_lo, 0, v[46:47]
	v_cmp_neq_f64_e64 s6, 0, v[48:49]
                                        ; implicit-def: $vgpr62_vgpr63
                                        ; implicit-def: $vgpr64_vgpr65
	s_or_b32 s6, s6, vcc_lo
	s_delay_alu instid0(SALU_CYCLE_1) | instskip(NEXT) | instid1(SALU_CYCLE_1)
	s_and_saveexec_b32 s34, s6
	s_xor_b32 s6, exec_lo, s34
	s_cbranch_execz .LBB51_34
; %bb.33:                               ;   in Loop: Header=BB51_4 Depth=1
	v_div_scale_f64 v[62:63], null, v[46:47], v[46:47], v[48:49]
	v_div_scale_f64 v[68:69], vcc_lo, v[48:49], v[46:47], v[48:49]
	s_delay_alu instid0(VALU_DEP_2) | instskip(SKIP_1) | instid1(TRANS32_DEP_1)
	v_rcp_f64_e32 v[64:65], v[62:63]
	v_nop
	v_fma_f64 v[66:67], -v[62:63], v[64:65], 1.0
	s_delay_alu instid0(VALU_DEP_1) | instskip(NEXT) | instid1(VALU_DEP_1)
	v_fmac_f64_e32 v[64:65], v[64:65], v[66:67]
	v_fma_f64 v[66:67], -v[62:63], v[64:65], 1.0
	s_delay_alu instid0(VALU_DEP_1) | instskip(NEXT) | instid1(VALU_DEP_1)
	v_fmac_f64_e32 v[64:65], v[64:65], v[66:67]
	v_mul_f64_e32 v[66:67], v[68:69], v[64:65]
	s_delay_alu instid0(VALU_DEP_1) | instskip(NEXT) | instid1(VALU_DEP_1)
	v_fma_f64 v[62:63], -v[62:63], v[66:67], v[68:69]
	v_div_fmas_f64 v[62:63], v[62:63], v[64:65], v[66:67]
	s_delay_alu instid0(VALU_DEP_1) | instskip(NEXT) | instid1(VALU_DEP_1)
	v_div_fixup_f64 v[62:63], v[62:63], v[46:47], v[48:49]
	v_fmac_f64_e32 v[46:47], v[48:49], v[62:63]
	s_delay_alu instid0(VALU_DEP_1) | instskip(SKIP_1) | instid1(VALU_DEP_2)
	v_div_scale_f64 v[48:49], null, v[46:47], v[46:47], 1.0
	v_div_scale_f64 v[68:69], vcc_lo, 1.0, v[46:47], 1.0
	v_rcp_f64_e32 v[64:65], v[48:49]
	v_nop
	s_delay_alu instid0(TRANS32_DEP_1) | instskip(NEXT) | instid1(VALU_DEP_1)
	v_fma_f64 v[66:67], -v[48:49], v[64:65], 1.0
	v_fmac_f64_e32 v[64:65], v[64:65], v[66:67]
	s_delay_alu instid0(VALU_DEP_1) | instskip(NEXT) | instid1(VALU_DEP_1)
	v_fma_f64 v[66:67], -v[48:49], v[64:65], 1.0
	v_fmac_f64_e32 v[64:65], v[64:65], v[66:67]
	s_delay_alu instid0(VALU_DEP_1) | instskip(NEXT) | instid1(VALU_DEP_1)
	v_mul_f64_e32 v[66:67], v[68:69], v[64:65]
	v_fma_f64 v[48:49], -v[48:49], v[66:67], v[68:69]
                                        ; implicit-def: $vgpr68_vgpr69
	s_delay_alu instid0(VALU_DEP_1) | instskip(SKIP_2) | instid1(VALU_DEP_3)
	v_div_fmas_f64 v[48:49], v[48:49], v[64:65], v[66:67]
	v_fma_f64 v[64:65], v[44:45], v[62:63], v[42:43]
	v_fma_f64 v[42:43], -v[42:43], v[62:63], v[44:45]
                                        ; implicit-def: $vgpr66_vgpr67
	v_div_fixup_f64 v[46:47], v[48:49], v[46:47], 1.0
	s_delay_alu instid0(VALU_DEP_1) | instskip(NEXT) | instid1(VALU_DEP_3)
	v_mul_f64_e32 v[64:65], v[64:65], v[46:47]
	v_mul_f64_e32 v[62:63], v[42:43], v[46:47]
                                        ; implicit-def: $vgpr42_vgpr43
.LBB51_34:                              ;   in Loop: Header=BB51_4 Depth=1
	s_and_not1_saveexec_b32 s34, s6
	s_cbranch_execz .LBB51_36
; %bb.35:                               ;   in Loop: Header=BB51_4 Depth=1
	v_div_scale_f64 v[46:47], null, v[66:67], v[66:67], v[42:43]
	v_div_scale_f64 v[48:49], null, v[68:69], v[68:69], v[44:45]
	v_div_scale_f64 v[74:75], vcc_lo, v[42:43], v[66:67], v[42:43]
	s_delay_alu instid0(VALU_DEP_3) | instskip(NEXT) | instid1(VALU_DEP_2)
	v_rcp_f64_e32 v[62:63], v[46:47]
	v_rcp_f64_e32 v[64:65], v[48:49]
	s_delay_alu instid0(TRANS32_DEP_2) | instskip(NEXT) | instid1(TRANS32_DEP_1)
	v_fma_f64 v[70:71], -v[46:47], v[62:63], 1.0
	v_fma_f64 v[72:73], -v[48:49], v[64:65], 1.0
	s_delay_alu instid0(VALU_DEP_2) | instskip(NEXT) | instid1(VALU_DEP_2)
	v_fmac_f64_e32 v[62:63], v[62:63], v[70:71]
	v_fmac_f64_e32 v[64:65], v[64:65], v[72:73]
	s_delay_alu instid0(VALU_DEP_2) | instskip(NEXT) | instid1(VALU_DEP_2)
	v_fma_f64 v[70:71], -v[46:47], v[62:63], 1.0
	v_fma_f64 v[72:73], -v[48:49], v[64:65], 1.0
	s_delay_alu instid0(VALU_DEP_2) | instskip(SKIP_1) | instid1(VALU_DEP_3)
	v_fmac_f64_e32 v[62:63], v[62:63], v[70:71]
	v_div_scale_f64 v[70:71], s6, v[44:45], v[68:69], v[44:45]
	v_fmac_f64_e32 v[64:65], v[64:65], v[72:73]
	s_delay_alu instid0(VALU_DEP_3) | instskip(NEXT) | instid1(VALU_DEP_2)
	v_mul_f64_e32 v[72:73], v[74:75], v[62:63]
	v_mul_f64_e32 v[76:77], v[70:71], v[64:65]
	s_delay_alu instid0(VALU_DEP_2) | instskip(NEXT) | instid1(VALU_DEP_2)
	v_fma_f64 v[46:47], -v[46:47], v[72:73], v[74:75]
	v_fma_f64 v[48:49], -v[48:49], v[76:77], v[70:71]
	s_delay_alu instid0(VALU_DEP_2) | instskip(SKIP_1) | instid1(VALU_DEP_2)
	v_div_fmas_f64 v[46:47], v[46:47], v[62:63], v[72:73]
	s_mov_b32 vcc_lo, s6
	v_div_fmas_f64 v[48:49], v[48:49], v[64:65], v[76:77]
	s_delay_alu instid0(VALU_DEP_2) | instskip(NEXT) | instid1(VALU_DEP_2)
	v_div_fixup_f64 v[64:65], v[46:47], v[66:67], v[42:43]
	v_div_fixup_f64 v[62:63], v[48:49], v[68:69], v[44:45]
.LBB51_36:                              ;   in Loop: Header=BB51_4 Depth=1
	s_or_b32 exec_lo, exec_lo, s34
                                        ; implicit-def: $vgpr48_vgpr49
                                        ; implicit-def: $vgpr42_vgpr43
.LBB51_37:                              ;   in Loop: Header=BB51_4 Depth=1
	s_and_not1_saveexec_b32 s6, s7
	s_cbranch_execz .LBB51_39
; %bb.38:                               ;   in Loop: Header=BB51_4 Depth=1
	v_div_scale_f64 v[62:63], null, v[48:49], v[48:49], v[46:47]
	v_div_scale_f64 v[68:69], vcc_lo, v[46:47], v[48:49], v[46:47]
	s_delay_alu instid0(VALU_DEP_2) | instskip(SKIP_1) | instid1(TRANS32_DEP_1)
	v_rcp_f64_e32 v[64:65], v[62:63]
	v_nop
	v_fma_f64 v[66:67], -v[62:63], v[64:65], 1.0
	s_delay_alu instid0(VALU_DEP_1) | instskip(NEXT) | instid1(VALU_DEP_1)
	v_fmac_f64_e32 v[64:65], v[64:65], v[66:67]
	v_fma_f64 v[66:67], -v[62:63], v[64:65], 1.0
	s_delay_alu instid0(VALU_DEP_1) | instskip(NEXT) | instid1(VALU_DEP_1)
	v_fmac_f64_e32 v[64:65], v[64:65], v[66:67]
	v_mul_f64_e32 v[66:67], v[68:69], v[64:65]
	s_delay_alu instid0(VALU_DEP_1) | instskip(NEXT) | instid1(VALU_DEP_1)
	v_fma_f64 v[62:63], -v[62:63], v[66:67], v[68:69]
	v_div_fmas_f64 v[62:63], v[62:63], v[64:65], v[66:67]
	s_delay_alu instid0(VALU_DEP_1) | instskip(NEXT) | instid1(VALU_DEP_1)
	v_div_fixup_f64 v[62:63], v[62:63], v[48:49], v[46:47]
	v_fmac_f64_e32 v[48:49], v[46:47], v[62:63]
	s_delay_alu instid0(VALU_DEP_1) | instskip(SKIP_1) | instid1(VALU_DEP_2)
	v_div_scale_f64 v[46:47], null, v[48:49], v[48:49], 1.0
	v_div_scale_f64 v[68:69], vcc_lo, 1.0, v[48:49], 1.0
	v_rcp_f64_e32 v[64:65], v[46:47]
	v_nop
	s_delay_alu instid0(TRANS32_DEP_1) | instskip(NEXT) | instid1(VALU_DEP_1)
	v_fma_f64 v[66:67], -v[46:47], v[64:65], 1.0
	v_fmac_f64_e32 v[64:65], v[64:65], v[66:67]
	s_delay_alu instid0(VALU_DEP_1) | instskip(NEXT) | instid1(VALU_DEP_1)
	v_fma_f64 v[66:67], -v[46:47], v[64:65], 1.0
	v_fmac_f64_e32 v[64:65], v[64:65], v[66:67]
	s_delay_alu instid0(VALU_DEP_1) | instskip(NEXT) | instid1(VALU_DEP_1)
	v_mul_f64_e32 v[66:67], v[68:69], v[64:65]
	v_fma_f64 v[46:47], -v[46:47], v[66:67], v[68:69]
	s_delay_alu instid0(VALU_DEP_1) | instskip(SKIP_2) | instid1(VALU_DEP_3)
	v_div_fmas_f64 v[46:47], v[46:47], v[64:65], v[66:67]
	v_fma_f64 v[64:65], v[42:43], v[62:63], v[44:45]
	v_fma_f64 v[42:43], v[44:45], v[62:63], -v[42:43]
	v_div_fixup_f64 v[46:47], v[46:47], v[48:49], 1.0
	s_delay_alu instid0(VALU_DEP_1) | instskip(NEXT) | instid1(VALU_DEP_3)
	v_mul_f64_e32 v[64:65], v[64:65], v[46:47]
	v_mul_f64_e32 v[62:63], v[42:43], v[46:47]
.LBB51_39:                              ;   in Loop: Header=BB51_4 Depth=1
	s_or_b32 exec_lo, exec_lo, s6
.LBB51_40:                              ;   in Loop: Header=BB51_4 Depth=1
	v_cmp_gt_f64_e32 vcc_lo, 0, v[38:39]
	v_xor_b32_e32 v42, 0x80000000, v39
	v_mov_b32_e32 v46, v38
	v_xor_b32_e32 v43, 0x80000000, v41
	s_mov_b32 s7, -1
                                        ; implicit-def: $vgpr44_vgpr45
	s_delay_alu instid0(VALU_DEP_3) | instskip(SKIP_1) | instid1(VALU_DEP_3)
	v_dual_mov_b32 v48, v40 :: v_dual_cndmask_b32 v47, v39, v42
	v_cmp_gt_f64_e32 vcc_lo, 0, v[40:41]
	v_cndmask_b32_e32 v49, v41, v43, vcc_lo
	s_and_not1_b32 vcc_lo, exec_lo, s33
                                        ; implicit-def: $vgpr42_vgpr43
	s_delay_alu instid0(VALU_DEP_1)
	v_cmp_ge_f64_e64 s6, v[46:47], v[48:49]
	s_cbranch_vccnz .LBB51_50
; %bb.41:                               ;   in Loop: Header=BB51_4 Depth=1
                                        ; implicit-def: $vgpr42_vgpr43
                                        ; implicit-def: $vgpr66_vgpr67
	s_and_saveexec_b32 s7, s6
	s_delay_alu instid0(SALU_CYCLE_1)
	s_xor_b32 s34, exec_lo, s7
	s_cbranch_execz .LBB51_47
; %bb.42:                               ;   in Loop: Header=BB51_4 Depth=1
	v_cmp_neq_f64_e32 vcc_lo, 0, v[38:39]
	v_cmp_neq_f64_e64 s7, 0, v[40:41]
                                        ; implicit-def: $vgpr42_vgpr43
                                        ; implicit-def: $vgpr66_vgpr67
	s_or_b32 s7, s7, vcc_lo
	s_delay_alu instid0(SALU_CYCLE_1) | instskip(NEXT) | instid1(SALU_CYCLE_1)
	s_and_saveexec_b32 s35, s7
	s_xor_b32 s7, exec_lo, s35
	s_cbranch_execz .LBB51_44
; %bb.43:                               ;   in Loop: Header=BB51_4 Depth=1
	v_div_scale_f64 v[42:43], null, v[38:39], v[38:39], v[40:41]
	v_div_scale_f64 v[68:69], vcc_lo, v[40:41], v[38:39], v[40:41]
	s_delay_alu instid0(VALU_DEP_2) | instskip(SKIP_1) | instid1(TRANS32_DEP_1)
	v_rcp_f64_e32 v[44:45], v[42:43]
	v_nop
	v_fma_f64 v[66:67], -v[42:43], v[44:45], 1.0
	s_delay_alu instid0(VALU_DEP_1) | instskip(NEXT) | instid1(VALU_DEP_1)
	v_fmac_f64_e32 v[44:45], v[44:45], v[66:67]
	v_fma_f64 v[66:67], -v[42:43], v[44:45], 1.0
	s_delay_alu instid0(VALU_DEP_1) | instskip(NEXT) | instid1(VALU_DEP_1)
	v_fmac_f64_e32 v[44:45], v[44:45], v[66:67]
	v_mul_f64_e32 v[66:67], v[68:69], v[44:45]
	s_delay_alu instid0(VALU_DEP_1) | instskip(NEXT) | instid1(VALU_DEP_1)
	v_fma_f64 v[42:43], -v[42:43], v[66:67], v[68:69]
	v_div_fmas_f64 v[42:43], v[42:43], v[44:45], v[66:67]
	s_delay_alu instid0(VALU_DEP_1) | instskip(NEXT) | instid1(VALU_DEP_1)
	v_div_fixup_f64 v[42:43], v[42:43], v[38:39], v[40:41]
	v_fma_f64 v[44:45], v[40:41], v[42:43], v[38:39]
	s_delay_alu instid0(VALU_DEP_1) | instskip(SKIP_1) | instid1(VALU_DEP_2)
	v_div_scale_f64 v[66:67], null, v[44:45], v[44:45], 1.0
	v_div_scale_f64 v[72:73], vcc_lo, 1.0, v[44:45], 1.0
	v_rcp_f64_e32 v[68:69], v[66:67]
	v_nop
	s_delay_alu instid0(TRANS32_DEP_1) | instskip(NEXT) | instid1(VALU_DEP_1)
	v_fma_f64 v[70:71], -v[66:67], v[68:69], 1.0
	v_fmac_f64_e32 v[68:69], v[68:69], v[70:71]
	s_delay_alu instid0(VALU_DEP_1) | instskip(NEXT) | instid1(VALU_DEP_1)
	v_fma_f64 v[70:71], -v[66:67], v[68:69], 1.0
	v_fmac_f64_e32 v[68:69], v[68:69], v[70:71]
	s_delay_alu instid0(VALU_DEP_1) | instskip(NEXT) | instid1(VALU_DEP_1)
	v_mul_f64_e32 v[70:71], v[72:73], v[68:69]
	v_fma_f64 v[66:67], -v[66:67], v[70:71], v[72:73]
	s_delay_alu instid0(VALU_DEP_1) | instskip(SKIP_2) | instid1(VALU_DEP_3)
	v_div_fmas_f64 v[66:67], v[66:67], v[68:69], v[70:71]
	v_fma_f64 v[68:69], v[36:37], v[42:43], v[34:35]
	v_fma_f64 v[42:43], -v[34:35], v[42:43], v[36:37]
	v_div_fixup_f64 v[44:45], v[66:67], v[44:45], 1.0
	s_delay_alu instid0(VALU_DEP_1) | instskip(NEXT) | instid1(VALU_DEP_3)
	v_mul_f64_e32 v[66:67], v[68:69], v[44:45]
	v_mul_f64_e32 v[42:43], v[42:43], v[44:45]
.LBB51_44:                              ;   in Loop: Header=BB51_4 Depth=1
	s_and_not1_saveexec_b32 s35, s7
	s_cbranch_execz .LBB51_46
; %bb.45:                               ;   in Loop: Header=BB51_4 Depth=1
	v_div_scale_f64 v[42:43], null, v[46:47], v[46:47], v[34:35]
	v_div_scale_f64 v[44:45], null, v[48:49], v[48:49], v[36:37]
	v_div_scale_f64 v[74:75], vcc_lo, v[34:35], v[46:47], v[34:35]
	s_delay_alu instid0(VALU_DEP_3) | instskip(NEXT) | instid1(VALU_DEP_2)
	v_rcp_f64_e32 v[66:67], v[42:43]
	v_rcp_f64_e32 v[68:69], v[44:45]
	s_delay_alu instid0(TRANS32_DEP_2) | instskip(NEXT) | instid1(TRANS32_DEP_1)
	v_fma_f64 v[70:71], -v[42:43], v[66:67], 1.0
	v_fma_f64 v[72:73], -v[44:45], v[68:69], 1.0
	s_delay_alu instid0(VALU_DEP_2) | instskip(NEXT) | instid1(VALU_DEP_2)
	v_fmac_f64_e32 v[66:67], v[66:67], v[70:71]
	v_fmac_f64_e32 v[68:69], v[68:69], v[72:73]
	s_delay_alu instid0(VALU_DEP_2) | instskip(NEXT) | instid1(VALU_DEP_2)
	v_fma_f64 v[70:71], -v[42:43], v[66:67], 1.0
	v_fma_f64 v[72:73], -v[44:45], v[68:69], 1.0
	s_delay_alu instid0(VALU_DEP_2) | instskip(SKIP_1) | instid1(VALU_DEP_3)
	v_fmac_f64_e32 v[66:67], v[66:67], v[70:71]
	v_div_scale_f64 v[70:71], s7, v[36:37], v[48:49], v[36:37]
	v_fmac_f64_e32 v[68:69], v[68:69], v[72:73]
	s_delay_alu instid0(VALU_DEP_3) | instskip(NEXT) | instid1(VALU_DEP_2)
	v_mul_f64_e32 v[72:73], v[74:75], v[66:67]
	v_mul_f64_e32 v[76:77], v[70:71], v[68:69]
	s_delay_alu instid0(VALU_DEP_2) | instskip(NEXT) | instid1(VALU_DEP_2)
	v_fma_f64 v[42:43], -v[42:43], v[72:73], v[74:75]
	v_fma_f64 v[44:45], -v[44:45], v[76:77], v[70:71]
	s_delay_alu instid0(VALU_DEP_2) | instskip(SKIP_1) | instid1(VALU_DEP_2)
	v_div_fmas_f64 v[42:43], v[42:43], v[66:67], v[72:73]
	s_mov_b32 vcc_lo, s7
	v_div_fmas_f64 v[44:45], v[44:45], v[68:69], v[76:77]
	s_delay_alu instid0(VALU_DEP_2) | instskip(NEXT) | instid1(VALU_DEP_2)
	v_div_fixup_f64 v[66:67], v[42:43], v[46:47], v[34:35]
	v_div_fixup_f64 v[42:43], v[44:45], v[48:49], v[36:37]
.LBB51_46:                              ;   in Loop: Header=BB51_4 Depth=1
	s_or_b32 exec_lo, exec_lo, s35
.LBB51_47:                              ;   in Loop: Header=BB51_4 Depth=1
	s_and_not1_saveexec_b32 s7, s34
	s_cbranch_execz .LBB51_49
; %bb.48:                               ;   in Loop: Header=BB51_4 Depth=1
	v_div_scale_f64 v[42:43], null, v[40:41], v[40:41], v[38:39]
	v_div_scale_f64 v[68:69], vcc_lo, v[38:39], v[40:41], v[38:39]
	s_delay_alu instid0(VALU_DEP_2) | instskip(SKIP_1) | instid1(TRANS32_DEP_1)
	v_rcp_f64_e32 v[44:45], v[42:43]
	v_nop
	v_fma_f64 v[66:67], -v[42:43], v[44:45], 1.0
	s_delay_alu instid0(VALU_DEP_1) | instskip(NEXT) | instid1(VALU_DEP_1)
	v_fmac_f64_e32 v[44:45], v[44:45], v[66:67]
	v_fma_f64 v[66:67], -v[42:43], v[44:45], 1.0
	s_delay_alu instid0(VALU_DEP_1) | instskip(NEXT) | instid1(VALU_DEP_1)
	v_fmac_f64_e32 v[44:45], v[44:45], v[66:67]
	v_mul_f64_e32 v[66:67], v[68:69], v[44:45]
	s_delay_alu instid0(VALU_DEP_1) | instskip(NEXT) | instid1(VALU_DEP_1)
	v_fma_f64 v[42:43], -v[42:43], v[66:67], v[68:69]
	v_div_fmas_f64 v[42:43], v[42:43], v[44:45], v[66:67]
	s_delay_alu instid0(VALU_DEP_1) | instskip(NEXT) | instid1(VALU_DEP_1)
	v_div_fixup_f64 v[42:43], v[42:43], v[40:41], v[38:39]
	v_fma_f64 v[44:45], v[38:39], v[42:43], v[40:41]
	s_delay_alu instid0(VALU_DEP_1) | instskip(SKIP_1) | instid1(VALU_DEP_2)
	v_div_scale_f64 v[66:67], null, v[44:45], v[44:45], 1.0
	v_div_scale_f64 v[72:73], vcc_lo, 1.0, v[44:45], 1.0
	v_rcp_f64_e32 v[68:69], v[66:67]
	v_nop
	s_delay_alu instid0(TRANS32_DEP_1) | instskip(NEXT) | instid1(VALU_DEP_1)
	v_fma_f64 v[70:71], -v[66:67], v[68:69], 1.0
	v_fmac_f64_e32 v[68:69], v[68:69], v[70:71]
	s_delay_alu instid0(VALU_DEP_1) | instskip(NEXT) | instid1(VALU_DEP_1)
	v_fma_f64 v[70:71], -v[66:67], v[68:69], 1.0
	v_fmac_f64_e32 v[68:69], v[68:69], v[70:71]
	s_delay_alu instid0(VALU_DEP_1) | instskip(NEXT) | instid1(VALU_DEP_1)
	v_mul_f64_e32 v[70:71], v[72:73], v[68:69]
	v_fma_f64 v[66:67], -v[66:67], v[70:71], v[72:73]
	s_delay_alu instid0(VALU_DEP_1) | instskip(SKIP_2) | instid1(VALU_DEP_3)
	v_div_fmas_f64 v[66:67], v[66:67], v[68:69], v[70:71]
	v_fma_f64 v[68:69], v[34:35], v[42:43], v[36:37]
	v_fma_f64 v[42:43], v[36:37], v[42:43], -v[34:35]
	v_div_fixup_f64 v[44:45], v[66:67], v[44:45], 1.0
	s_delay_alu instid0(VALU_DEP_1) | instskip(NEXT) | instid1(VALU_DEP_3)
	v_mul_f64_e32 v[66:67], v[68:69], v[44:45]
	v_mul_f64_e32 v[42:43], v[42:43], v[44:45]
.LBB51_49:                              ;   in Loop: Header=BB51_4 Depth=1
	s_or_b32 exec_lo, exec_lo, s7
	s_delay_alu instid0(VALU_DEP_1) | instskip(SKIP_2) | instid1(VALU_DEP_2)
	v_mul_f64_e32 v[44:45], s[10:11], v[42:43]
	v_mul_f64_e32 v[42:43], s[8:9], v[42:43]
	s_mov_b32 s7, 0
	v_fma_f64 v[44:45], s[8:9], v[66:67], -v[44:45]
	s_delay_alu instid0(VALU_DEP_2)
	v_fmac_f64_e32 v[42:43], s[10:11], v[66:67]
.LBB51_50:                              ;   in Loop: Header=BB51_4 Depth=1
	s_and_b32 vcc_lo, exec_lo, s7
	s_cbranch_vccz .LBB51_60
; %bb.51:                               ;   in Loop: Header=BB51_4 Depth=1
                                        ; implicit-def: $vgpr42_vgpr43
                                        ; implicit-def: $vgpr44_vgpr45
	s_and_saveexec_b32 s7, s6
	s_delay_alu instid0(SALU_CYCLE_1)
	s_xor_b32 s7, exec_lo, s7
	s_cbranch_execz .LBB51_57
; %bb.52:                               ;   in Loop: Header=BB51_4 Depth=1
	v_cmp_neq_f64_e32 vcc_lo, 0, v[38:39]
	v_cmp_neq_f64_e64 s6, 0, v[40:41]
                                        ; implicit-def: $vgpr42_vgpr43
                                        ; implicit-def: $vgpr44_vgpr45
	s_or_b32 s6, s6, vcc_lo
	s_delay_alu instid0(SALU_CYCLE_1) | instskip(NEXT) | instid1(SALU_CYCLE_1)
	s_and_saveexec_b32 s34, s6
	s_xor_b32 s6, exec_lo, s34
	s_cbranch_execz .LBB51_54
; %bb.53:                               ;   in Loop: Header=BB51_4 Depth=1
	v_div_scale_f64 v[42:43], null, v[38:39], v[38:39], v[40:41]
	v_div_scale_f64 v[48:49], vcc_lo, v[40:41], v[38:39], v[40:41]
	s_delay_alu instid0(VALU_DEP_2) | instskip(SKIP_1) | instid1(TRANS32_DEP_1)
	v_rcp_f64_e32 v[44:45], v[42:43]
	v_nop
	v_fma_f64 v[46:47], -v[42:43], v[44:45], 1.0
	s_delay_alu instid0(VALU_DEP_1) | instskip(NEXT) | instid1(VALU_DEP_1)
	v_fmac_f64_e32 v[44:45], v[44:45], v[46:47]
	v_fma_f64 v[46:47], -v[42:43], v[44:45], 1.0
	s_delay_alu instid0(VALU_DEP_1) | instskip(NEXT) | instid1(VALU_DEP_1)
	v_fmac_f64_e32 v[44:45], v[44:45], v[46:47]
	v_mul_f64_e32 v[46:47], v[48:49], v[44:45]
	s_delay_alu instid0(VALU_DEP_1) | instskip(NEXT) | instid1(VALU_DEP_1)
	v_fma_f64 v[42:43], -v[42:43], v[46:47], v[48:49]
	v_div_fmas_f64 v[42:43], v[42:43], v[44:45], v[46:47]
	s_delay_alu instid0(VALU_DEP_1) | instskip(NEXT) | instid1(VALU_DEP_1)
	v_div_fixup_f64 v[42:43], v[42:43], v[38:39], v[40:41]
	v_fmac_f64_e32 v[38:39], v[40:41], v[42:43]
	s_delay_alu instid0(VALU_DEP_1) | instskip(SKIP_1) | instid1(VALU_DEP_2)
	v_div_scale_f64 v[40:41], null, v[38:39], v[38:39], 1.0
	v_div_scale_f64 v[48:49], vcc_lo, 1.0, v[38:39], 1.0
	v_rcp_f64_e32 v[44:45], v[40:41]
	v_nop
	s_delay_alu instid0(TRANS32_DEP_1) | instskip(NEXT) | instid1(VALU_DEP_1)
	v_fma_f64 v[46:47], -v[40:41], v[44:45], 1.0
	v_fmac_f64_e32 v[44:45], v[44:45], v[46:47]
	s_delay_alu instid0(VALU_DEP_1) | instskip(NEXT) | instid1(VALU_DEP_1)
	v_fma_f64 v[46:47], -v[40:41], v[44:45], 1.0
	v_fmac_f64_e32 v[44:45], v[44:45], v[46:47]
	s_delay_alu instid0(VALU_DEP_1) | instskip(NEXT) | instid1(VALU_DEP_1)
	v_mul_f64_e32 v[46:47], v[48:49], v[44:45]
	v_fma_f64 v[40:41], -v[40:41], v[46:47], v[48:49]
                                        ; implicit-def: $vgpr48_vgpr49
	s_delay_alu instid0(VALU_DEP_1) | instskip(SKIP_2) | instid1(VALU_DEP_3)
	v_div_fmas_f64 v[40:41], v[40:41], v[44:45], v[46:47]
	v_fma_f64 v[44:45], v[36:37], v[42:43], v[34:35]
	v_fma_f64 v[34:35], -v[34:35], v[42:43], v[36:37]
                                        ; implicit-def: $vgpr46_vgpr47
	v_div_fixup_f64 v[38:39], v[40:41], v[38:39], 1.0
	s_delay_alu instid0(VALU_DEP_1) | instskip(NEXT) | instid1(VALU_DEP_3)
	v_mul_f64_e32 v[44:45], v[44:45], v[38:39]
	v_mul_f64_e32 v[42:43], v[34:35], v[38:39]
                                        ; implicit-def: $vgpr34_vgpr35
.LBB51_54:                              ;   in Loop: Header=BB51_4 Depth=1
	s_and_not1_saveexec_b32 s34, s6
	s_cbranch_execz .LBB51_56
; %bb.55:                               ;   in Loop: Header=BB51_4 Depth=1
	v_div_scale_f64 v[38:39], null, v[46:47], v[46:47], v[34:35]
	v_div_scale_f64 v[40:41], null, v[48:49], v[48:49], v[36:37]
	v_div_scale_f64 v[70:71], vcc_lo, v[34:35], v[46:47], v[34:35]
	s_delay_alu instid0(VALU_DEP_3) | instskip(NEXT) | instid1(VALU_DEP_2)
	v_rcp_f64_e32 v[42:43], v[38:39]
	v_rcp_f64_e32 v[44:45], v[40:41]
	s_delay_alu instid0(TRANS32_DEP_2) | instskip(NEXT) | instid1(TRANS32_DEP_1)
	v_fma_f64 v[66:67], -v[38:39], v[42:43], 1.0
	v_fma_f64 v[68:69], -v[40:41], v[44:45], 1.0
	s_delay_alu instid0(VALU_DEP_2) | instskip(NEXT) | instid1(VALU_DEP_2)
	v_fmac_f64_e32 v[42:43], v[42:43], v[66:67]
	v_fmac_f64_e32 v[44:45], v[44:45], v[68:69]
	s_delay_alu instid0(VALU_DEP_2) | instskip(NEXT) | instid1(VALU_DEP_2)
	v_fma_f64 v[66:67], -v[38:39], v[42:43], 1.0
	v_fma_f64 v[68:69], -v[40:41], v[44:45], 1.0
	s_delay_alu instid0(VALU_DEP_2) | instskip(SKIP_1) | instid1(VALU_DEP_3)
	v_fmac_f64_e32 v[42:43], v[42:43], v[66:67]
	v_div_scale_f64 v[66:67], s6, v[36:37], v[48:49], v[36:37]
	v_fmac_f64_e32 v[44:45], v[44:45], v[68:69]
	s_delay_alu instid0(VALU_DEP_3) | instskip(NEXT) | instid1(VALU_DEP_2)
	v_mul_f64_e32 v[68:69], v[70:71], v[42:43]
	v_mul_f64_e32 v[72:73], v[66:67], v[44:45]
	s_delay_alu instid0(VALU_DEP_2) | instskip(NEXT) | instid1(VALU_DEP_2)
	v_fma_f64 v[38:39], -v[38:39], v[68:69], v[70:71]
	v_fma_f64 v[40:41], -v[40:41], v[72:73], v[66:67]
	s_delay_alu instid0(VALU_DEP_2) | instskip(SKIP_1) | instid1(VALU_DEP_2)
	v_div_fmas_f64 v[38:39], v[38:39], v[42:43], v[68:69]
	s_mov_b32 vcc_lo, s6
	v_div_fmas_f64 v[40:41], v[40:41], v[44:45], v[72:73]
	s_delay_alu instid0(VALU_DEP_2) | instskip(NEXT) | instid1(VALU_DEP_2)
	v_div_fixup_f64 v[44:45], v[38:39], v[46:47], v[34:35]
	v_div_fixup_f64 v[42:43], v[40:41], v[48:49], v[36:37]
.LBB51_56:                              ;   in Loop: Header=BB51_4 Depth=1
	s_or_b32 exec_lo, exec_lo, s34
                                        ; implicit-def: $vgpr40_vgpr41
                                        ; implicit-def: $vgpr34_vgpr35
.LBB51_57:                              ;   in Loop: Header=BB51_4 Depth=1
	s_and_not1_saveexec_b32 s6, s7
	s_cbranch_execz .LBB51_59
; %bb.58:                               ;   in Loop: Header=BB51_4 Depth=1
	v_div_scale_f64 v[42:43], null, v[40:41], v[40:41], v[38:39]
	v_div_scale_f64 v[48:49], vcc_lo, v[38:39], v[40:41], v[38:39]
	s_delay_alu instid0(VALU_DEP_2) | instskip(SKIP_1) | instid1(TRANS32_DEP_1)
	v_rcp_f64_e32 v[44:45], v[42:43]
	v_nop
	v_fma_f64 v[46:47], -v[42:43], v[44:45], 1.0
	s_delay_alu instid0(VALU_DEP_1) | instskip(NEXT) | instid1(VALU_DEP_1)
	v_fmac_f64_e32 v[44:45], v[44:45], v[46:47]
	v_fma_f64 v[46:47], -v[42:43], v[44:45], 1.0
	s_delay_alu instid0(VALU_DEP_1) | instskip(NEXT) | instid1(VALU_DEP_1)
	v_fmac_f64_e32 v[44:45], v[44:45], v[46:47]
	v_mul_f64_e32 v[46:47], v[48:49], v[44:45]
	s_delay_alu instid0(VALU_DEP_1) | instskip(NEXT) | instid1(VALU_DEP_1)
	v_fma_f64 v[42:43], -v[42:43], v[46:47], v[48:49]
	v_div_fmas_f64 v[42:43], v[42:43], v[44:45], v[46:47]
	s_delay_alu instid0(VALU_DEP_1) | instskip(NEXT) | instid1(VALU_DEP_1)
	v_div_fixup_f64 v[42:43], v[42:43], v[40:41], v[38:39]
	v_fmac_f64_e32 v[40:41], v[38:39], v[42:43]
	s_delay_alu instid0(VALU_DEP_1) | instskip(SKIP_1) | instid1(VALU_DEP_2)
	v_div_scale_f64 v[38:39], null, v[40:41], v[40:41], 1.0
	v_div_scale_f64 v[48:49], vcc_lo, 1.0, v[40:41], 1.0
	v_rcp_f64_e32 v[44:45], v[38:39]
	v_nop
	s_delay_alu instid0(TRANS32_DEP_1) | instskip(NEXT) | instid1(VALU_DEP_1)
	v_fma_f64 v[46:47], -v[38:39], v[44:45], 1.0
	v_fmac_f64_e32 v[44:45], v[44:45], v[46:47]
	s_delay_alu instid0(VALU_DEP_1) | instskip(NEXT) | instid1(VALU_DEP_1)
	v_fma_f64 v[46:47], -v[38:39], v[44:45], 1.0
	v_fmac_f64_e32 v[44:45], v[44:45], v[46:47]
	s_delay_alu instid0(VALU_DEP_1) | instskip(NEXT) | instid1(VALU_DEP_1)
	v_mul_f64_e32 v[46:47], v[48:49], v[44:45]
	v_fma_f64 v[38:39], -v[38:39], v[46:47], v[48:49]
	s_delay_alu instid0(VALU_DEP_1) | instskip(SKIP_2) | instid1(VALU_DEP_3)
	v_div_fmas_f64 v[38:39], v[38:39], v[44:45], v[46:47]
	v_fma_f64 v[44:45], v[34:35], v[42:43], v[36:37]
	v_fma_f64 v[34:35], v[36:37], v[42:43], -v[34:35]
	v_div_fixup_f64 v[38:39], v[38:39], v[40:41], 1.0
	s_delay_alu instid0(VALU_DEP_1) | instskip(NEXT) | instid1(VALU_DEP_3)
	v_mul_f64_e32 v[44:45], v[44:45], v[38:39]
	v_mul_f64_e32 v[42:43], v[34:35], v[38:39]
.LBB51_59:                              ;   in Loop: Header=BB51_4 Depth=1
	s_or_b32 exec_lo, exec_lo, s6
.LBB51_60:                              ;   in Loop: Header=BB51_4 Depth=1
	v_cmp_gt_f64_e32 vcc_lo, 0, v[30:31]
	v_xor_b32_e32 v34, 0x80000000, v31
	v_mov_b32_e32 v38, v30
	v_xor_b32_e32 v35, 0x80000000, v33
	s_mov_b32 s7, -1
                                        ; implicit-def: $vgpr36_vgpr37
	s_delay_alu instid0(VALU_DEP_3) | instskip(SKIP_1) | instid1(VALU_DEP_3)
	v_dual_mov_b32 v40, v32 :: v_dual_cndmask_b32 v39, v31, v34
	v_cmp_gt_f64_e32 vcc_lo, 0, v[32:33]
	v_cndmask_b32_e32 v41, v33, v35, vcc_lo
	s_and_not1_b32 vcc_lo, exec_lo, s33
                                        ; implicit-def: $vgpr34_vgpr35
	s_delay_alu instid0(VALU_DEP_1)
	v_cmp_ge_f64_e64 s6, v[38:39], v[40:41]
	s_cbranch_vccnz .LBB51_70
; %bb.61:                               ;   in Loop: Header=BB51_4 Depth=1
                                        ; implicit-def: $vgpr34_vgpr35
                                        ; implicit-def: $vgpr46_vgpr47
	s_and_saveexec_b32 s7, s6
	s_delay_alu instid0(SALU_CYCLE_1)
	s_xor_b32 s34, exec_lo, s7
	s_cbranch_execz .LBB51_67
; %bb.62:                               ;   in Loop: Header=BB51_4 Depth=1
	v_cmp_neq_f64_e32 vcc_lo, 0, v[30:31]
	v_cmp_neq_f64_e64 s7, 0, v[32:33]
                                        ; implicit-def: $vgpr34_vgpr35
                                        ; implicit-def: $vgpr46_vgpr47
	s_or_b32 s7, s7, vcc_lo
	s_delay_alu instid0(SALU_CYCLE_1) | instskip(NEXT) | instid1(SALU_CYCLE_1)
	s_and_saveexec_b32 s35, s7
	s_xor_b32 s7, exec_lo, s35
	s_cbranch_execz .LBB51_64
; %bb.63:                               ;   in Loop: Header=BB51_4 Depth=1
	v_div_scale_f64 v[34:35], null, v[30:31], v[30:31], v[32:33]
	v_div_scale_f64 v[48:49], vcc_lo, v[32:33], v[30:31], v[32:33]
	s_delay_alu instid0(VALU_DEP_2) | instskip(SKIP_1) | instid1(TRANS32_DEP_1)
	v_rcp_f64_e32 v[36:37], v[34:35]
	v_nop
	v_fma_f64 v[46:47], -v[34:35], v[36:37], 1.0
	s_delay_alu instid0(VALU_DEP_1) | instskip(NEXT) | instid1(VALU_DEP_1)
	v_fmac_f64_e32 v[36:37], v[36:37], v[46:47]
	v_fma_f64 v[46:47], -v[34:35], v[36:37], 1.0
	s_delay_alu instid0(VALU_DEP_1) | instskip(NEXT) | instid1(VALU_DEP_1)
	v_fmac_f64_e32 v[36:37], v[36:37], v[46:47]
	v_mul_f64_e32 v[46:47], v[48:49], v[36:37]
	s_delay_alu instid0(VALU_DEP_1) | instskip(NEXT) | instid1(VALU_DEP_1)
	v_fma_f64 v[34:35], -v[34:35], v[46:47], v[48:49]
	v_div_fmas_f64 v[34:35], v[34:35], v[36:37], v[46:47]
	s_delay_alu instid0(VALU_DEP_1) | instskip(NEXT) | instid1(VALU_DEP_1)
	v_div_fixup_f64 v[34:35], v[34:35], v[30:31], v[32:33]
	v_fma_f64 v[36:37], v[32:33], v[34:35], v[30:31]
	s_delay_alu instid0(VALU_DEP_1) | instskip(SKIP_1) | instid1(VALU_DEP_2)
	v_div_scale_f64 v[46:47], null, v[36:37], v[36:37], 1.0
	v_div_scale_f64 v[68:69], vcc_lo, 1.0, v[36:37], 1.0
	v_rcp_f64_e32 v[48:49], v[46:47]
	v_nop
	s_delay_alu instid0(TRANS32_DEP_1) | instskip(NEXT) | instid1(VALU_DEP_1)
	v_fma_f64 v[66:67], -v[46:47], v[48:49], 1.0
	v_fmac_f64_e32 v[48:49], v[48:49], v[66:67]
	s_delay_alu instid0(VALU_DEP_1) | instskip(NEXT) | instid1(VALU_DEP_1)
	v_fma_f64 v[66:67], -v[46:47], v[48:49], 1.0
	v_fmac_f64_e32 v[48:49], v[48:49], v[66:67]
	s_delay_alu instid0(VALU_DEP_1) | instskip(NEXT) | instid1(VALU_DEP_1)
	v_mul_f64_e32 v[66:67], v[68:69], v[48:49]
	v_fma_f64 v[46:47], -v[46:47], v[66:67], v[68:69]
	s_delay_alu instid0(VALU_DEP_1) | instskip(SKIP_2) | instid1(VALU_DEP_3)
	v_div_fmas_f64 v[46:47], v[46:47], v[48:49], v[66:67]
	v_fma_f64 v[48:49], v[28:29], v[34:35], v[26:27]
	v_fma_f64 v[34:35], -v[26:27], v[34:35], v[28:29]
	v_div_fixup_f64 v[36:37], v[46:47], v[36:37], 1.0
	s_delay_alu instid0(VALU_DEP_1) | instskip(NEXT) | instid1(VALU_DEP_3)
	v_mul_f64_e32 v[46:47], v[48:49], v[36:37]
	v_mul_f64_e32 v[34:35], v[34:35], v[36:37]
.LBB51_64:                              ;   in Loop: Header=BB51_4 Depth=1
	s_and_not1_saveexec_b32 s35, s7
	s_cbranch_execz .LBB51_66
; %bb.65:                               ;   in Loop: Header=BB51_4 Depth=1
	v_div_scale_f64 v[34:35], null, v[38:39], v[38:39], v[26:27]
	v_div_scale_f64 v[36:37], null, v[40:41], v[40:41], v[28:29]
	v_div_scale_f64 v[70:71], vcc_lo, v[26:27], v[38:39], v[26:27]
	s_delay_alu instid0(VALU_DEP_3) | instskip(NEXT) | instid1(VALU_DEP_2)
	v_rcp_f64_e32 v[46:47], v[34:35]
	v_rcp_f64_e32 v[48:49], v[36:37]
	s_delay_alu instid0(TRANS32_DEP_2) | instskip(NEXT) | instid1(TRANS32_DEP_1)
	v_fma_f64 v[66:67], -v[34:35], v[46:47], 1.0
	v_fma_f64 v[68:69], -v[36:37], v[48:49], 1.0
	s_delay_alu instid0(VALU_DEP_2) | instskip(NEXT) | instid1(VALU_DEP_2)
	v_fmac_f64_e32 v[46:47], v[46:47], v[66:67]
	v_fmac_f64_e32 v[48:49], v[48:49], v[68:69]
	s_delay_alu instid0(VALU_DEP_2) | instskip(NEXT) | instid1(VALU_DEP_2)
	v_fma_f64 v[66:67], -v[34:35], v[46:47], 1.0
	v_fma_f64 v[68:69], -v[36:37], v[48:49], 1.0
	s_delay_alu instid0(VALU_DEP_2) | instskip(SKIP_1) | instid1(VALU_DEP_3)
	v_fmac_f64_e32 v[46:47], v[46:47], v[66:67]
	v_div_scale_f64 v[66:67], s7, v[28:29], v[40:41], v[28:29]
	v_fmac_f64_e32 v[48:49], v[48:49], v[68:69]
	s_delay_alu instid0(VALU_DEP_3) | instskip(NEXT) | instid1(VALU_DEP_2)
	v_mul_f64_e32 v[68:69], v[70:71], v[46:47]
	v_mul_f64_e32 v[72:73], v[66:67], v[48:49]
	s_delay_alu instid0(VALU_DEP_2) | instskip(NEXT) | instid1(VALU_DEP_2)
	v_fma_f64 v[34:35], -v[34:35], v[68:69], v[70:71]
	v_fma_f64 v[36:37], -v[36:37], v[72:73], v[66:67]
	s_delay_alu instid0(VALU_DEP_2) | instskip(SKIP_1) | instid1(VALU_DEP_2)
	v_div_fmas_f64 v[34:35], v[34:35], v[46:47], v[68:69]
	s_mov_b32 vcc_lo, s7
	v_div_fmas_f64 v[36:37], v[36:37], v[48:49], v[72:73]
	s_delay_alu instid0(VALU_DEP_2) | instskip(NEXT) | instid1(VALU_DEP_2)
	v_div_fixup_f64 v[46:47], v[34:35], v[38:39], v[26:27]
	v_div_fixup_f64 v[34:35], v[36:37], v[40:41], v[28:29]
.LBB51_66:                              ;   in Loop: Header=BB51_4 Depth=1
	s_or_b32 exec_lo, exec_lo, s35
.LBB51_67:                              ;   in Loop: Header=BB51_4 Depth=1
	s_and_not1_saveexec_b32 s7, s34
	s_cbranch_execz .LBB51_69
; %bb.68:                               ;   in Loop: Header=BB51_4 Depth=1
	v_div_scale_f64 v[34:35], null, v[32:33], v[32:33], v[30:31]
	v_div_scale_f64 v[48:49], vcc_lo, v[30:31], v[32:33], v[30:31]
	s_delay_alu instid0(VALU_DEP_2) | instskip(SKIP_1) | instid1(TRANS32_DEP_1)
	v_rcp_f64_e32 v[36:37], v[34:35]
	v_nop
	v_fma_f64 v[46:47], -v[34:35], v[36:37], 1.0
	s_delay_alu instid0(VALU_DEP_1) | instskip(NEXT) | instid1(VALU_DEP_1)
	v_fmac_f64_e32 v[36:37], v[36:37], v[46:47]
	v_fma_f64 v[46:47], -v[34:35], v[36:37], 1.0
	s_delay_alu instid0(VALU_DEP_1) | instskip(NEXT) | instid1(VALU_DEP_1)
	v_fmac_f64_e32 v[36:37], v[36:37], v[46:47]
	v_mul_f64_e32 v[46:47], v[48:49], v[36:37]
	s_delay_alu instid0(VALU_DEP_1) | instskip(NEXT) | instid1(VALU_DEP_1)
	v_fma_f64 v[34:35], -v[34:35], v[46:47], v[48:49]
	v_div_fmas_f64 v[34:35], v[34:35], v[36:37], v[46:47]
	s_delay_alu instid0(VALU_DEP_1) | instskip(NEXT) | instid1(VALU_DEP_1)
	v_div_fixup_f64 v[34:35], v[34:35], v[32:33], v[30:31]
	v_fma_f64 v[36:37], v[30:31], v[34:35], v[32:33]
	s_delay_alu instid0(VALU_DEP_1) | instskip(SKIP_1) | instid1(VALU_DEP_2)
	v_div_scale_f64 v[46:47], null, v[36:37], v[36:37], 1.0
	v_div_scale_f64 v[68:69], vcc_lo, 1.0, v[36:37], 1.0
	v_rcp_f64_e32 v[48:49], v[46:47]
	v_nop
	s_delay_alu instid0(TRANS32_DEP_1) | instskip(NEXT) | instid1(VALU_DEP_1)
	v_fma_f64 v[66:67], -v[46:47], v[48:49], 1.0
	v_fmac_f64_e32 v[48:49], v[48:49], v[66:67]
	s_delay_alu instid0(VALU_DEP_1) | instskip(NEXT) | instid1(VALU_DEP_1)
	v_fma_f64 v[66:67], -v[46:47], v[48:49], 1.0
	v_fmac_f64_e32 v[48:49], v[48:49], v[66:67]
	s_delay_alu instid0(VALU_DEP_1) | instskip(NEXT) | instid1(VALU_DEP_1)
	v_mul_f64_e32 v[66:67], v[68:69], v[48:49]
	v_fma_f64 v[46:47], -v[46:47], v[66:67], v[68:69]
	s_delay_alu instid0(VALU_DEP_1) | instskip(SKIP_2) | instid1(VALU_DEP_3)
	v_div_fmas_f64 v[46:47], v[46:47], v[48:49], v[66:67]
	v_fma_f64 v[48:49], v[26:27], v[34:35], v[28:29]
	v_fma_f64 v[34:35], v[28:29], v[34:35], -v[26:27]
	v_div_fixup_f64 v[36:37], v[46:47], v[36:37], 1.0
	s_delay_alu instid0(VALU_DEP_1) | instskip(NEXT) | instid1(VALU_DEP_3)
	v_mul_f64_e32 v[46:47], v[48:49], v[36:37]
	v_mul_f64_e32 v[34:35], v[34:35], v[36:37]
.LBB51_69:                              ;   in Loop: Header=BB51_4 Depth=1
	s_or_b32 exec_lo, exec_lo, s7
	s_delay_alu instid0(VALU_DEP_1) | instskip(SKIP_2) | instid1(VALU_DEP_2)
	v_mul_f64_e32 v[36:37], s[10:11], v[34:35]
	v_mul_f64_e32 v[34:35], s[8:9], v[34:35]
	s_mov_b32 s7, 0
	v_fma_f64 v[36:37], s[8:9], v[46:47], -v[36:37]
	s_delay_alu instid0(VALU_DEP_2)
	v_fmac_f64_e32 v[34:35], s[10:11], v[46:47]
.LBB51_70:                              ;   in Loop: Header=BB51_4 Depth=1
	s_and_b32 vcc_lo, exec_lo, s7
	s_cbranch_vccz .LBB51_80
; %bb.71:                               ;   in Loop: Header=BB51_4 Depth=1
                                        ; implicit-def: $vgpr34_vgpr35
                                        ; implicit-def: $vgpr36_vgpr37
	s_and_saveexec_b32 s7, s6
	s_delay_alu instid0(SALU_CYCLE_1)
	s_xor_b32 s7, exec_lo, s7
	s_cbranch_execz .LBB51_77
; %bb.72:                               ;   in Loop: Header=BB51_4 Depth=1
	v_cmp_neq_f64_e32 vcc_lo, 0, v[30:31]
	v_cmp_neq_f64_e64 s6, 0, v[32:33]
                                        ; implicit-def: $vgpr34_vgpr35
                                        ; implicit-def: $vgpr36_vgpr37
	s_or_b32 s6, s6, vcc_lo
	s_delay_alu instid0(SALU_CYCLE_1) | instskip(NEXT) | instid1(SALU_CYCLE_1)
	s_and_saveexec_b32 s34, s6
	s_xor_b32 s6, exec_lo, s34
	s_cbranch_execz .LBB51_74
; %bb.73:                               ;   in Loop: Header=BB51_4 Depth=1
	v_div_scale_f64 v[34:35], null, v[30:31], v[30:31], v[32:33]
	v_div_scale_f64 v[40:41], vcc_lo, v[32:33], v[30:31], v[32:33]
	s_delay_alu instid0(VALU_DEP_2) | instskip(SKIP_1) | instid1(TRANS32_DEP_1)
	v_rcp_f64_e32 v[36:37], v[34:35]
	v_nop
	v_fma_f64 v[38:39], -v[34:35], v[36:37], 1.0
	s_delay_alu instid0(VALU_DEP_1) | instskip(NEXT) | instid1(VALU_DEP_1)
	v_fmac_f64_e32 v[36:37], v[36:37], v[38:39]
	v_fma_f64 v[38:39], -v[34:35], v[36:37], 1.0
	s_delay_alu instid0(VALU_DEP_1) | instskip(NEXT) | instid1(VALU_DEP_1)
	v_fmac_f64_e32 v[36:37], v[36:37], v[38:39]
	v_mul_f64_e32 v[38:39], v[40:41], v[36:37]
	s_delay_alu instid0(VALU_DEP_1) | instskip(NEXT) | instid1(VALU_DEP_1)
	v_fma_f64 v[34:35], -v[34:35], v[38:39], v[40:41]
	v_div_fmas_f64 v[34:35], v[34:35], v[36:37], v[38:39]
	s_delay_alu instid0(VALU_DEP_1) | instskip(NEXT) | instid1(VALU_DEP_1)
	v_div_fixup_f64 v[34:35], v[34:35], v[30:31], v[32:33]
	v_fmac_f64_e32 v[30:31], v[32:33], v[34:35]
	s_delay_alu instid0(VALU_DEP_1) | instskip(SKIP_1) | instid1(VALU_DEP_2)
	v_div_scale_f64 v[32:33], null, v[30:31], v[30:31], 1.0
	v_div_scale_f64 v[40:41], vcc_lo, 1.0, v[30:31], 1.0
	v_rcp_f64_e32 v[36:37], v[32:33]
	v_nop
	s_delay_alu instid0(TRANS32_DEP_1) | instskip(NEXT) | instid1(VALU_DEP_1)
	v_fma_f64 v[38:39], -v[32:33], v[36:37], 1.0
	v_fmac_f64_e32 v[36:37], v[36:37], v[38:39]
	s_delay_alu instid0(VALU_DEP_1) | instskip(NEXT) | instid1(VALU_DEP_1)
	v_fma_f64 v[38:39], -v[32:33], v[36:37], 1.0
	v_fmac_f64_e32 v[36:37], v[36:37], v[38:39]
	s_delay_alu instid0(VALU_DEP_1) | instskip(NEXT) | instid1(VALU_DEP_1)
	v_mul_f64_e32 v[38:39], v[40:41], v[36:37]
	v_fma_f64 v[32:33], -v[32:33], v[38:39], v[40:41]
                                        ; implicit-def: $vgpr40_vgpr41
	s_delay_alu instid0(VALU_DEP_1) | instskip(SKIP_2) | instid1(VALU_DEP_3)
	v_div_fmas_f64 v[32:33], v[32:33], v[36:37], v[38:39]
	v_fma_f64 v[36:37], v[28:29], v[34:35], v[26:27]
	v_fma_f64 v[26:27], -v[26:27], v[34:35], v[28:29]
                                        ; implicit-def: $vgpr38_vgpr39
	v_div_fixup_f64 v[30:31], v[32:33], v[30:31], 1.0
	s_delay_alu instid0(VALU_DEP_1) | instskip(NEXT) | instid1(VALU_DEP_3)
	v_mul_f64_e32 v[36:37], v[36:37], v[30:31]
	v_mul_f64_e32 v[34:35], v[26:27], v[30:31]
                                        ; implicit-def: $vgpr26_vgpr27
.LBB51_74:                              ;   in Loop: Header=BB51_4 Depth=1
	s_and_not1_saveexec_b32 s34, s6
	s_cbranch_execz .LBB51_76
; %bb.75:                               ;   in Loop: Header=BB51_4 Depth=1
	v_div_scale_f64 v[30:31], null, v[38:39], v[38:39], v[26:27]
	v_div_scale_f64 v[32:33], null, v[40:41], v[40:41], v[28:29]
	v_div_scale_f64 v[66:67], vcc_lo, v[26:27], v[38:39], v[26:27]
	s_delay_alu instid0(VALU_DEP_3) | instskip(NEXT) | instid1(VALU_DEP_2)
	v_rcp_f64_e32 v[34:35], v[30:31]
	v_rcp_f64_e32 v[36:37], v[32:33]
	s_delay_alu instid0(TRANS32_DEP_2) | instskip(NEXT) | instid1(TRANS32_DEP_1)
	v_fma_f64 v[46:47], -v[30:31], v[34:35], 1.0
	v_fma_f64 v[48:49], -v[32:33], v[36:37], 1.0
	s_delay_alu instid0(VALU_DEP_2) | instskip(NEXT) | instid1(VALU_DEP_2)
	v_fmac_f64_e32 v[34:35], v[34:35], v[46:47]
	v_fmac_f64_e32 v[36:37], v[36:37], v[48:49]
	s_delay_alu instid0(VALU_DEP_2) | instskip(NEXT) | instid1(VALU_DEP_2)
	v_fma_f64 v[46:47], -v[30:31], v[34:35], 1.0
	v_fma_f64 v[48:49], -v[32:33], v[36:37], 1.0
	s_delay_alu instid0(VALU_DEP_2) | instskip(SKIP_1) | instid1(VALU_DEP_3)
	v_fmac_f64_e32 v[34:35], v[34:35], v[46:47]
	v_div_scale_f64 v[46:47], s6, v[28:29], v[40:41], v[28:29]
	v_fmac_f64_e32 v[36:37], v[36:37], v[48:49]
	s_delay_alu instid0(VALU_DEP_3) | instskip(NEXT) | instid1(VALU_DEP_2)
	v_mul_f64_e32 v[48:49], v[66:67], v[34:35]
	v_mul_f64_e32 v[68:69], v[46:47], v[36:37]
	s_delay_alu instid0(VALU_DEP_2) | instskip(NEXT) | instid1(VALU_DEP_2)
	v_fma_f64 v[30:31], -v[30:31], v[48:49], v[66:67]
	v_fma_f64 v[32:33], -v[32:33], v[68:69], v[46:47]
	s_delay_alu instid0(VALU_DEP_2) | instskip(SKIP_1) | instid1(VALU_DEP_2)
	v_div_fmas_f64 v[30:31], v[30:31], v[34:35], v[48:49]
	s_mov_b32 vcc_lo, s6
	v_div_fmas_f64 v[32:33], v[32:33], v[36:37], v[68:69]
	s_delay_alu instid0(VALU_DEP_2) | instskip(NEXT) | instid1(VALU_DEP_2)
	v_div_fixup_f64 v[36:37], v[30:31], v[38:39], v[26:27]
	v_div_fixup_f64 v[34:35], v[32:33], v[40:41], v[28:29]
.LBB51_76:                              ;   in Loop: Header=BB51_4 Depth=1
	s_or_b32 exec_lo, exec_lo, s34
                                        ; implicit-def: $vgpr32_vgpr33
                                        ; implicit-def: $vgpr26_vgpr27
.LBB51_77:                              ;   in Loop: Header=BB51_4 Depth=1
	s_and_not1_saveexec_b32 s6, s7
	s_cbranch_execz .LBB51_79
; %bb.78:                               ;   in Loop: Header=BB51_4 Depth=1
	v_div_scale_f64 v[34:35], null, v[32:33], v[32:33], v[30:31]
	v_div_scale_f64 v[40:41], vcc_lo, v[30:31], v[32:33], v[30:31]
	s_delay_alu instid0(VALU_DEP_2) | instskip(SKIP_1) | instid1(TRANS32_DEP_1)
	v_rcp_f64_e32 v[36:37], v[34:35]
	v_nop
	v_fma_f64 v[38:39], -v[34:35], v[36:37], 1.0
	s_delay_alu instid0(VALU_DEP_1) | instskip(NEXT) | instid1(VALU_DEP_1)
	v_fmac_f64_e32 v[36:37], v[36:37], v[38:39]
	v_fma_f64 v[38:39], -v[34:35], v[36:37], 1.0
	s_delay_alu instid0(VALU_DEP_1) | instskip(NEXT) | instid1(VALU_DEP_1)
	v_fmac_f64_e32 v[36:37], v[36:37], v[38:39]
	v_mul_f64_e32 v[38:39], v[40:41], v[36:37]
	s_delay_alu instid0(VALU_DEP_1) | instskip(NEXT) | instid1(VALU_DEP_1)
	v_fma_f64 v[34:35], -v[34:35], v[38:39], v[40:41]
	v_div_fmas_f64 v[34:35], v[34:35], v[36:37], v[38:39]
	s_delay_alu instid0(VALU_DEP_1) | instskip(NEXT) | instid1(VALU_DEP_1)
	v_div_fixup_f64 v[34:35], v[34:35], v[32:33], v[30:31]
	v_fmac_f64_e32 v[32:33], v[30:31], v[34:35]
	s_delay_alu instid0(VALU_DEP_1) | instskip(SKIP_1) | instid1(VALU_DEP_2)
	v_div_scale_f64 v[30:31], null, v[32:33], v[32:33], 1.0
	v_div_scale_f64 v[40:41], vcc_lo, 1.0, v[32:33], 1.0
	v_rcp_f64_e32 v[36:37], v[30:31]
	v_nop
	s_delay_alu instid0(TRANS32_DEP_1) | instskip(NEXT) | instid1(VALU_DEP_1)
	v_fma_f64 v[38:39], -v[30:31], v[36:37], 1.0
	v_fmac_f64_e32 v[36:37], v[36:37], v[38:39]
	s_delay_alu instid0(VALU_DEP_1) | instskip(NEXT) | instid1(VALU_DEP_1)
	v_fma_f64 v[38:39], -v[30:31], v[36:37], 1.0
	v_fmac_f64_e32 v[36:37], v[36:37], v[38:39]
	s_delay_alu instid0(VALU_DEP_1) | instskip(NEXT) | instid1(VALU_DEP_1)
	v_mul_f64_e32 v[38:39], v[40:41], v[36:37]
	v_fma_f64 v[30:31], -v[30:31], v[38:39], v[40:41]
	s_delay_alu instid0(VALU_DEP_1) | instskip(SKIP_2) | instid1(VALU_DEP_3)
	v_div_fmas_f64 v[30:31], v[30:31], v[36:37], v[38:39]
	v_fma_f64 v[36:37], v[26:27], v[34:35], v[28:29]
	v_fma_f64 v[26:27], v[28:29], v[34:35], -v[26:27]
	v_div_fixup_f64 v[30:31], v[30:31], v[32:33], 1.0
	s_delay_alu instid0(VALU_DEP_1) | instskip(NEXT) | instid1(VALU_DEP_3)
	v_mul_f64_e32 v[36:37], v[36:37], v[30:31]
	v_mul_f64_e32 v[34:35], v[26:27], v[30:31]
.LBB51_79:                              ;   in Loop: Header=BB51_4 Depth=1
	s_or_b32 exec_lo, exec_lo, s6
.LBB51_80:                              ;   in Loop: Header=BB51_4 Depth=1
	v_cmp_gt_f64_e32 vcc_lo, 0, v[22:23]
	v_xor_b32_e32 v27, 0x80000000, v23
	v_mov_b32_e32 v26, v22
	v_xor_b32_e32 v28, 0x80000000, v25
	s_mov_b32 s7, -1
                                        ; implicit-def: $vgpr30_vgpr31
                                        ; implicit-def: $vgpr32_vgpr33
	s_delay_alu instid0(VALU_DEP_3) | instskip(SKIP_1) | instid1(VALU_DEP_3)
	v_cndmask_b32_e32 v27, v23, v27, vcc_lo
	v_cmp_gt_f64_e32 vcc_lo, 0, v[24:25]
	v_dual_cndmask_b32 v29, v25, v28 :: v_dual_mov_b32 v28, v24
	s_and_not1_b32 vcc_lo, exec_lo, s33
	s_delay_alu instid0(VALU_DEP_1)
	v_cmp_ge_f64_e64 s6, v[26:27], v[28:29]
	s_cbranch_vccz .LBB51_86
; %bb.81:                               ;   in Loop: Header=BB51_4 Depth=1
	s_and_b32 vcc_lo, exec_lo, s7
	s_cbranch_vccnz .LBB51_95
.LBB51_82:                              ;   in Loop: Header=BB51_4 Depth=1
	s_and_saveexec_b32 s6, s2
	s_delay_alu instid0(SALU_CYCLE_1)
	s_xor_b32 s2, exec_lo, s6
	s_cbranch_execnz .LBB51_104
.LBB51_83:                              ;   in Loop: Header=BB51_4 Depth=1
	s_or_b32 exec_lo, exec_lo, s2
	s_and_saveexec_b32 s2, s3
	s_cbranch_execnz .LBB51_105
.LBB51_84:                              ;   in Loop: Header=BB51_4 Depth=1
	s_or_b32 exec_lo, exec_lo, s2
	s_and_saveexec_b32 s2, s4
	s_cbranch_execnz .LBB51_106
.LBB51_85:                              ;   in Loop: Header=BB51_4 Depth=1
	s_or_b32 exec_lo, exec_lo, s2
	s_and_saveexec_b32 s2, s5
	s_cbranch_execz .LBB51_3
	s_branch .LBB51_107
.LBB51_86:                              ;   in Loop: Header=BB51_4 Depth=1
                                        ; implicit-def: $vgpr30_vgpr31
                                        ; implicit-def: $vgpr38_vgpr39
	s_and_saveexec_b32 s7, s6
	s_delay_alu instid0(SALU_CYCLE_1)
	s_xor_b32 s34, exec_lo, s7
	s_cbranch_execz .LBB51_92
; %bb.87:                               ;   in Loop: Header=BB51_4 Depth=1
	v_cmp_neq_f64_e32 vcc_lo, 0, v[22:23]
	v_cmp_neq_f64_e64 s7, 0, v[24:25]
                                        ; implicit-def: $vgpr30_vgpr31
                                        ; implicit-def: $vgpr38_vgpr39
	s_or_b32 s7, s7, vcc_lo
	s_delay_alu instid0(SALU_CYCLE_1) | instskip(NEXT) | instid1(SALU_CYCLE_1)
	s_and_saveexec_b32 s35, s7
	s_xor_b32 s7, exec_lo, s35
	s_cbranch_execz .LBB51_89
; %bb.88:                               ;   in Loop: Header=BB51_4 Depth=1
	v_div_scale_f64 v[30:31], null, v[22:23], v[22:23], v[24:25]
	v_div_scale_f64 v[40:41], vcc_lo, v[24:25], v[22:23], v[24:25]
	s_delay_alu instid0(VALU_DEP_2) | instskip(SKIP_1) | instid1(TRANS32_DEP_1)
	v_rcp_f64_e32 v[32:33], v[30:31]
	v_nop
	v_fma_f64 v[38:39], -v[30:31], v[32:33], 1.0
	s_delay_alu instid0(VALU_DEP_1) | instskip(NEXT) | instid1(VALU_DEP_1)
	v_fmac_f64_e32 v[32:33], v[32:33], v[38:39]
	v_fma_f64 v[38:39], -v[30:31], v[32:33], 1.0
	s_delay_alu instid0(VALU_DEP_1) | instskip(NEXT) | instid1(VALU_DEP_1)
	v_fmac_f64_e32 v[32:33], v[32:33], v[38:39]
	v_mul_f64_e32 v[38:39], v[40:41], v[32:33]
	s_delay_alu instid0(VALU_DEP_1) | instskip(NEXT) | instid1(VALU_DEP_1)
	v_fma_f64 v[30:31], -v[30:31], v[38:39], v[40:41]
	v_div_fmas_f64 v[30:31], v[30:31], v[32:33], v[38:39]
	s_delay_alu instid0(VALU_DEP_1) | instskip(NEXT) | instid1(VALU_DEP_1)
	v_div_fixup_f64 v[30:31], v[30:31], v[22:23], v[24:25]
	v_fma_f64 v[32:33], v[24:25], v[30:31], v[22:23]
	s_delay_alu instid0(VALU_DEP_1) | instskip(SKIP_1) | instid1(VALU_DEP_2)
	v_div_scale_f64 v[38:39], null, v[32:33], v[32:33], 1.0
	v_div_scale_f64 v[48:49], vcc_lo, 1.0, v[32:33], 1.0
	v_rcp_f64_e32 v[40:41], v[38:39]
	v_nop
	s_delay_alu instid0(TRANS32_DEP_1) | instskip(NEXT) | instid1(VALU_DEP_1)
	v_fma_f64 v[46:47], -v[38:39], v[40:41], 1.0
	v_fmac_f64_e32 v[40:41], v[40:41], v[46:47]
	s_delay_alu instid0(VALU_DEP_1) | instskip(NEXT) | instid1(VALU_DEP_1)
	v_fma_f64 v[46:47], -v[38:39], v[40:41], 1.0
	v_fmac_f64_e32 v[40:41], v[40:41], v[46:47]
	s_delay_alu instid0(VALU_DEP_1) | instskip(NEXT) | instid1(VALU_DEP_1)
	v_mul_f64_e32 v[46:47], v[48:49], v[40:41]
	v_fma_f64 v[38:39], -v[38:39], v[46:47], v[48:49]
	s_delay_alu instid0(VALU_DEP_1) | instskip(SKIP_2) | instid1(VALU_DEP_3)
	v_div_fmas_f64 v[38:39], v[38:39], v[40:41], v[46:47]
	v_fma_f64 v[40:41], v[20:21], v[30:31], v[18:19]
	v_fma_f64 v[30:31], -v[18:19], v[30:31], v[20:21]
	v_div_fixup_f64 v[32:33], v[38:39], v[32:33], 1.0
	s_delay_alu instid0(VALU_DEP_1) | instskip(NEXT) | instid1(VALU_DEP_3)
	v_mul_f64_e32 v[38:39], v[40:41], v[32:33]
	v_mul_f64_e32 v[30:31], v[30:31], v[32:33]
.LBB51_89:                              ;   in Loop: Header=BB51_4 Depth=1
	s_and_not1_saveexec_b32 s35, s7
	s_cbranch_execz .LBB51_91
; %bb.90:                               ;   in Loop: Header=BB51_4 Depth=1
	v_div_scale_f64 v[30:31], null, v[26:27], v[26:27], v[18:19]
	v_div_scale_f64 v[32:33], null, v[28:29], v[28:29], v[20:21]
	v_div_scale_f64 v[66:67], vcc_lo, v[18:19], v[26:27], v[18:19]
	s_delay_alu instid0(VALU_DEP_3) | instskip(NEXT) | instid1(VALU_DEP_2)
	v_rcp_f64_e32 v[38:39], v[30:31]
	v_rcp_f64_e32 v[40:41], v[32:33]
	s_delay_alu instid0(TRANS32_DEP_2) | instskip(NEXT) | instid1(TRANS32_DEP_1)
	v_fma_f64 v[46:47], -v[30:31], v[38:39], 1.0
	v_fma_f64 v[48:49], -v[32:33], v[40:41], 1.0
	s_delay_alu instid0(VALU_DEP_2) | instskip(NEXT) | instid1(VALU_DEP_2)
	v_fmac_f64_e32 v[38:39], v[38:39], v[46:47]
	v_fmac_f64_e32 v[40:41], v[40:41], v[48:49]
	s_delay_alu instid0(VALU_DEP_2) | instskip(NEXT) | instid1(VALU_DEP_2)
	v_fma_f64 v[46:47], -v[30:31], v[38:39], 1.0
	v_fma_f64 v[48:49], -v[32:33], v[40:41], 1.0
	s_delay_alu instid0(VALU_DEP_2) | instskip(SKIP_1) | instid1(VALU_DEP_3)
	v_fmac_f64_e32 v[38:39], v[38:39], v[46:47]
	v_div_scale_f64 v[46:47], s7, v[20:21], v[28:29], v[20:21]
	v_fmac_f64_e32 v[40:41], v[40:41], v[48:49]
	s_delay_alu instid0(VALU_DEP_3) | instskip(NEXT) | instid1(VALU_DEP_2)
	v_mul_f64_e32 v[48:49], v[66:67], v[38:39]
	v_mul_f64_e32 v[68:69], v[46:47], v[40:41]
	s_delay_alu instid0(VALU_DEP_2) | instskip(NEXT) | instid1(VALU_DEP_2)
	v_fma_f64 v[30:31], -v[30:31], v[48:49], v[66:67]
	v_fma_f64 v[32:33], -v[32:33], v[68:69], v[46:47]
	s_delay_alu instid0(VALU_DEP_2) | instskip(SKIP_1) | instid1(VALU_DEP_2)
	v_div_fmas_f64 v[30:31], v[30:31], v[38:39], v[48:49]
	s_mov_b32 vcc_lo, s7
	v_div_fmas_f64 v[32:33], v[32:33], v[40:41], v[68:69]
	s_delay_alu instid0(VALU_DEP_2) | instskip(NEXT) | instid1(VALU_DEP_2)
	v_div_fixup_f64 v[38:39], v[30:31], v[26:27], v[18:19]
	v_div_fixup_f64 v[30:31], v[32:33], v[28:29], v[20:21]
.LBB51_91:                              ;   in Loop: Header=BB51_4 Depth=1
	s_or_b32 exec_lo, exec_lo, s35
.LBB51_92:                              ;   in Loop: Header=BB51_4 Depth=1
	s_and_not1_saveexec_b32 s7, s34
	s_cbranch_execz .LBB51_94
; %bb.93:                               ;   in Loop: Header=BB51_4 Depth=1
	v_div_scale_f64 v[30:31], null, v[24:25], v[24:25], v[22:23]
	v_div_scale_f64 v[40:41], vcc_lo, v[22:23], v[24:25], v[22:23]
	s_delay_alu instid0(VALU_DEP_2) | instskip(SKIP_1) | instid1(TRANS32_DEP_1)
	v_rcp_f64_e32 v[32:33], v[30:31]
	v_nop
	v_fma_f64 v[38:39], -v[30:31], v[32:33], 1.0
	s_delay_alu instid0(VALU_DEP_1) | instskip(NEXT) | instid1(VALU_DEP_1)
	v_fmac_f64_e32 v[32:33], v[32:33], v[38:39]
	v_fma_f64 v[38:39], -v[30:31], v[32:33], 1.0
	s_delay_alu instid0(VALU_DEP_1) | instskip(NEXT) | instid1(VALU_DEP_1)
	v_fmac_f64_e32 v[32:33], v[32:33], v[38:39]
	v_mul_f64_e32 v[38:39], v[40:41], v[32:33]
	s_delay_alu instid0(VALU_DEP_1) | instskip(NEXT) | instid1(VALU_DEP_1)
	v_fma_f64 v[30:31], -v[30:31], v[38:39], v[40:41]
	v_div_fmas_f64 v[30:31], v[30:31], v[32:33], v[38:39]
	s_delay_alu instid0(VALU_DEP_1) | instskip(NEXT) | instid1(VALU_DEP_1)
	v_div_fixup_f64 v[30:31], v[30:31], v[24:25], v[22:23]
	v_fma_f64 v[32:33], v[22:23], v[30:31], v[24:25]
	s_delay_alu instid0(VALU_DEP_1) | instskip(SKIP_1) | instid1(VALU_DEP_2)
	v_div_scale_f64 v[38:39], null, v[32:33], v[32:33], 1.0
	v_div_scale_f64 v[48:49], vcc_lo, 1.0, v[32:33], 1.0
	v_rcp_f64_e32 v[40:41], v[38:39]
	v_nop
	s_delay_alu instid0(TRANS32_DEP_1) | instskip(NEXT) | instid1(VALU_DEP_1)
	v_fma_f64 v[46:47], -v[38:39], v[40:41], 1.0
	v_fmac_f64_e32 v[40:41], v[40:41], v[46:47]
	s_delay_alu instid0(VALU_DEP_1) | instskip(NEXT) | instid1(VALU_DEP_1)
	v_fma_f64 v[46:47], -v[38:39], v[40:41], 1.0
	v_fmac_f64_e32 v[40:41], v[40:41], v[46:47]
	s_delay_alu instid0(VALU_DEP_1) | instskip(NEXT) | instid1(VALU_DEP_1)
	v_mul_f64_e32 v[46:47], v[48:49], v[40:41]
	v_fma_f64 v[38:39], -v[38:39], v[46:47], v[48:49]
	s_delay_alu instid0(VALU_DEP_1) | instskip(SKIP_2) | instid1(VALU_DEP_3)
	v_div_fmas_f64 v[38:39], v[38:39], v[40:41], v[46:47]
	v_fma_f64 v[40:41], v[18:19], v[30:31], v[20:21]
	v_fma_f64 v[30:31], v[20:21], v[30:31], -v[18:19]
	v_div_fixup_f64 v[32:33], v[38:39], v[32:33], 1.0
	s_delay_alu instid0(VALU_DEP_1) | instskip(NEXT) | instid1(VALU_DEP_3)
	v_mul_f64_e32 v[38:39], v[40:41], v[32:33]
	v_mul_f64_e32 v[30:31], v[30:31], v[32:33]
.LBB51_94:                              ;   in Loop: Header=BB51_4 Depth=1
	s_or_b32 exec_lo, exec_lo, s7
	s_delay_alu instid0(VALU_DEP_1) | instskip(SKIP_1) | instid1(VALU_DEP_2)
	v_mul_f64_e32 v[32:33], s[10:11], v[30:31]
	v_mul_f64_e32 v[30:31], s[8:9], v[30:31]
	v_fma_f64 v[32:33], s[8:9], v[38:39], -v[32:33]
	s_delay_alu instid0(VALU_DEP_2)
	v_fmac_f64_e32 v[30:31], s[10:11], v[38:39]
	s_branch .LBB51_82
.LBB51_95:                              ;   in Loop: Header=BB51_4 Depth=1
                                        ; implicit-def: $vgpr30_vgpr31
                                        ; implicit-def: $vgpr32_vgpr33
	s_and_saveexec_b32 s7, s6
	s_delay_alu instid0(SALU_CYCLE_1)
	s_xor_b32 s7, exec_lo, s7
	s_cbranch_execz .LBB51_101
; %bb.96:                               ;   in Loop: Header=BB51_4 Depth=1
	v_cmp_neq_f64_e32 vcc_lo, 0, v[22:23]
	v_cmp_neq_f64_e64 s6, 0, v[24:25]
                                        ; implicit-def: $vgpr30_vgpr31
                                        ; implicit-def: $vgpr32_vgpr33
	s_or_b32 s6, s6, vcc_lo
	s_delay_alu instid0(SALU_CYCLE_1) | instskip(NEXT) | instid1(SALU_CYCLE_1)
	s_and_saveexec_b32 s34, s6
	s_xor_b32 s6, exec_lo, s34
	s_cbranch_execz .LBB51_98
; %bb.97:                               ;   in Loop: Header=BB51_4 Depth=1
	v_div_scale_f64 v[26:27], null, v[22:23], v[22:23], v[24:25]
	v_div_scale_f64 v[32:33], vcc_lo, v[24:25], v[22:23], v[24:25]
	s_delay_alu instid0(VALU_DEP_2) | instskip(SKIP_1) | instid1(TRANS32_DEP_1)
	v_rcp_f64_e32 v[28:29], v[26:27]
	v_nop
	v_fma_f64 v[30:31], -v[26:27], v[28:29], 1.0
	s_delay_alu instid0(VALU_DEP_1) | instskip(NEXT) | instid1(VALU_DEP_1)
	v_fmac_f64_e32 v[28:29], v[28:29], v[30:31]
	v_fma_f64 v[30:31], -v[26:27], v[28:29], 1.0
	s_delay_alu instid0(VALU_DEP_1) | instskip(NEXT) | instid1(VALU_DEP_1)
	v_fmac_f64_e32 v[28:29], v[28:29], v[30:31]
	v_mul_f64_e32 v[30:31], v[32:33], v[28:29]
	s_delay_alu instid0(VALU_DEP_1) | instskip(NEXT) | instid1(VALU_DEP_1)
	v_fma_f64 v[26:27], -v[26:27], v[30:31], v[32:33]
	v_div_fmas_f64 v[26:27], v[26:27], v[28:29], v[30:31]
	s_delay_alu instid0(VALU_DEP_1) | instskip(NEXT) | instid1(VALU_DEP_1)
	v_div_fixup_f64 v[26:27], v[26:27], v[22:23], v[24:25]
	v_fmac_f64_e32 v[22:23], v[24:25], v[26:27]
	s_delay_alu instid0(VALU_DEP_1) | instskip(SKIP_1) | instid1(VALU_DEP_2)
	v_div_scale_f64 v[24:25], null, v[22:23], v[22:23], 1.0
	v_div_scale_f64 v[32:33], vcc_lo, 1.0, v[22:23], 1.0
	v_rcp_f64_e32 v[28:29], v[24:25]
	v_nop
	s_delay_alu instid0(TRANS32_DEP_1) | instskip(NEXT) | instid1(VALU_DEP_1)
	v_fma_f64 v[30:31], -v[24:25], v[28:29], 1.0
	v_fmac_f64_e32 v[28:29], v[28:29], v[30:31]
	s_delay_alu instid0(VALU_DEP_1) | instskip(NEXT) | instid1(VALU_DEP_1)
	v_fma_f64 v[30:31], -v[24:25], v[28:29], 1.0
	v_fmac_f64_e32 v[28:29], v[28:29], v[30:31]
	s_delay_alu instid0(VALU_DEP_1) | instskip(NEXT) | instid1(VALU_DEP_1)
	v_mul_f64_e32 v[30:31], v[32:33], v[28:29]
	v_fma_f64 v[24:25], -v[24:25], v[30:31], v[32:33]
	s_delay_alu instid0(VALU_DEP_1) | instskip(SKIP_2) | instid1(VALU_DEP_3)
	v_div_fmas_f64 v[24:25], v[24:25], v[28:29], v[30:31]
	v_fma_f64 v[28:29], v[20:21], v[26:27], v[18:19]
	v_fma_f64 v[18:19], -v[18:19], v[26:27], v[20:21]
                                        ; implicit-def: $vgpr26_vgpr27
	v_div_fixup_f64 v[22:23], v[24:25], v[22:23], 1.0
	s_delay_alu instid0(VALU_DEP_1) | instskip(NEXT) | instid1(VALU_DEP_3)
	v_mul_f64_e32 v[32:33], v[28:29], v[22:23]
	v_mul_f64_e32 v[30:31], v[18:19], v[22:23]
                                        ; implicit-def: $vgpr18_vgpr19
                                        ; implicit-def: $vgpr28_vgpr29
.LBB51_98:                              ;   in Loop: Header=BB51_4 Depth=1
	s_and_not1_saveexec_b32 s34, s6
	s_cbranch_execz .LBB51_100
; %bb.99:                               ;   in Loop: Header=BB51_4 Depth=1
	v_div_scale_f64 v[22:23], null, v[26:27], v[26:27], v[18:19]
	v_div_scale_f64 v[24:25], null, v[28:29], v[28:29], v[20:21]
	v_div_scale_f64 v[46:47], vcc_lo, v[18:19], v[26:27], v[18:19]
	s_delay_alu instid0(VALU_DEP_3) | instskip(NEXT) | instid1(VALU_DEP_2)
	v_rcp_f64_e32 v[30:31], v[22:23]
	v_rcp_f64_e32 v[32:33], v[24:25]
	s_delay_alu instid0(TRANS32_DEP_2) | instskip(NEXT) | instid1(TRANS32_DEP_1)
	v_fma_f64 v[38:39], -v[22:23], v[30:31], 1.0
	v_fma_f64 v[40:41], -v[24:25], v[32:33], 1.0
	s_delay_alu instid0(VALU_DEP_2) | instskip(NEXT) | instid1(VALU_DEP_2)
	v_fmac_f64_e32 v[30:31], v[30:31], v[38:39]
	v_fmac_f64_e32 v[32:33], v[32:33], v[40:41]
	s_delay_alu instid0(VALU_DEP_2) | instskip(NEXT) | instid1(VALU_DEP_2)
	v_fma_f64 v[38:39], -v[22:23], v[30:31], 1.0
	v_fma_f64 v[40:41], -v[24:25], v[32:33], 1.0
	s_delay_alu instid0(VALU_DEP_2) | instskip(SKIP_1) | instid1(VALU_DEP_3)
	v_fmac_f64_e32 v[30:31], v[30:31], v[38:39]
	v_div_scale_f64 v[38:39], s6, v[20:21], v[28:29], v[20:21]
	v_fmac_f64_e32 v[32:33], v[32:33], v[40:41]
	s_delay_alu instid0(VALU_DEP_3) | instskip(NEXT) | instid1(VALU_DEP_2)
	v_mul_f64_e32 v[40:41], v[46:47], v[30:31]
	v_mul_f64_e32 v[48:49], v[38:39], v[32:33]
	s_delay_alu instid0(VALU_DEP_2) | instskip(NEXT) | instid1(VALU_DEP_2)
	v_fma_f64 v[22:23], -v[22:23], v[40:41], v[46:47]
	v_fma_f64 v[24:25], -v[24:25], v[48:49], v[38:39]
	s_delay_alu instid0(VALU_DEP_2) | instskip(SKIP_1) | instid1(VALU_DEP_2)
	v_div_fmas_f64 v[22:23], v[22:23], v[30:31], v[40:41]
	s_mov_b32 vcc_lo, s6
	v_div_fmas_f64 v[24:25], v[24:25], v[32:33], v[48:49]
	s_delay_alu instid0(VALU_DEP_2) | instskip(NEXT) | instid1(VALU_DEP_2)
	v_div_fixup_f64 v[32:33], v[22:23], v[26:27], v[18:19]
	v_div_fixup_f64 v[30:31], v[24:25], v[28:29], v[20:21]
.LBB51_100:                             ;   in Loop: Header=BB51_4 Depth=1
	s_or_b32 exec_lo, exec_lo, s34
                                        ; implicit-def: $vgpr24_vgpr25
                                        ; implicit-def: $vgpr18_vgpr19
.LBB51_101:                             ;   in Loop: Header=BB51_4 Depth=1
	s_and_not1_saveexec_b32 s6, s7
	s_cbranch_execz .LBB51_103
; %bb.102:                              ;   in Loop: Header=BB51_4 Depth=1
	v_div_scale_f64 v[26:27], null, v[24:25], v[24:25], v[22:23]
	v_div_scale_f64 v[32:33], vcc_lo, v[22:23], v[24:25], v[22:23]
	s_delay_alu instid0(VALU_DEP_2) | instskip(SKIP_1) | instid1(TRANS32_DEP_1)
	v_rcp_f64_e32 v[28:29], v[26:27]
	v_nop
	v_fma_f64 v[30:31], -v[26:27], v[28:29], 1.0
	s_delay_alu instid0(VALU_DEP_1) | instskip(NEXT) | instid1(VALU_DEP_1)
	v_fmac_f64_e32 v[28:29], v[28:29], v[30:31]
	v_fma_f64 v[30:31], -v[26:27], v[28:29], 1.0
	s_delay_alu instid0(VALU_DEP_1) | instskip(NEXT) | instid1(VALU_DEP_1)
	v_fmac_f64_e32 v[28:29], v[28:29], v[30:31]
	v_mul_f64_e32 v[30:31], v[32:33], v[28:29]
	s_delay_alu instid0(VALU_DEP_1) | instskip(NEXT) | instid1(VALU_DEP_1)
	v_fma_f64 v[26:27], -v[26:27], v[30:31], v[32:33]
	v_div_fmas_f64 v[26:27], v[26:27], v[28:29], v[30:31]
	s_delay_alu instid0(VALU_DEP_1) | instskip(NEXT) | instid1(VALU_DEP_1)
	v_div_fixup_f64 v[26:27], v[26:27], v[24:25], v[22:23]
	v_fmac_f64_e32 v[24:25], v[22:23], v[26:27]
	s_delay_alu instid0(VALU_DEP_1) | instskip(SKIP_1) | instid1(VALU_DEP_2)
	v_div_scale_f64 v[22:23], null, v[24:25], v[24:25], 1.0
	v_div_scale_f64 v[32:33], vcc_lo, 1.0, v[24:25], 1.0
	v_rcp_f64_e32 v[28:29], v[22:23]
	v_nop
	s_delay_alu instid0(TRANS32_DEP_1) | instskip(NEXT) | instid1(VALU_DEP_1)
	v_fma_f64 v[30:31], -v[22:23], v[28:29], 1.0
	v_fmac_f64_e32 v[28:29], v[28:29], v[30:31]
	s_delay_alu instid0(VALU_DEP_1) | instskip(NEXT) | instid1(VALU_DEP_1)
	v_fma_f64 v[30:31], -v[22:23], v[28:29], 1.0
	v_fmac_f64_e32 v[28:29], v[28:29], v[30:31]
	s_delay_alu instid0(VALU_DEP_1) | instskip(NEXT) | instid1(VALU_DEP_1)
	v_mul_f64_e32 v[30:31], v[32:33], v[28:29]
	v_fma_f64 v[22:23], -v[22:23], v[30:31], v[32:33]
	s_delay_alu instid0(VALU_DEP_1) | instskip(SKIP_2) | instid1(VALU_DEP_3)
	v_div_fmas_f64 v[22:23], v[22:23], v[28:29], v[30:31]
	v_fma_f64 v[28:29], v[18:19], v[26:27], v[20:21]
	v_fma_f64 v[18:19], v[20:21], v[26:27], -v[18:19]
	v_div_fixup_f64 v[22:23], v[22:23], v[24:25], 1.0
	s_delay_alu instid0(VALU_DEP_1) | instskip(NEXT) | instid1(VALU_DEP_3)
	v_mul_f64_e32 v[32:33], v[28:29], v[22:23]
	v_mul_f64_e32 v[30:31], v[18:19], v[22:23]
.LBB51_103:                             ;   in Loop: Header=BB51_4 Depth=1
	s_or_b32 exec_lo, exec_lo, s6
	s_and_saveexec_b32 s6, s2
	s_delay_alu instid0(SALU_CYCLE_1)
	s_xor_b32 s2, exec_lo, s6
	s_cbranch_execz .LBB51_83
.LBB51_104:                             ;   in Loop: Header=BB51_4 Depth=1
	v_add_f64_e32 v[4:5], v[4:5], v[62:63]
	v_add_f64_e32 v[2:3], v[2:3], v[64:65]
	v_lshl_add_u64 v[18:19], v[54:55], 4, s[14:15]
	global_store_b128 v[18:19], v[2:5], off
	s_wait_xcnt 0x0
	s_or_b32 exec_lo, exec_lo, s2
	s_and_saveexec_b32 s2, s3
	s_cbranch_execz .LBB51_84
.LBB51_105:                             ;   in Loop: Header=BB51_4 Depth=1
	v_add_f64_e32 v[4:5], v[8:9], v[42:43]
	v_add_f64_e32 v[2:3], v[6:7], v[44:45]
	v_lshl_add_u64 v[6:7], v[56:57], 4, s[14:15]
	global_store_b128 v[6:7], v[2:5], off
	s_wait_xcnt 0x0
	s_or_b32 exec_lo, exec_lo, s2
	s_and_saveexec_b32 s2, s4
	s_cbranch_execz .LBB51_85
.LBB51_106:                             ;   in Loop: Header=BB51_4 Depth=1
	v_add_f64_e32 v[4:5], v[12:13], v[34:35]
	v_add_f64_e32 v[2:3], v[10:11], v[36:37]
	v_lshl_add_u64 v[6:7], v[58:59], 4, s[14:15]
	global_store_b128 v[6:7], v[2:5], off
	s_wait_xcnt 0x0
	s_or_b32 exec_lo, exec_lo, s2
	s_and_saveexec_b32 s2, s5
	s_cbranch_execz .LBB51_3
.LBB51_107:                             ;   in Loop: Header=BB51_4 Depth=1
	s_delay_alu instid0(VALU_DEP_1) | instskip(NEXT) | instid1(VALU_DEP_3)
	v_add_f64_e32 v[4:5], v[16:17], v[30:31]
	v_add_f64_e32 v[2:3], v[14:15], v[32:33]
	v_lshl_add_u64 v[6:7], v[60:61], 4, s[14:15]
	global_store_b128 v[6:7], v[2:5], off
	s_branch .LBB51_3
.LBB51_108:
	s_mov_b32 s2, 0
.LBB51_109:
	s_delay_alu instid0(SALU_CYCLE_1)
	s_and_not1_b32 vcc_lo, exec_lo, s2
	s_cbranch_vccnz .LBB51_193
; %bb.110:
	v_min_i64 v[50:51], 0x10000, s[20:21]
	v_dual_mov_b32 v53, 0 :: v_dual_lshlrev_b32 v52, 2, v0
	s_mov_b32 s2, exec_lo
	s_delay_alu instid0(VALU_DEP_1)
	v_cmpx_lt_i64_e64 v[52:53], v[50:51]
	s_cbranch_execz .LBB51_193
; %bb.111:
	s_wait_kmcnt 0x0
	v_cmp_neq_f64_e64 s6, s[8:9], 1.0
	v_cmp_neq_f64_e64 s7, s[10:11], 0
	s_wait_xcnt 0x0
	s_load_b32 s0, s[0:1], 0xc0c
	v_dual_mov_b32 v1, v53 :: v_dual_lshlrev_b32 v52, 6, v0
	s_mov_b32 s3, 0
	s_delay_alu instid0(SALU_CYCLE_1) | instskip(SKIP_2) | instid1(SALU_CYCLE_1)
	s_mov_b32 s5, s3
	s_wait_kmcnt 0x0
	s_and_b32 s2, s0, 0xffff
	s_lshl_b32 s4, s2, 6
	s_or_b32 s6, s6, s7
	s_mov_b32 s7, s3
	s_branch .LBB51_114
.LBB51_112:                             ;   in Loop: Header=BB51_114 Depth=1
	s_or_b32 exec_lo, exec_lo, s0
.LBB51_113:                             ;   in Loop: Header=BB51_114 Depth=1
	v_add_f64_e32 v[12:13], v[12:13], v[54:55]
	v_add_f64_e32 v[10:11], v[10:11], v[56:57]
	;; [unrolled: 1-line block ×8, first 2 shown]
	v_add_nc_u64_e32 v[0:1], s[2:3], v[0:1]
	s_add_nc_u64 s[18:19], s[18:19], s[4:5]
	s_add_nc_u64 s[12:13], s[12:13], s[4:5]
	s_add_nc_u64 s[16:17], s[16:17], s[4:5]
	s_delay_alu instid0(VALU_DEP_1) | instskip(NEXT) | instid1(VALU_DEP_1)
	v_lshlrev_b64_e32 v[18:19], 2, v[0:1]
	v_cmp_ge_i64_e32 vcc_lo, v[18:19], v[50:51]
	v_add_nc_u64_e32 v[18:19], s[14:15], v[52:53]
	s_add_nc_u64 s[14:15], s[14:15], s[4:5]
	s_clause 0x3
	global_store_b128 v[18:19], v[10:13], off
	global_store_b128 v[18:19], v[6:9], off offset:16
	global_store_b128 v[18:19], v[14:17], off offset:32
	;; [unrolled: 1-line block ×3, first 2 shown]
	s_or_b32 s7, vcc_lo, s7
	s_wait_xcnt 0x0
	s_and_not1_b32 exec_lo, exec_lo, s7
	s_cbranch_execz .LBB51_193
.LBB51_114:                             ; =>This Inner Loop Header: Depth=1
	v_add_nc_u64_e32 v[54:55], s[12:13], v[52:53]
	v_add_nc_u64_e32 v[56:57], s[18:19], v[52:53]
	;; [unrolled: 1-line block ×3, first 2 shown]
	s_wait_xcnt 0x0
	s_mov_b32 s1, -1
	s_clause 0x1
	global_load_b128 v[46:49], v[54:55], off
	global_load_b128 v[38:41], v[54:55], off offset:16
	s_clause 0x3
	global_load_b128 v[2:5], v[56:57], off offset:48
	global_load_b128 v[14:17], v[56:57], off offset:32
	;; [unrolled: 1-line block ×3, first 2 shown]
	global_load_b128 v[10:13], v[56:57], off
	s_clause 0x3
	global_load_b128 v[18:21], v[58:59], off offset:48
	global_load_b128 v[26:29], v[58:59], off offset:32
	;; [unrolled: 1-line block ×3, first 2 shown]
	global_load_b128 v[42:45], v[58:59], off
	s_clause 0x1
	global_load_b128 v[22:25], v[54:55], off offset:48
	global_load_b128 v[30:33], v[54:55], off offset:32
                                        ; implicit-def: $vgpr56_vgpr57
	s_wait_loadcnt 0xb
	v_cmp_gt_f64_e32 vcc_lo, 0, v[46:47]
	s_wait_xcnt 0x0
	v_xor_b32_e32 v54, 0x80000000, v47
	v_mov_b32_e32 v58, v46
	v_xor_b32_e32 v55, 0x80000000, v49
	s_delay_alu instid0(VALU_DEP_3) | instskip(SKIP_1) | instid1(VALU_DEP_3)
	v_dual_mov_b32 v60, v48 :: v_dual_cndmask_b32 v59, v47, v54
	v_cmp_gt_f64_e32 vcc_lo, 0, v[48:49]
	v_cndmask_b32_e32 v61, v49, v55, vcc_lo
	s_and_b32 vcc_lo, exec_lo, s6
                                        ; implicit-def: $vgpr54_vgpr55
	s_delay_alu instid0(VALU_DEP_1)
	v_cmp_ge_f64_e64 s0, v[58:59], v[60:61]
	s_cbranch_vccz .LBB51_124
; %bb.115:                              ;   in Loop: Header=BB51_114 Depth=1
                                        ; implicit-def: $vgpr54_vgpr55
                                        ; implicit-def: $vgpr62_vgpr63
	s_and_saveexec_b32 s1, s0
	s_delay_alu instid0(SALU_CYCLE_1)
	s_xor_b32 s20, exec_lo, s1
	s_cbranch_execz .LBB51_121
; %bb.116:                              ;   in Loop: Header=BB51_114 Depth=1
	v_cmp_neq_f64_e32 vcc_lo, 0, v[46:47]
	v_cmp_neq_f64_e64 s1, 0, v[48:49]
                                        ; implicit-def: $vgpr54_vgpr55
                                        ; implicit-def: $vgpr62_vgpr63
	s_or_b32 s1, vcc_lo, s1
	s_delay_alu instid0(SALU_CYCLE_1) | instskip(NEXT) | instid1(SALU_CYCLE_1)
	s_and_saveexec_b32 s21, s1
	s_xor_b32 s1, exec_lo, s21
	s_cbranch_execz .LBB51_118
; %bb.117:                              ;   in Loop: Header=BB51_114 Depth=1
	v_div_scale_f64 v[54:55], null, v[46:47], v[46:47], v[48:49]
	v_div_scale_f64 v[64:65], vcc_lo, v[48:49], v[46:47], v[48:49]
	s_delay_alu instid0(VALU_DEP_2) | instskip(SKIP_1) | instid1(TRANS32_DEP_1)
	v_rcp_f64_e32 v[56:57], v[54:55]
	v_nop
	v_fma_f64 v[62:63], -v[54:55], v[56:57], 1.0
	s_delay_alu instid0(VALU_DEP_1) | instskip(NEXT) | instid1(VALU_DEP_1)
	v_fmac_f64_e32 v[56:57], v[56:57], v[62:63]
	v_fma_f64 v[62:63], -v[54:55], v[56:57], 1.0
	s_delay_alu instid0(VALU_DEP_1) | instskip(NEXT) | instid1(VALU_DEP_1)
	v_fmac_f64_e32 v[56:57], v[56:57], v[62:63]
	v_mul_f64_e32 v[62:63], v[64:65], v[56:57]
	s_delay_alu instid0(VALU_DEP_1) | instskip(NEXT) | instid1(VALU_DEP_1)
	v_fma_f64 v[54:55], -v[54:55], v[62:63], v[64:65]
	v_div_fmas_f64 v[54:55], v[54:55], v[56:57], v[62:63]
	s_delay_alu instid0(VALU_DEP_1) | instskip(NEXT) | instid1(VALU_DEP_1)
	v_div_fixup_f64 v[54:55], v[54:55], v[46:47], v[48:49]
	v_fma_f64 v[56:57], v[48:49], v[54:55], v[46:47]
	s_delay_alu instid0(VALU_DEP_1) | instskip(SKIP_1) | instid1(VALU_DEP_2)
	v_div_scale_f64 v[62:63], null, v[56:57], v[56:57], 1.0
	v_div_scale_f64 v[68:69], vcc_lo, 1.0, v[56:57], 1.0
	v_rcp_f64_e32 v[64:65], v[62:63]
	v_nop
	s_delay_alu instid0(TRANS32_DEP_1) | instskip(NEXT) | instid1(VALU_DEP_1)
	v_fma_f64 v[66:67], -v[62:63], v[64:65], 1.0
	v_fmac_f64_e32 v[64:65], v[64:65], v[66:67]
	s_delay_alu instid0(VALU_DEP_1) | instskip(NEXT) | instid1(VALU_DEP_1)
	v_fma_f64 v[66:67], -v[62:63], v[64:65], 1.0
	v_fmac_f64_e32 v[64:65], v[64:65], v[66:67]
	s_delay_alu instid0(VALU_DEP_1) | instskip(NEXT) | instid1(VALU_DEP_1)
	v_mul_f64_e32 v[66:67], v[68:69], v[64:65]
	v_fma_f64 v[62:63], -v[62:63], v[66:67], v[68:69]
	s_delay_alu instid0(VALU_DEP_1) | instskip(SKIP_3) | instid1(VALU_DEP_3)
	v_div_fmas_f64 v[62:63], v[62:63], v[64:65], v[66:67]
	s_wait_loadcnt 0x2
	v_fma_f64 v[64:65], v[44:45], v[54:55], v[42:43]
	v_fma_f64 v[54:55], -v[42:43], v[54:55], v[44:45]
	v_div_fixup_f64 v[56:57], v[62:63], v[56:57], 1.0
	s_delay_alu instid0(VALU_DEP_1) | instskip(NEXT) | instid1(VALU_DEP_3)
	v_mul_f64_e32 v[62:63], v[64:65], v[56:57]
	v_mul_f64_e32 v[54:55], v[54:55], v[56:57]
.LBB51_118:                             ;   in Loop: Header=BB51_114 Depth=1
	s_and_not1_saveexec_b32 s21, s1
	s_cbranch_execz .LBB51_120
; %bb.119:                              ;   in Loop: Header=BB51_114 Depth=1
	s_wait_loadcnt 0x2
	v_div_scale_f64 v[54:55], null, v[58:59], v[58:59], v[42:43]
	v_div_scale_f64 v[56:57], null, v[60:61], v[60:61], v[44:45]
	v_div_scale_f64 v[70:71], vcc_lo, v[42:43], v[58:59], v[42:43]
	s_delay_alu instid0(VALU_DEP_3) | instskip(NEXT) | instid1(VALU_DEP_2)
	v_rcp_f64_e32 v[62:63], v[54:55]
	v_rcp_f64_e32 v[64:65], v[56:57]
	s_delay_alu instid0(TRANS32_DEP_2) | instskip(NEXT) | instid1(TRANS32_DEP_1)
	v_fma_f64 v[66:67], -v[54:55], v[62:63], 1.0
	v_fma_f64 v[68:69], -v[56:57], v[64:65], 1.0
	s_delay_alu instid0(VALU_DEP_2) | instskip(NEXT) | instid1(VALU_DEP_2)
	v_fmac_f64_e32 v[62:63], v[62:63], v[66:67]
	v_fmac_f64_e32 v[64:65], v[64:65], v[68:69]
	s_delay_alu instid0(VALU_DEP_2) | instskip(NEXT) | instid1(VALU_DEP_2)
	v_fma_f64 v[66:67], -v[54:55], v[62:63], 1.0
	v_fma_f64 v[68:69], -v[56:57], v[64:65], 1.0
	s_delay_alu instid0(VALU_DEP_2) | instskip(SKIP_1) | instid1(VALU_DEP_3)
	v_fmac_f64_e32 v[62:63], v[62:63], v[66:67]
	v_div_scale_f64 v[66:67], s1, v[44:45], v[60:61], v[44:45]
	v_fmac_f64_e32 v[64:65], v[64:65], v[68:69]
	s_delay_alu instid0(VALU_DEP_3) | instskip(NEXT) | instid1(VALU_DEP_2)
	v_mul_f64_e32 v[68:69], v[70:71], v[62:63]
	v_mul_f64_e32 v[72:73], v[66:67], v[64:65]
	s_delay_alu instid0(VALU_DEP_2) | instskip(NEXT) | instid1(VALU_DEP_2)
	v_fma_f64 v[54:55], -v[54:55], v[68:69], v[70:71]
	v_fma_f64 v[56:57], -v[56:57], v[72:73], v[66:67]
	s_delay_alu instid0(VALU_DEP_2) | instskip(SKIP_1) | instid1(VALU_DEP_2)
	v_div_fmas_f64 v[54:55], v[54:55], v[62:63], v[68:69]
	s_mov_b32 vcc_lo, s1
	v_div_fmas_f64 v[56:57], v[56:57], v[64:65], v[72:73]
	s_delay_alu instid0(VALU_DEP_2) | instskip(NEXT) | instid1(VALU_DEP_2)
	v_div_fixup_f64 v[62:63], v[54:55], v[58:59], v[42:43]
	v_div_fixup_f64 v[54:55], v[56:57], v[60:61], v[44:45]
.LBB51_120:                             ;   in Loop: Header=BB51_114 Depth=1
	s_or_b32 exec_lo, exec_lo, s21
.LBB51_121:                             ;   in Loop: Header=BB51_114 Depth=1
	s_and_not1_saveexec_b32 s1, s20
	s_cbranch_execz .LBB51_123
; %bb.122:                              ;   in Loop: Header=BB51_114 Depth=1
	v_div_scale_f64 v[54:55], null, v[48:49], v[48:49], v[46:47]
	v_div_scale_f64 v[64:65], vcc_lo, v[46:47], v[48:49], v[46:47]
	s_delay_alu instid0(VALU_DEP_2) | instskip(SKIP_1) | instid1(TRANS32_DEP_1)
	v_rcp_f64_e32 v[56:57], v[54:55]
	v_nop
	v_fma_f64 v[62:63], -v[54:55], v[56:57], 1.0
	s_delay_alu instid0(VALU_DEP_1) | instskip(NEXT) | instid1(VALU_DEP_1)
	v_fmac_f64_e32 v[56:57], v[56:57], v[62:63]
	v_fma_f64 v[62:63], -v[54:55], v[56:57], 1.0
	s_delay_alu instid0(VALU_DEP_1) | instskip(NEXT) | instid1(VALU_DEP_1)
	v_fmac_f64_e32 v[56:57], v[56:57], v[62:63]
	v_mul_f64_e32 v[62:63], v[64:65], v[56:57]
	s_delay_alu instid0(VALU_DEP_1) | instskip(NEXT) | instid1(VALU_DEP_1)
	v_fma_f64 v[54:55], -v[54:55], v[62:63], v[64:65]
	v_div_fmas_f64 v[54:55], v[54:55], v[56:57], v[62:63]
	s_delay_alu instid0(VALU_DEP_1) | instskip(NEXT) | instid1(VALU_DEP_1)
	v_div_fixup_f64 v[54:55], v[54:55], v[48:49], v[46:47]
	v_fma_f64 v[56:57], v[46:47], v[54:55], v[48:49]
	s_delay_alu instid0(VALU_DEP_1) | instskip(SKIP_1) | instid1(VALU_DEP_2)
	v_div_scale_f64 v[62:63], null, v[56:57], v[56:57], 1.0
	v_div_scale_f64 v[68:69], vcc_lo, 1.0, v[56:57], 1.0
	v_rcp_f64_e32 v[64:65], v[62:63]
	v_nop
	s_delay_alu instid0(TRANS32_DEP_1) | instskip(NEXT) | instid1(VALU_DEP_1)
	v_fma_f64 v[66:67], -v[62:63], v[64:65], 1.0
	v_fmac_f64_e32 v[64:65], v[64:65], v[66:67]
	s_delay_alu instid0(VALU_DEP_1) | instskip(NEXT) | instid1(VALU_DEP_1)
	v_fma_f64 v[66:67], -v[62:63], v[64:65], 1.0
	v_fmac_f64_e32 v[64:65], v[64:65], v[66:67]
	s_delay_alu instid0(VALU_DEP_1) | instskip(NEXT) | instid1(VALU_DEP_1)
	v_mul_f64_e32 v[66:67], v[68:69], v[64:65]
	v_fma_f64 v[62:63], -v[62:63], v[66:67], v[68:69]
	s_delay_alu instid0(VALU_DEP_1) | instskip(SKIP_3) | instid1(VALU_DEP_3)
	v_div_fmas_f64 v[62:63], v[62:63], v[64:65], v[66:67]
	s_wait_loadcnt 0x2
	v_fma_f64 v[64:65], v[42:43], v[54:55], v[44:45]
	v_fma_f64 v[54:55], v[44:45], v[54:55], -v[42:43]
	v_div_fixup_f64 v[56:57], v[62:63], v[56:57], 1.0
	s_delay_alu instid0(VALU_DEP_1) | instskip(NEXT) | instid1(VALU_DEP_3)
	v_mul_f64_e32 v[62:63], v[64:65], v[56:57]
	v_mul_f64_e32 v[54:55], v[54:55], v[56:57]
.LBB51_123:                             ;   in Loop: Header=BB51_114 Depth=1
	s_or_b32 exec_lo, exec_lo, s1
	s_delay_alu instid0(VALU_DEP_1) | instskip(SKIP_2) | instid1(VALU_DEP_2)
	v_mul_f64_e32 v[56:57], s[10:11], v[54:55]
	v_mul_f64_e32 v[54:55], s[8:9], v[54:55]
	s_mov_b32 s1, 0
	v_fma_f64 v[56:57], s[8:9], v[62:63], -v[56:57]
	s_delay_alu instid0(VALU_DEP_2)
	v_fmac_f64_e32 v[54:55], s[10:11], v[62:63]
.LBB51_124:                             ;   in Loop: Header=BB51_114 Depth=1
	s_and_b32 vcc_lo, exec_lo, s1
	s_cbranch_vccz .LBB51_134
; %bb.125:                              ;   in Loop: Header=BB51_114 Depth=1
                                        ; implicit-def: $vgpr54_vgpr55
                                        ; implicit-def: $vgpr56_vgpr57
	s_and_saveexec_b32 s1, s0
	s_delay_alu instid0(SALU_CYCLE_1)
	s_xor_b32 s1, exec_lo, s1
	s_cbranch_execz .LBB51_131
; %bb.126:                              ;   in Loop: Header=BB51_114 Depth=1
	v_cmp_neq_f64_e32 vcc_lo, 0, v[46:47]
	v_cmp_neq_f64_e64 s0, 0, v[48:49]
                                        ; implicit-def: $vgpr54_vgpr55
                                        ; implicit-def: $vgpr56_vgpr57
	s_or_b32 s0, vcc_lo, s0
	s_delay_alu instid0(SALU_CYCLE_1) | instskip(NEXT) | instid1(SALU_CYCLE_1)
	s_and_saveexec_b32 s20, s0
	s_xor_b32 s0, exec_lo, s20
	s_cbranch_execz .LBB51_128
; %bb.127:                              ;   in Loop: Header=BB51_114 Depth=1
	v_div_scale_f64 v[54:55], null, v[46:47], v[46:47], v[48:49]
	v_div_scale_f64 v[60:61], vcc_lo, v[48:49], v[46:47], v[48:49]
	s_delay_alu instid0(VALU_DEP_2) | instskip(SKIP_1) | instid1(TRANS32_DEP_1)
	v_rcp_f64_e32 v[56:57], v[54:55]
	v_nop
	v_fma_f64 v[58:59], -v[54:55], v[56:57], 1.0
	s_delay_alu instid0(VALU_DEP_1) | instskip(NEXT) | instid1(VALU_DEP_1)
	v_fmac_f64_e32 v[56:57], v[56:57], v[58:59]
	v_fma_f64 v[58:59], -v[54:55], v[56:57], 1.0
	s_delay_alu instid0(VALU_DEP_1) | instskip(NEXT) | instid1(VALU_DEP_1)
	v_fmac_f64_e32 v[56:57], v[56:57], v[58:59]
	v_mul_f64_e32 v[58:59], v[60:61], v[56:57]
	s_delay_alu instid0(VALU_DEP_1) | instskip(NEXT) | instid1(VALU_DEP_1)
	v_fma_f64 v[54:55], -v[54:55], v[58:59], v[60:61]
	v_div_fmas_f64 v[54:55], v[54:55], v[56:57], v[58:59]
	s_delay_alu instid0(VALU_DEP_1) | instskip(NEXT) | instid1(VALU_DEP_1)
	v_div_fixup_f64 v[54:55], v[54:55], v[46:47], v[48:49]
	v_fmac_f64_e32 v[46:47], v[48:49], v[54:55]
	s_delay_alu instid0(VALU_DEP_1) | instskip(SKIP_1) | instid1(VALU_DEP_2)
	v_div_scale_f64 v[48:49], null, v[46:47], v[46:47], 1.0
	v_div_scale_f64 v[60:61], vcc_lo, 1.0, v[46:47], 1.0
	v_rcp_f64_e32 v[56:57], v[48:49]
	v_nop
	s_delay_alu instid0(TRANS32_DEP_1) | instskip(NEXT) | instid1(VALU_DEP_1)
	v_fma_f64 v[58:59], -v[48:49], v[56:57], 1.0
	v_fmac_f64_e32 v[56:57], v[56:57], v[58:59]
	s_delay_alu instid0(VALU_DEP_1) | instskip(NEXT) | instid1(VALU_DEP_1)
	v_fma_f64 v[58:59], -v[48:49], v[56:57], 1.0
	v_fmac_f64_e32 v[56:57], v[56:57], v[58:59]
	s_delay_alu instid0(VALU_DEP_1) | instskip(NEXT) | instid1(VALU_DEP_1)
	v_mul_f64_e32 v[58:59], v[60:61], v[56:57]
	v_fma_f64 v[48:49], -v[48:49], v[58:59], v[60:61]
                                        ; implicit-def: $vgpr60_vgpr61
	s_delay_alu instid0(VALU_DEP_1) | instskip(SKIP_3) | instid1(VALU_DEP_3)
	v_div_fmas_f64 v[48:49], v[48:49], v[56:57], v[58:59]
	s_wait_loadcnt 0x2
	v_fma_f64 v[56:57], v[44:45], v[54:55], v[42:43]
	v_fma_f64 v[42:43], -v[42:43], v[54:55], v[44:45]
                                        ; implicit-def: $vgpr58_vgpr59
	v_div_fixup_f64 v[46:47], v[48:49], v[46:47], 1.0
	s_delay_alu instid0(VALU_DEP_1) | instskip(NEXT) | instid1(VALU_DEP_3)
	v_mul_f64_e32 v[56:57], v[56:57], v[46:47]
	v_mul_f64_e32 v[54:55], v[42:43], v[46:47]
                                        ; implicit-def: $vgpr42_vgpr43
.LBB51_128:                             ;   in Loop: Header=BB51_114 Depth=1
	s_and_not1_saveexec_b32 s20, s0
	s_cbranch_execz .LBB51_130
; %bb.129:                              ;   in Loop: Header=BB51_114 Depth=1
	s_wait_loadcnt 0x2
	v_div_scale_f64 v[46:47], null, v[58:59], v[58:59], v[42:43]
	v_div_scale_f64 v[48:49], null, v[60:61], v[60:61], v[44:45]
	v_div_scale_f64 v[66:67], vcc_lo, v[42:43], v[58:59], v[42:43]
	s_delay_alu instid0(VALU_DEP_3) | instskip(NEXT) | instid1(VALU_DEP_2)
	v_rcp_f64_e32 v[54:55], v[46:47]
	v_rcp_f64_e32 v[56:57], v[48:49]
	s_delay_alu instid0(TRANS32_DEP_2) | instskip(NEXT) | instid1(TRANS32_DEP_1)
	v_fma_f64 v[62:63], -v[46:47], v[54:55], 1.0
	v_fma_f64 v[64:65], -v[48:49], v[56:57], 1.0
	s_delay_alu instid0(VALU_DEP_2) | instskip(NEXT) | instid1(VALU_DEP_2)
	v_fmac_f64_e32 v[54:55], v[54:55], v[62:63]
	v_fmac_f64_e32 v[56:57], v[56:57], v[64:65]
	s_delay_alu instid0(VALU_DEP_2) | instskip(NEXT) | instid1(VALU_DEP_2)
	v_fma_f64 v[62:63], -v[46:47], v[54:55], 1.0
	v_fma_f64 v[64:65], -v[48:49], v[56:57], 1.0
	s_delay_alu instid0(VALU_DEP_2) | instskip(SKIP_1) | instid1(VALU_DEP_3)
	v_fmac_f64_e32 v[54:55], v[54:55], v[62:63]
	v_div_scale_f64 v[62:63], s0, v[44:45], v[60:61], v[44:45]
	v_fmac_f64_e32 v[56:57], v[56:57], v[64:65]
	s_delay_alu instid0(VALU_DEP_3) | instskip(NEXT) | instid1(VALU_DEP_2)
	v_mul_f64_e32 v[64:65], v[66:67], v[54:55]
	v_mul_f64_e32 v[68:69], v[62:63], v[56:57]
	s_delay_alu instid0(VALU_DEP_2) | instskip(NEXT) | instid1(VALU_DEP_2)
	v_fma_f64 v[46:47], -v[46:47], v[64:65], v[66:67]
	v_fma_f64 v[48:49], -v[48:49], v[68:69], v[62:63]
	s_delay_alu instid0(VALU_DEP_2) | instskip(SKIP_1) | instid1(VALU_DEP_2)
	v_div_fmas_f64 v[46:47], v[46:47], v[54:55], v[64:65]
	s_mov_b32 vcc_lo, s0
	v_div_fmas_f64 v[48:49], v[48:49], v[56:57], v[68:69]
	s_delay_alu instid0(VALU_DEP_2) | instskip(NEXT) | instid1(VALU_DEP_2)
	v_div_fixup_f64 v[56:57], v[46:47], v[58:59], v[42:43]
	v_div_fixup_f64 v[54:55], v[48:49], v[60:61], v[44:45]
.LBB51_130:                             ;   in Loop: Header=BB51_114 Depth=1
	s_or_b32 exec_lo, exec_lo, s20
                                        ; implicit-def: $vgpr48_vgpr49
                                        ; implicit-def: $vgpr42_vgpr43
.LBB51_131:                             ;   in Loop: Header=BB51_114 Depth=1
	s_and_not1_saveexec_b32 s0, s1
	s_cbranch_execz .LBB51_133
; %bb.132:                              ;   in Loop: Header=BB51_114 Depth=1
	v_div_scale_f64 v[54:55], null, v[48:49], v[48:49], v[46:47]
	v_div_scale_f64 v[60:61], vcc_lo, v[46:47], v[48:49], v[46:47]
	s_delay_alu instid0(VALU_DEP_2) | instskip(SKIP_1) | instid1(TRANS32_DEP_1)
	v_rcp_f64_e32 v[56:57], v[54:55]
	v_nop
	v_fma_f64 v[58:59], -v[54:55], v[56:57], 1.0
	s_delay_alu instid0(VALU_DEP_1) | instskip(NEXT) | instid1(VALU_DEP_1)
	v_fmac_f64_e32 v[56:57], v[56:57], v[58:59]
	v_fma_f64 v[58:59], -v[54:55], v[56:57], 1.0
	s_delay_alu instid0(VALU_DEP_1) | instskip(NEXT) | instid1(VALU_DEP_1)
	v_fmac_f64_e32 v[56:57], v[56:57], v[58:59]
	v_mul_f64_e32 v[58:59], v[60:61], v[56:57]
	s_delay_alu instid0(VALU_DEP_1) | instskip(NEXT) | instid1(VALU_DEP_1)
	v_fma_f64 v[54:55], -v[54:55], v[58:59], v[60:61]
	v_div_fmas_f64 v[54:55], v[54:55], v[56:57], v[58:59]
	s_delay_alu instid0(VALU_DEP_1) | instskip(NEXT) | instid1(VALU_DEP_1)
	v_div_fixup_f64 v[54:55], v[54:55], v[48:49], v[46:47]
	v_fmac_f64_e32 v[48:49], v[46:47], v[54:55]
	s_delay_alu instid0(VALU_DEP_1) | instskip(SKIP_1) | instid1(VALU_DEP_2)
	v_div_scale_f64 v[46:47], null, v[48:49], v[48:49], 1.0
	v_div_scale_f64 v[60:61], vcc_lo, 1.0, v[48:49], 1.0
	v_rcp_f64_e32 v[56:57], v[46:47]
	v_nop
	s_delay_alu instid0(TRANS32_DEP_1) | instskip(NEXT) | instid1(VALU_DEP_1)
	v_fma_f64 v[58:59], -v[46:47], v[56:57], 1.0
	v_fmac_f64_e32 v[56:57], v[56:57], v[58:59]
	s_delay_alu instid0(VALU_DEP_1) | instskip(NEXT) | instid1(VALU_DEP_1)
	v_fma_f64 v[58:59], -v[46:47], v[56:57], 1.0
	v_fmac_f64_e32 v[56:57], v[56:57], v[58:59]
	s_delay_alu instid0(VALU_DEP_1) | instskip(NEXT) | instid1(VALU_DEP_1)
	v_mul_f64_e32 v[58:59], v[60:61], v[56:57]
	v_fma_f64 v[46:47], -v[46:47], v[58:59], v[60:61]
	s_delay_alu instid0(VALU_DEP_1) | instskip(SKIP_3) | instid1(VALU_DEP_3)
	v_div_fmas_f64 v[46:47], v[46:47], v[56:57], v[58:59]
	s_wait_loadcnt 0x2
	v_fma_f64 v[56:57], v[42:43], v[54:55], v[44:45]
	v_fma_f64 v[42:43], v[44:45], v[54:55], -v[42:43]
	v_div_fixup_f64 v[46:47], v[46:47], v[48:49], 1.0
	s_delay_alu instid0(VALU_DEP_1) | instskip(NEXT) | instid1(VALU_DEP_3)
	v_mul_f64_e32 v[56:57], v[56:57], v[46:47]
	v_mul_f64_e32 v[54:55], v[42:43], v[46:47]
.LBB51_133:                             ;   in Loop: Header=BB51_114 Depth=1
	s_or_b32 exec_lo, exec_lo, s0
.LBB51_134:                             ;   in Loop: Header=BB51_114 Depth=1
	s_wait_loadcnt 0xa
	v_cmp_gt_f64_e32 vcc_lo, 0, v[38:39]
	s_wait_loadcnt 0x2
	v_xor_b32_e32 v42, 0x80000000, v39
	v_mov_b32_e32 v46, v38
	v_xor_b32_e32 v43, 0x80000000, v41
	s_mov_b32 s1, -1
                                        ; implicit-def: $vgpr44_vgpr45
	s_delay_alu instid0(VALU_DEP_3) | instskip(SKIP_1) | instid1(VALU_DEP_3)
	v_dual_mov_b32 v48, v40 :: v_dual_cndmask_b32 v47, v39, v42
	v_cmp_gt_f64_e32 vcc_lo, 0, v[40:41]
	v_cndmask_b32_e32 v49, v41, v43, vcc_lo
	s_and_not1_b32 vcc_lo, exec_lo, s6
                                        ; implicit-def: $vgpr42_vgpr43
	s_delay_alu instid0(VALU_DEP_1)
	v_cmp_ge_f64_e64 s0, v[46:47], v[48:49]
	s_cbranch_vccnz .LBB51_144
; %bb.135:                              ;   in Loop: Header=BB51_114 Depth=1
                                        ; implicit-def: $vgpr42_vgpr43
                                        ; implicit-def: $vgpr58_vgpr59
	s_and_saveexec_b32 s1, s0
	s_delay_alu instid0(SALU_CYCLE_1)
	s_xor_b32 s20, exec_lo, s1
	s_cbranch_execz .LBB51_141
; %bb.136:                              ;   in Loop: Header=BB51_114 Depth=1
	v_cmp_neq_f64_e32 vcc_lo, 0, v[38:39]
	v_cmp_neq_f64_e64 s1, 0, v[40:41]
                                        ; implicit-def: $vgpr42_vgpr43
                                        ; implicit-def: $vgpr58_vgpr59
	s_or_b32 s1, vcc_lo, s1
	s_delay_alu instid0(SALU_CYCLE_1) | instskip(NEXT) | instid1(SALU_CYCLE_1)
	s_and_saveexec_b32 s21, s1
	s_xor_b32 s1, exec_lo, s21
	s_cbranch_execz .LBB51_138
; %bb.137:                              ;   in Loop: Header=BB51_114 Depth=1
	v_div_scale_f64 v[42:43], null, v[38:39], v[38:39], v[40:41]
	v_div_scale_f64 v[60:61], vcc_lo, v[40:41], v[38:39], v[40:41]
	s_delay_alu instid0(VALU_DEP_2) | instskip(SKIP_1) | instid1(TRANS32_DEP_1)
	v_rcp_f64_e32 v[44:45], v[42:43]
	v_nop
	v_fma_f64 v[58:59], -v[42:43], v[44:45], 1.0
	s_delay_alu instid0(VALU_DEP_1) | instskip(NEXT) | instid1(VALU_DEP_1)
	v_fmac_f64_e32 v[44:45], v[44:45], v[58:59]
	v_fma_f64 v[58:59], -v[42:43], v[44:45], 1.0
	s_delay_alu instid0(VALU_DEP_1) | instskip(NEXT) | instid1(VALU_DEP_1)
	v_fmac_f64_e32 v[44:45], v[44:45], v[58:59]
	v_mul_f64_e32 v[58:59], v[60:61], v[44:45]
	s_delay_alu instid0(VALU_DEP_1) | instskip(NEXT) | instid1(VALU_DEP_1)
	v_fma_f64 v[42:43], -v[42:43], v[58:59], v[60:61]
	v_div_fmas_f64 v[42:43], v[42:43], v[44:45], v[58:59]
	s_delay_alu instid0(VALU_DEP_1) | instskip(NEXT) | instid1(VALU_DEP_1)
	v_div_fixup_f64 v[42:43], v[42:43], v[38:39], v[40:41]
	v_fma_f64 v[44:45], v[40:41], v[42:43], v[38:39]
	s_delay_alu instid0(VALU_DEP_1) | instskip(SKIP_1) | instid1(VALU_DEP_2)
	v_div_scale_f64 v[58:59], null, v[44:45], v[44:45], 1.0
	v_div_scale_f64 v[64:65], vcc_lo, 1.0, v[44:45], 1.0
	v_rcp_f64_e32 v[60:61], v[58:59]
	v_nop
	s_delay_alu instid0(TRANS32_DEP_1) | instskip(NEXT) | instid1(VALU_DEP_1)
	v_fma_f64 v[62:63], -v[58:59], v[60:61], 1.0
	v_fmac_f64_e32 v[60:61], v[60:61], v[62:63]
	s_delay_alu instid0(VALU_DEP_1) | instskip(NEXT) | instid1(VALU_DEP_1)
	v_fma_f64 v[62:63], -v[58:59], v[60:61], 1.0
	v_fmac_f64_e32 v[60:61], v[60:61], v[62:63]
	s_delay_alu instid0(VALU_DEP_1) | instskip(NEXT) | instid1(VALU_DEP_1)
	v_mul_f64_e32 v[62:63], v[64:65], v[60:61]
	v_fma_f64 v[58:59], -v[58:59], v[62:63], v[64:65]
	s_delay_alu instid0(VALU_DEP_1) | instskip(SKIP_2) | instid1(VALU_DEP_3)
	v_div_fmas_f64 v[58:59], v[58:59], v[60:61], v[62:63]
	v_fma_f64 v[60:61], v[36:37], v[42:43], v[34:35]
	v_fma_f64 v[42:43], -v[34:35], v[42:43], v[36:37]
	v_div_fixup_f64 v[44:45], v[58:59], v[44:45], 1.0
	s_delay_alu instid0(VALU_DEP_1) | instskip(NEXT) | instid1(VALU_DEP_3)
	v_mul_f64_e32 v[58:59], v[60:61], v[44:45]
	v_mul_f64_e32 v[42:43], v[42:43], v[44:45]
.LBB51_138:                             ;   in Loop: Header=BB51_114 Depth=1
	s_and_not1_saveexec_b32 s21, s1
	s_cbranch_execz .LBB51_140
; %bb.139:                              ;   in Loop: Header=BB51_114 Depth=1
	v_div_scale_f64 v[42:43], null, v[46:47], v[46:47], v[34:35]
	v_div_scale_f64 v[44:45], null, v[48:49], v[48:49], v[36:37]
	v_div_scale_f64 v[66:67], vcc_lo, v[34:35], v[46:47], v[34:35]
	s_delay_alu instid0(VALU_DEP_3) | instskip(NEXT) | instid1(VALU_DEP_2)
	v_rcp_f64_e32 v[58:59], v[42:43]
	v_rcp_f64_e32 v[60:61], v[44:45]
	s_delay_alu instid0(TRANS32_DEP_2) | instskip(NEXT) | instid1(TRANS32_DEP_1)
	v_fma_f64 v[62:63], -v[42:43], v[58:59], 1.0
	v_fma_f64 v[64:65], -v[44:45], v[60:61], 1.0
	s_delay_alu instid0(VALU_DEP_2) | instskip(NEXT) | instid1(VALU_DEP_2)
	v_fmac_f64_e32 v[58:59], v[58:59], v[62:63]
	v_fmac_f64_e32 v[60:61], v[60:61], v[64:65]
	s_delay_alu instid0(VALU_DEP_2) | instskip(NEXT) | instid1(VALU_DEP_2)
	v_fma_f64 v[62:63], -v[42:43], v[58:59], 1.0
	v_fma_f64 v[64:65], -v[44:45], v[60:61], 1.0
	s_delay_alu instid0(VALU_DEP_2) | instskip(SKIP_1) | instid1(VALU_DEP_3)
	v_fmac_f64_e32 v[58:59], v[58:59], v[62:63]
	v_div_scale_f64 v[62:63], s1, v[36:37], v[48:49], v[36:37]
	v_fmac_f64_e32 v[60:61], v[60:61], v[64:65]
	s_delay_alu instid0(VALU_DEP_3) | instskip(NEXT) | instid1(VALU_DEP_2)
	v_mul_f64_e32 v[64:65], v[66:67], v[58:59]
	v_mul_f64_e32 v[68:69], v[62:63], v[60:61]
	s_delay_alu instid0(VALU_DEP_2) | instskip(NEXT) | instid1(VALU_DEP_2)
	v_fma_f64 v[42:43], -v[42:43], v[64:65], v[66:67]
	v_fma_f64 v[44:45], -v[44:45], v[68:69], v[62:63]
	s_delay_alu instid0(VALU_DEP_2) | instskip(SKIP_1) | instid1(VALU_DEP_2)
	v_div_fmas_f64 v[42:43], v[42:43], v[58:59], v[64:65]
	s_mov_b32 vcc_lo, s1
	v_div_fmas_f64 v[44:45], v[44:45], v[60:61], v[68:69]
	s_delay_alu instid0(VALU_DEP_2) | instskip(NEXT) | instid1(VALU_DEP_2)
	v_div_fixup_f64 v[58:59], v[42:43], v[46:47], v[34:35]
	v_div_fixup_f64 v[42:43], v[44:45], v[48:49], v[36:37]
.LBB51_140:                             ;   in Loop: Header=BB51_114 Depth=1
	s_or_b32 exec_lo, exec_lo, s21
.LBB51_141:                             ;   in Loop: Header=BB51_114 Depth=1
	s_and_not1_saveexec_b32 s1, s20
	s_cbranch_execz .LBB51_143
; %bb.142:                              ;   in Loop: Header=BB51_114 Depth=1
	v_div_scale_f64 v[42:43], null, v[40:41], v[40:41], v[38:39]
	v_div_scale_f64 v[60:61], vcc_lo, v[38:39], v[40:41], v[38:39]
	s_delay_alu instid0(VALU_DEP_2) | instskip(SKIP_1) | instid1(TRANS32_DEP_1)
	v_rcp_f64_e32 v[44:45], v[42:43]
	v_nop
	v_fma_f64 v[58:59], -v[42:43], v[44:45], 1.0
	s_delay_alu instid0(VALU_DEP_1) | instskip(NEXT) | instid1(VALU_DEP_1)
	v_fmac_f64_e32 v[44:45], v[44:45], v[58:59]
	v_fma_f64 v[58:59], -v[42:43], v[44:45], 1.0
	s_delay_alu instid0(VALU_DEP_1) | instskip(NEXT) | instid1(VALU_DEP_1)
	v_fmac_f64_e32 v[44:45], v[44:45], v[58:59]
	v_mul_f64_e32 v[58:59], v[60:61], v[44:45]
	s_delay_alu instid0(VALU_DEP_1) | instskip(NEXT) | instid1(VALU_DEP_1)
	v_fma_f64 v[42:43], -v[42:43], v[58:59], v[60:61]
	v_div_fmas_f64 v[42:43], v[42:43], v[44:45], v[58:59]
	s_delay_alu instid0(VALU_DEP_1) | instskip(NEXT) | instid1(VALU_DEP_1)
	v_div_fixup_f64 v[42:43], v[42:43], v[40:41], v[38:39]
	v_fma_f64 v[44:45], v[38:39], v[42:43], v[40:41]
	s_delay_alu instid0(VALU_DEP_1) | instskip(SKIP_1) | instid1(VALU_DEP_2)
	v_div_scale_f64 v[58:59], null, v[44:45], v[44:45], 1.0
	v_div_scale_f64 v[64:65], vcc_lo, 1.0, v[44:45], 1.0
	v_rcp_f64_e32 v[60:61], v[58:59]
	v_nop
	s_delay_alu instid0(TRANS32_DEP_1) | instskip(NEXT) | instid1(VALU_DEP_1)
	v_fma_f64 v[62:63], -v[58:59], v[60:61], 1.0
	v_fmac_f64_e32 v[60:61], v[60:61], v[62:63]
	s_delay_alu instid0(VALU_DEP_1) | instskip(NEXT) | instid1(VALU_DEP_1)
	v_fma_f64 v[62:63], -v[58:59], v[60:61], 1.0
	v_fmac_f64_e32 v[60:61], v[60:61], v[62:63]
	s_delay_alu instid0(VALU_DEP_1) | instskip(NEXT) | instid1(VALU_DEP_1)
	v_mul_f64_e32 v[62:63], v[64:65], v[60:61]
	v_fma_f64 v[58:59], -v[58:59], v[62:63], v[64:65]
	s_delay_alu instid0(VALU_DEP_1) | instskip(SKIP_2) | instid1(VALU_DEP_3)
	v_div_fmas_f64 v[58:59], v[58:59], v[60:61], v[62:63]
	v_fma_f64 v[60:61], v[34:35], v[42:43], v[36:37]
	v_fma_f64 v[42:43], v[36:37], v[42:43], -v[34:35]
	v_div_fixup_f64 v[44:45], v[58:59], v[44:45], 1.0
	s_delay_alu instid0(VALU_DEP_1) | instskip(NEXT) | instid1(VALU_DEP_3)
	v_mul_f64_e32 v[58:59], v[60:61], v[44:45]
	v_mul_f64_e32 v[42:43], v[42:43], v[44:45]
.LBB51_143:                             ;   in Loop: Header=BB51_114 Depth=1
	s_or_b32 exec_lo, exec_lo, s1
	s_delay_alu instid0(VALU_DEP_1) | instskip(SKIP_2) | instid1(VALU_DEP_2)
	v_mul_f64_e32 v[60:61], s[10:11], v[42:43]
	v_mul_f64_e32 v[44:45], s[8:9], v[42:43]
	s_mov_b32 s1, 0
	v_fma_f64 v[42:43], s[8:9], v[58:59], -v[60:61]
	s_delay_alu instid0(VALU_DEP_2)
	v_fmac_f64_e32 v[44:45], s[10:11], v[58:59]
.LBB51_144:                             ;   in Loop: Header=BB51_114 Depth=1
	s_and_b32 vcc_lo, exec_lo, s1
	s_cbranch_vccz .LBB51_154
; %bb.145:                              ;   in Loop: Header=BB51_114 Depth=1
                                        ; implicit-def: $vgpr44_vgpr45
                                        ; implicit-def: $vgpr42_vgpr43
	s_and_saveexec_b32 s1, s0
	s_delay_alu instid0(SALU_CYCLE_1)
	s_xor_b32 s1, exec_lo, s1
	s_cbranch_execz .LBB51_151
; %bb.146:                              ;   in Loop: Header=BB51_114 Depth=1
	v_cmp_neq_f64_e32 vcc_lo, 0, v[38:39]
	v_cmp_neq_f64_e64 s0, 0, v[40:41]
                                        ; implicit-def: $vgpr44_vgpr45
                                        ; implicit-def: $vgpr42_vgpr43
	s_or_b32 s0, vcc_lo, s0
	s_delay_alu instid0(SALU_CYCLE_1) | instskip(NEXT) | instid1(SALU_CYCLE_1)
	s_and_saveexec_b32 s20, s0
	s_xor_b32 s0, exec_lo, s20
	s_cbranch_execz .LBB51_148
; %bb.147:                              ;   in Loop: Header=BB51_114 Depth=1
	v_div_scale_f64 v[42:43], null, v[38:39], v[38:39], v[40:41]
	v_div_scale_f64 v[48:49], vcc_lo, v[40:41], v[38:39], v[40:41]
	s_delay_alu instid0(VALU_DEP_2) | instskip(SKIP_1) | instid1(TRANS32_DEP_1)
	v_rcp_f64_e32 v[44:45], v[42:43]
	v_nop
	v_fma_f64 v[46:47], -v[42:43], v[44:45], 1.0
	s_delay_alu instid0(VALU_DEP_1) | instskip(NEXT) | instid1(VALU_DEP_1)
	v_fmac_f64_e32 v[44:45], v[44:45], v[46:47]
	v_fma_f64 v[46:47], -v[42:43], v[44:45], 1.0
	s_delay_alu instid0(VALU_DEP_1) | instskip(NEXT) | instid1(VALU_DEP_1)
	v_fmac_f64_e32 v[44:45], v[44:45], v[46:47]
	v_mul_f64_e32 v[46:47], v[48:49], v[44:45]
	s_delay_alu instid0(VALU_DEP_1) | instskip(NEXT) | instid1(VALU_DEP_1)
	v_fma_f64 v[42:43], -v[42:43], v[46:47], v[48:49]
	v_div_fmas_f64 v[42:43], v[42:43], v[44:45], v[46:47]
	s_delay_alu instid0(VALU_DEP_1) | instskip(NEXT) | instid1(VALU_DEP_1)
	v_div_fixup_f64 v[42:43], v[42:43], v[38:39], v[40:41]
	v_fmac_f64_e32 v[38:39], v[40:41], v[42:43]
	s_delay_alu instid0(VALU_DEP_1) | instskip(SKIP_1) | instid1(VALU_DEP_2)
	v_div_scale_f64 v[40:41], null, v[38:39], v[38:39], 1.0
	v_div_scale_f64 v[48:49], vcc_lo, 1.0, v[38:39], 1.0
	v_rcp_f64_e32 v[44:45], v[40:41]
	v_nop
	s_delay_alu instid0(TRANS32_DEP_1) | instskip(NEXT) | instid1(VALU_DEP_1)
	v_fma_f64 v[46:47], -v[40:41], v[44:45], 1.0
	v_fmac_f64_e32 v[44:45], v[44:45], v[46:47]
	s_delay_alu instid0(VALU_DEP_1) | instskip(NEXT) | instid1(VALU_DEP_1)
	v_fma_f64 v[46:47], -v[40:41], v[44:45], 1.0
	v_fmac_f64_e32 v[44:45], v[44:45], v[46:47]
	s_delay_alu instid0(VALU_DEP_1) | instskip(NEXT) | instid1(VALU_DEP_1)
	v_mul_f64_e32 v[46:47], v[48:49], v[44:45]
	v_fma_f64 v[40:41], -v[40:41], v[46:47], v[48:49]
                                        ; implicit-def: $vgpr48_vgpr49
	s_delay_alu instid0(VALU_DEP_1) | instskip(SKIP_2) | instid1(VALU_DEP_3)
	v_div_fmas_f64 v[40:41], v[40:41], v[44:45], v[46:47]
	v_fma_f64 v[44:45], v[36:37], v[42:43], v[34:35]
	v_fma_f64 v[34:35], -v[34:35], v[42:43], v[36:37]
                                        ; implicit-def: $vgpr46_vgpr47
	v_div_fixup_f64 v[38:39], v[40:41], v[38:39], 1.0
	s_delay_alu instid0(VALU_DEP_1) | instskip(NEXT) | instid1(VALU_DEP_3)
	v_mul_f64_e32 v[42:43], v[44:45], v[38:39]
	v_mul_f64_e32 v[44:45], v[34:35], v[38:39]
                                        ; implicit-def: $vgpr34_vgpr35
.LBB51_148:                             ;   in Loop: Header=BB51_114 Depth=1
	s_and_not1_saveexec_b32 s20, s0
	s_cbranch_execz .LBB51_150
; %bb.149:                              ;   in Loop: Header=BB51_114 Depth=1
	v_div_scale_f64 v[38:39], null, v[46:47], v[46:47], v[34:35]
	v_div_scale_f64 v[40:41], null, v[48:49], v[48:49], v[36:37]
	v_div_scale_f64 v[62:63], vcc_lo, v[34:35], v[46:47], v[34:35]
	s_delay_alu instid0(VALU_DEP_3) | instskip(NEXT) | instid1(VALU_DEP_2)
	v_rcp_f64_e32 v[42:43], v[38:39]
	v_rcp_f64_e32 v[44:45], v[40:41]
	s_delay_alu instid0(TRANS32_DEP_2) | instskip(NEXT) | instid1(TRANS32_DEP_1)
	v_fma_f64 v[58:59], -v[38:39], v[42:43], 1.0
	v_fma_f64 v[60:61], -v[40:41], v[44:45], 1.0
	s_delay_alu instid0(VALU_DEP_2) | instskip(NEXT) | instid1(VALU_DEP_2)
	v_fmac_f64_e32 v[42:43], v[42:43], v[58:59]
	v_fmac_f64_e32 v[44:45], v[44:45], v[60:61]
	s_delay_alu instid0(VALU_DEP_2) | instskip(NEXT) | instid1(VALU_DEP_2)
	v_fma_f64 v[58:59], -v[38:39], v[42:43], 1.0
	v_fma_f64 v[60:61], -v[40:41], v[44:45], 1.0
	s_delay_alu instid0(VALU_DEP_2) | instskip(SKIP_1) | instid1(VALU_DEP_3)
	v_fmac_f64_e32 v[42:43], v[42:43], v[58:59]
	v_div_scale_f64 v[58:59], s0, v[36:37], v[48:49], v[36:37]
	v_fmac_f64_e32 v[44:45], v[44:45], v[60:61]
	s_delay_alu instid0(VALU_DEP_3) | instskip(NEXT) | instid1(VALU_DEP_2)
	v_mul_f64_e32 v[60:61], v[62:63], v[42:43]
	v_mul_f64_e32 v[64:65], v[58:59], v[44:45]
	s_delay_alu instid0(VALU_DEP_2) | instskip(NEXT) | instid1(VALU_DEP_2)
	v_fma_f64 v[38:39], -v[38:39], v[60:61], v[62:63]
	v_fma_f64 v[40:41], -v[40:41], v[64:65], v[58:59]
	s_delay_alu instid0(VALU_DEP_2) | instskip(SKIP_1) | instid1(VALU_DEP_2)
	v_div_fmas_f64 v[38:39], v[38:39], v[42:43], v[60:61]
	s_mov_b32 vcc_lo, s0
	v_div_fmas_f64 v[40:41], v[40:41], v[44:45], v[64:65]
	s_delay_alu instid0(VALU_DEP_2) | instskip(NEXT) | instid1(VALU_DEP_2)
	v_div_fixup_f64 v[42:43], v[38:39], v[46:47], v[34:35]
	v_div_fixup_f64 v[44:45], v[40:41], v[48:49], v[36:37]
.LBB51_150:                             ;   in Loop: Header=BB51_114 Depth=1
	s_or_b32 exec_lo, exec_lo, s20
                                        ; implicit-def: $vgpr40_vgpr41
                                        ; implicit-def: $vgpr34_vgpr35
.LBB51_151:                             ;   in Loop: Header=BB51_114 Depth=1
	s_and_not1_saveexec_b32 s0, s1
	s_cbranch_execz .LBB51_153
; %bb.152:                              ;   in Loop: Header=BB51_114 Depth=1
	v_div_scale_f64 v[42:43], null, v[40:41], v[40:41], v[38:39]
	v_div_scale_f64 v[48:49], vcc_lo, v[38:39], v[40:41], v[38:39]
	s_delay_alu instid0(VALU_DEP_2) | instskip(SKIP_1) | instid1(TRANS32_DEP_1)
	v_rcp_f64_e32 v[44:45], v[42:43]
	v_nop
	v_fma_f64 v[46:47], -v[42:43], v[44:45], 1.0
	s_delay_alu instid0(VALU_DEP_1) | instskip(NEXT) | instid1(VALU_DEP_1)
	v_fmac_f64_e32 v[44:45], v[44:45], v[46:47]
	v_fma_f64 v[46:47], -v[42:43], v[44:45], 1.0
	s_delay_alu instid0(VALU_DEP_1) | instskip(NEXT) | instid1(VALU_DEP_1)
	v_fmac_f64_e32 v[44:45], v[44:45], v[46:47]
	v_mul_f64_e32 v[46:47], v[48:49], v[44:45]
	s_delay_alu instid0(VALU_DEP_1) | instskip(NEXT) | instid1(VALU_DEP_1)
	v_fma_f64 v[42:43], -v[42:43], v[46:47], v[48:49]
	v_div_fmas_f64 v[42:43], v[42:43], v[44:45], v[46:47]
	s_delay_alu instid0(VALU_DEP_1) | instskip(NEXT) | instid1(VALU_DEP_1)
	v_div_fixup_f64 v[42:43], v[42:43], v[40:41], v[38:39]
	v_fmac_f64_e32 v[40:41], v[38:39], v[42:43]
	s_delay_alu instid0(VALU_DEP_1) | instskip(SKIP_1) | instid1(VALU_DEP_2)
	v_div_scale_f64 v[38:39], null, v[40:41], v[40:41], 1.0
	v_div_scale_f64 v[48:49], vcc_lo, 1.0, v[40:41], 1.0
	v_rcp_f64_e32 v[44:45], v[38:39]
	v_nop
	s_delay_alu instid0(TRANS32_DEP_1) | instskip(NEXT) | instid1(VALU_DEP_1)
	v_fma_f64 v[46:47], -v[38:39], v[44:45], 1.0
	v_fmac_f64_e32 v[44:45], v[44:45], v[46:47]
	s_delay_alu instid0(VALU_DEP_1) | instskip(NEXT) | instid1(VALU_DEP_1)
	v_fma_f64 v[46:47], -v[38:39], v[44:45], 1.0
	v_fmac_f64_e32 v[44:45], v[44:45], v[46:47]
	s_delay_alu instid0(VALU_DEP_1) | instskip(NEXT) | instid1(VALU_DEP_1)
	v_mul_f64_e32 v[46:47], v[48:49], v[44:45]
	v_fma_f64 v[38:39], -v[38:39], v[46:47], v[48:49]
	s_delay_alu instid0(VALU_DEP_1) | instskip(SKIP_2) | instid1(VALU_DEP_3)
	v_div_fmas_f64 v[38:39], v[38:39], v[44:45], v[46:47]
	v_fma_f64 v[44:45], v[34:35], v[42:43], v[36:37]
	v_fma_f64 v[34:35], v[36:37], v[42:43], -v[34:35]
	v_div_fixup_f64 v[38:39], v[38:39], v[40:41], 1.0
	s_delay_alu instid0(VALU_DEP_1) | instskip(NEXT) | instid1(VALU_DEP_3)
	v_mul_f64_e32 v[42:43], v[44:45], v[38:39]
	v_mul_f64_e32 v[44:45], v[34:35], v[38:39]
.LBB51_153:                             ;   in Loop: Header=BB51_114 Depth=1
	s_or_b32 exec_lo, exec_lo, s0
.LBB51_154:                             ;   in Loop: Header=BB51_114 Depth=1
	s_wait_loadcnt 0x0
	v_cmp_gt_f64_e32 vcc_lo, 0, v[30:31]
	v_xor_b32_e32 v34, 0x80000000, v31
	v_mov_b32_e32 v38, v30
	v_xor_b32_e32 v35, 0x80000000, v33
	s_mov_b32 s1, -1
                                        ; implicit-def: $vgpr36_vgpr37
	s_delay_alu instid0(VALU_DEP_3) | instskip(SKIP_1) | instid1(VALU_DEP_3)
	v_dual_mov_b32 v40, v32 :: v_dual_cndmask_b32 v39, v31, v34
	v_cmp_gt_f64_e32 vcc_lo, 0, v[32:33]
	v_cndmask_b32_e32 v41, v33, v35, vcc_lo
	s_and_not1_b32 vcc_lo, exec_lo, s6
                                        ; implicit-def: $vgpr34_vgpr35
	s_delay_alu instid0(VALU_DEP_1)
	v_cmp_ge_f64_e64 s0, v[38:39], v[40:41]
	s_cbranch_vccnz .LBB51_164
; %bb.155:                              ;   in Loop: Header=BB51_114 Depth=1
                                        ; implicit-def: $vgpr34_vgpr35
                                        ; implicit-def: $vgpr46_vgpr47
	s_and_saveexec_b32 s1, s0
	s_delay_alu instid0(SALU_CYCLE_1)
	s_xor_b32 s20, exec_lo, s1
	s_cbranch_execz .LBB51_161
; %bb.156:                              ;   in Loop: Header=BB51_114 Depth=1
	v_cmp_neq_f64_e32 vcc_lo, 0, v[30:31]
	v_cmp_neq_f64_e64 s1, 0, v[32:33]
                                        ; implicit-def: $vgpr34_vgpr35
                                        ; implicit-def: $vgpr46_vgpr47
	s_or_b32 s1, vcc_lo, s1
	s_delay_alu instid0(SALU_CYCLE_1) | instskip(NEXT) | instid1(SALU_CYCLE_1)
	s_and_saveexec_b32 s21, s1
	s_xor_b32 s1, exec_lo, s21
	s_cbranch_execz .LBB51_158
; %bb.157:                              ;   in Loop: Header=BB51_114 Depth=1
	v_div_scale_f64 v[34:35], null, v[30:31], v[30:31], v[32:33]
	v_div_scale_f64 v[48:49], vcc_lo, v[32:33], v[30:31], v[32:33]
	s_delay_alu instid0(VALU_DEP_2) | instskip(SKIP_1) | instid1(TRANS32_DEP_1)
	v_rcp_f64_e32 v[36:37], v[34:35]
	v_nop
	v_fma_f64 v[46:47], -v[34:35], v[36:37], 1.0
	s_delay_alu instid0(VALU_DEP_1) | instskip(NEXT) | instid1(VALU_DEP_1)
	v_fmac_f64_e32 v[36:37], v[36:37], v[46:47]
	v_fma_f64 v[46:47], -v[34:35], v[36:37], 1.0
	s_delay_alu instid0(VALU_DEP_1) | instskip(NEXT) | instid1(VALU_DEP_1)
	v_fmac_f64_e32 v[36:37], v[36:37], v[46:47]
	v_mul_f64_e32 v[46:47], v[48:49], v[36:37]
	s_delay_alu instid0(VALU_DEP_1) | instskip(NEXT) | instid1(VALU_DEP_1)
	v_fma_f64 v[34:35], -v[34:35], v[46:47], v[48:49]
	v_div_fmas_f64 v[34:35], v[34:35], v[36:37], v[46:47]
	s_delay_alu instid0(VALU_DEP_1) | instskip(NEXT) | instid1(VALU_DEP_1)
	v_div_fixup_f64 v[34:35], v[34:35], v[30:31], v[32:33]
	v_fma_f64 v[36:37], v[32:33], v[34:35], v[30:31]
	s_delay_alu instid0(VALU_DEP_1) | instskip(SKIP_1) | instid1(VALU_DEP_2)
	v_div_scale_f64 v[46:47], null, v[36:37], v[36:37], 1.0
	v_div_scale_f64 v[60:61], vcc_lo, 1.0, v[36:37], 1.0
	v_rcp_f64_e32 v[48:49], v[46:47]
	v_nop
	s_delay_alu instid0(TRANS32_DEP_1) | instskip(NEXT) | instid1(VALU_DEP_1)
	v_fma_f64 v[58:59], -v[46:47], v[48:49], 1.0
	v_fmac_f64_e32 v[48:49], v[48:49], v[58:59]
	s_delay_alu instid0(VALU_DEP_1) | instskip(NEXT) | instid1(VALU_DEP_1)
	v_fma_f64 v[58:59], -v[46:47], v[48:49], 1.0
	v_fmac_f64_e32 v[48:49], v[48:49], v[58:59]
	s_delay_alu instid0(VALU_DEP_1) | instskip(NEXT) | instid1(VALU_DEP_1)
	v_mul_f64_e32 v[58:59], v[60:61], v[48:49]
	v_fma_f64 v[46:47], -v[46:47], v[58:59], v[60:61]
	s_delay_alu instid0(VALU_DEP_1) | instskip(SKIP_2) | instid1(VALU_DEP_3)
	v_div_fmas_f64 v[46:47], v[46:47], v[48:49], v[58:59]
	v_fma_f64 v[48:49], v[28:29], v[34:35], v[26:27]
	v_fma_f64 v[34:35], -v[26:27], v[34:35], v[28:29]
	v_div_fixup_f64 v[36:37], v[46:47], v[36:37], 1.0
	s_delay_alu instid0(VALU_DEP_1) | instskip(NEXT) | instid1(VALU_DEP_3)
	v_mul_f64_e32 v[46:47], v[48:49], v[36:37]
	v_mul_f64_e32 v[34:35], v[34:35], v[36:37]
.LBB51_158:                             ;   in Loop: Header=BB51_114 Depth=1
	s_and_not1_saveexec_b32 s21, s1
	s_cbranch_execz .LBB51_160
; %bb.159:                              ;   in Loop: Header=BB51_114 Depth=1
	v_div_scale_f64 v[34:35], null, v[38:39], v[38:39], v[26:27]
	v_div_scale_f64 v[36:37], null, v[40:41], v[40:41], v[28:29]
	v_div_scale_f64 v[62:63], vcc_lo, v[26:27], v[38:39], v[26:27]
	s_delay_alu instid0(VALU_DEP_3) | instskip(NEXT) | instid1(VALU_DEP_2)
	v_rcp_f64_e32 v[46:47], v[34:35]
	v_rcp_f64_e32 v[48:49], v[36:37]
	s_delay_alu instid0(TRANS32_DEP_2) | instskip(NEXT) | instid1(TRANS32_DEP_1)
	v_fma_f64 v[58:59], -v[34:35], v[46:47], 1.0
	v_fma_f64 v[60:61], -v[36:37], v[48:49], 1.0
	s_delay_alu instid0(VALU_DEP_2) | instskip(NEXT) | instid1(VALU_DEP_2)
	v_fmac_f64_e32 v[46:47], v[46:47], v[58:59]
	v_fmac_f64_e32 v[48:49], v[48:49], v[60:61]
	s_delay_alu instid0(VALU_DEP_2) | instskip(NEXT) | instid1(VALU_DEP_2)
	v_fma_f64 v[58:59], -v[34:35], v[46:47], 1.0
	v_fma_f64 v[60:61], -v[36:37], v[48:49], 1.0
	s_delay_alu instid0(VALU_DEP_2) | instskip(SKIP_1) | instid1(VALU_DEP_3)
	v_fmac_f64_e32 v[46:47], v[46:47], v[58:59]
	v_div_scale_f64 v[58:59], s1, v[28:29], v[40:41], v[28:29]
	v_fmac_f64_e32 v[48:49], v[48:49], v[60:61]
	s_delay_alu instid0(VALU_DEP_3) | instskip(NEXT) | instid1(VALU_DEP_2)
	v_mul_f64_e32 v[60:61], v[62:63], v[46:47]
	v_mul_f64_e32 v[64:65], v[58:59], v[48:49]
	s_delay_alu instid0(VALU_DEP_2) | instskip(NEXT) | instid1(VALU_DEP_2)
	v_fma_f64 v[34:35], -v[34:35], v[60:61], v[62:63]
	v_fma_f64 v[36:37], -v[36:37], v[64:65], v[58:59]
	s_delay_alu instid0(VALU_DEP_2) | instskip(SKIP_1) | instid1(VALU_DEP_2)
	v_div_fmas_f64 v[34:35], v[34:35], v[46:47], v[60:61]
	s_mov_b32 vcc_lo, s1
	v_div_fmas_f64 v[36:37], v[36:37], v[48:49], v[64:65]
	s_delay_alu instid0(VALU_DEP_2) | instskip(NEXT) | instid1(VALU_DEP_2)
	v_div_fixup_f64 v[46:47], v[34:35], v[38:39], v[26:27]
	v_div_fixup_f64 v[34:35], v[36:37], v[40:41], v[28:29]
.LBB51_160:                             ;   in Loop: Header=BB51_114 Depth=1
	s_or_b32 exec_lo, exec_lo, s21
.LBB51_161:                             ;   in Loop: Header=BB51_114 Depth=1
	s_and_not1_saveexec_b32 s1, s20
	s_cbranch_execz .LBB51_163
; %bb.162:                              ;   in Loop: Header=BB51_114 Depth=1
	v_div_scale_f64 v[34:35], null, v[32:33], v[32:33], v[30:31]
	v_div_scale_f64 v[48:49], vcc_lo, v[30:31], v[32:33], v[30:31]
	s_delay_alu instid0(VALU_DEP_2) | instskip(SKIP_1) | instid1(TRANS32_DEP_1)
	v_rcp_f64_e32 v[36:37], v[34:35]
	v_nop
	v_fma_f64 v[46:47], -v[34:35], v[36:37], 1.0
	s_delay_alu instid0(VALU_DEP_1) | instskip(NEXT) | instid1(VALU_DEP_1)
	v_fmac_f64_e32 v[36:37], v[36:37], v[46:47]
	v_fma_f64 v[46:47], -v[34:35], v[36:37], 1.0
	s_delay_alu instid0(VALU_DEP_1) | instskip(NEXT) | instid1(VALU_DEP_1)
	v_fmac_f64_e32 v[36:37], v[36:37], v[46:47]
	v_mul_f64_e32 v[46:47], v[48:49], v[36:37]
	s_delay_alu instid0(VALU_DEP_1) | instskip(NEXT) | instid1(VALU_DEP_1)
	v_fma_f64 v[34:35], -v[34:35], v[46:47], v[48:49]
	v_div_fmas_f64 v[34:35], v[34:35], v[36:37], v[46:47]
	s_delay_alu instid0(VALU_DEP_1) | instskip(NEXT) | instid1(VALU_DEP_1)
	v_div_fixup_f64 v[34:35], v[34:35], v[32:33], v[30:31]
	v_fma_f64 v[36:37], v[30:31], v[34:35], v[32:33]
	s_delay_alu instid0(VALU_DEP_1) | instskip(SKIP_1) | instid1(VALU_DEP_2)
	v_div_scale_f64 v[46:47], null, v[36:37], v[36:37], 1.0
	v_div_scale_f64 v[60:61], vcc_lo, 1.0, v[36:37], 1.0
	v_rcp_f64_e32 v[48:49], v[46:47]
	v_nop
	s_delay_alu instid0(TRANS32_DEP_1) | instskip(NEXT) | instid1(VALU_DEP_1)
	v_fma_f64 v[58:59], -v[46:47], v[48:49], 1.0
	v_fmac_f64_e32 v[48:49], v[48:49], v[58:59]
	s_delay_alu instid0(VALU_DEP_1) | instskip(NEXT) | instid1(VALU_DEP_1)
	v_fma_f64 v[58:59], -v[46:47], v[48:49], 1.0
	v_fmac_f64_e32 v[48:49], v[48:49], v[58:59]
	s_delay_alu instid0(VALU_DEP_1) | instskip(NEXT) | instid1(VALU_DEP_1)
	v_mul_f64_e32 v[58:59], v[60:61], v[48:49]
	v_fma_f64 v[46:47], -v[46:47], v[58:59], v[60:61]
	s_delay_alu instid0(VALU_DEP_1) | instskip(SKIP_2) | instid1(VALU_DEP_3)
	v_div_fmas_f64 v[46:47], v[46:47], v[48:49], v[58:59]
	v_fma_f64 v[48:49], v[26:27], v[34:35], v[28:29]
	v_fma_f64 v[34:35], v[28:29], v[34:35], -v[26:27]
	v_div_fixup_f64 v[36:37], v[46:47], v[36:37], 1.0
	s_delay_alu instid0(VALU_DEP_1) | instskip(NEXT) | instid1(VALU_DEP_3)
	v_mul_f64_e32 v[46:47], v[48:49], v[36:37]
	v_mul_f64_e32 v[34:35], v[34:35], v[36:37]
.LBB51_163:                             ;   in Loop: Header=BB51_114 Depth=1
	s_or_b32 exec_lo, exec_lo, s1
	s_delay_alu instid0(VALU_DEP_1) | instskip(SKIP_2) | instid1(VALU_DEP_2)
	v_mul_f64_e32 v[36:37], s[10:11], v[34:35]
	v_mul_f64_e32 v[34:35], s[8:9], v[34:35]
	s_mov_b32 s1, 0
	v_fma_f64 v[36:37], s[8:9], v[46:47], -v[36:37]
	s_delay_alu instid0(VALU_DEP_2)
	v_fmac_f64_e32 v[34:35], s[10:11], v[46:47]
.LBB51_164:                             ;   in Loop: Header=BB51_114 Depth=1
	s_and_b32 vcc_lo, exec_lo, s1
	s_cbranch_vccz .LBB51_174
; %bb.165:                              ;   in Loop: Header=BB51_114 Depth=1
                                        ; implicit-def: $vgpr34_vgpr35
                                        ; implicit-def: $vgpr36_vgpr37
	s_and_saveexec_b32 s1, s0
	s_delay_alu instid0(SALU_CYCLE_1)
	s_xor_b32 s1, exec_lo, s1
	s_cbranch_execz .LBB51_171
; %bb.166:                              ;   in Loop: Header=BB51_114 Depth=1
	v_cmp_neq_f64_e32 vcc_lo, 0, v[30:31]
	v_cmp_neq_f64_e64 s0, 0, v[32:33]
                                        ; implicit-def: $vgpr34_vgpr35
                                        ; implicit-def: $vgpr36_vgpr37
	s_or_b32 s0, vcc_lo, s0
	s_delay_alu instid0(SALU_CYCLE_1) | instskip(NEXT) | instid1(SALU_CYCLE_1)
	s_and_saveexec_b32 s20, s0
	s_xor_b32 s0, exec_lo, s20
	s_cbranch_execz .LBB51_168
; %bb.167:                              ;   in Loop: Header=BB51_114 Depth=1
	v_div_scale_f64 v[34:35], null, v[30:31], v[30:31], v[32:33]
	v_div_scale_f64 v[40:41], vcc_lo, v[32:33], v[30:31], v[32:33]
	s_delay_alu instid0(VALU_DEP_2) | instskip(SKIP_1) | instid1(TRANS32_DEP_1)
	v_rcp_f64_e32 v[36:37], v[34:35]
	v_nop
	v_fma_f64 v[38:39], -v[34:35], v[36:37], 1.0
	s_delay_alu instid0(VALU_DEP_1) | instskip(NEXT) | instid1(VALU_DEP_1)
	v_fmac_f64_e32 v[36:37], v[36:37], v[38:39]
	v_fma_f64 v[38:39], -v[34:35], v[36:37], 1.0
	s_delay_alu instid0(VALU_DEP_1) | instskip(NEXT) | instid1(VALU_DEP_1)
	v_fmac_f64_e32 v[36:37], v[36:37], v[38:39]
	v_mul_f64_e32 v[38:39], v[40:41], v[36:37]
	s_delay_alu instid0(VALU_DEP_1) | instskip(NEXT) | instid1(VALU_DEP_1)
	v_fma_f64 v[34:35], -v[34:35], v[38:39], v[40:41]
	v_div_fmas_f64 v[34:35], v[34:35], v[36:37], v[38:39]
	s_delay_alu instid0(VALU_DEP_1) | instskip(NEXT) | instid1(VALU_DEP_1)
	v_div_fixup_f64 v[34:35], v[34:35], v[30:31], v[32:33]
	v_fmac_f64_e32 v[30:31], v[32:33], v[34:35]
	s_delay_alu instid0(VALU_DEP_1) | instskip(SKIP_1) | instid1(VALU_DEP_2)
	v_div_scale_f64 v[32:33], null, v[30:31], v[30:31], 1.0
	v_div_scale_f64 v[40:41], vcc_lo, 1.0, v[30:31], 1.0
	v_rcp_f64_e32 v[36:37], v[32:33]
	v_nop
	s_delay_alu instid0(TRANS32_DEP_1) | instskip(NEXT) | instid1(VALU_DEP_1)
	v_fma_f64 v[38:39], -v[32:33], v[36:37], 1.0
	v_fmac_f64_e32 v[36:37], v[36:37], v[38:39]
	s_delay_alu instid0(VALU_DEP_1) | instskip(NEXT) | instid1(VALU_DEP_1)
	v_fma_f64 v[38:39], -v[32:33], v[36:37], 1.0
	v_fmac_f64_e32 v[36:37], v[36:37], v[38:39]
	s_delay_alu instid0(VALU_DEP_1) | instskip(NEXT) | instid1(VALU_DEP_1)
	v_mul_f64_e32 v[38:39], v[40:41], v[36:37]
	v_fma_f64 v[32:33], -v[32:33], v[38:39], v[40:41]
                                        ; implicit-def: $vgpr40_vgpr41
	s_delay_alu instid0(VALU_DEP_1) | instskip(SKIP_2) | instid1(VALU_DEP_3)
	v_div_fmas_f64 v[32:33], v[32:33], v[36:37], v[38:39]
	v_fma_f64 v[36:37], v[28:29], v[34:35], v[26:27]
	v_fma_f64 v[26:27], -v[26:27], v[34:35], v[28:29]
                                        ; implicit-def: $vgpr38_vgpr39
	v_div_fixup_f64 v[30:31], v[32:33], v[30:31], 1.0
	s_delay_alu instid0(VALU_DEP_1) | instskip(NEXT) | instid1(VALU_DEP_3)
	v_mul_f64_e32 v[36:37], v[36:37], v[30:31]
	v_mul_f64_e32 v[34:35], v[26:27], v[30:31]
                                        ; implicit-def: $vgpr26_vgpr27
.LBB51_168:                             ;   in Loop: Header=BB51_114 Depth=1
	s_and_not1_saveexec_b32 s20, s0
	s_cbranch_execz .LBB51_170
; %bb.169:                              ;   in Loop: Header=BB51_114 Depth=1
	v_div_scale_f64 v[30:31], null, v[38:39], v[38:39], v[26:27]
	v_div_scale_f64 v[32:33], null, v[40:41], v[40:41], v[28:29]
	v_div_scale_f64 v[58:59], vcc_lo, v[26:27], v[38:39], v[26:27]
	s_delay_alu instid0(VALU_DEP_3) | instskip(NEXT) | instid1(VALU_DEP_2)
	v_rcp_f64_e32 v[34:35], v[30:31]
	v_rcp_f64_e32 v[36:37], v[32:33]
	s_delay_alu instid0(TRANS32_DEP_2) | instskip(NEXT) | instid1(TRANS32_DEP_1)
	v_fma_f64 v[46:47], -v[30:31], v[34:35], 1.0
	v_fma_f64 v[48:49], -v[32:33], v[36:37], 1.0
	s_delay_alu instid0(VALU_DEP_2) | instskip(NEXT) | instid1(VALU_DEP_2)
	v_fmac_f64_e32 v[34:35], v[34:35], v[46:47]
	v_fmac_f64_e32 v[36:37], v[36:37], v[48:49]
	s_delay_alu instid0(VALU_DEP_2) | instskip(NEXT) | instid1(VALU_DEP_2)
	v_fma_f64 v[46:47], -v[30:31], v[34:35], 1.0
	v_fma_f64 v[48:49], -v[32:33], v[36:37], 1.0
	s_delay_alu instid0(VALU_DEP_2) | instskip(SKIP_1) | instid1(VALU_DEP_3)
	v_fmac_f64_e32 v[34:35], v[34:35], v[46:47]
	v_div_scale_f64 v[46:47], s0, v[28:29], v[40:41], v[28:29]
	v_fmac_f64_e32 v[36:37], v[36:37], v[48:49]
	s_delay_alu instid0(VALU_DEP_3) | instskip(NEXT) | instid1(VALU_DEP_2)
	v_mul_f64_e32 v[48:49], v[58:59], v[34:35]
	v_mul_f64_e32 v[60:61], v[46:47], v[36:37]
	s_delay_alu instid0(VALU_DEP_2) | instskip(NEXT) | instid1(VALU_DEP_2)
	v_fma_f64 v[30:31], -v[30:31], v[48:49], v[58:59]
	v_fma_f64 v[32:33], -v[32:33], v[60:61], v[46:47]
	s_delay_alu instid0(VALU_DEP_2) | instskip(SKIP_1) | instid1(VALU_DEP_2)
	v_div_fmas_f64 v[30:31], v[30:31], v[34:35], v[48:49]
	s_mov_b32 vcc_lo, s0
	v_div_fmas_f64 v[32:33], v[32:33], v[36:37], v[60:61]
	s_delay_alu instid0(VALU_DEP_2) | instskip(NEXT) | instid1(VALU_DEP_2)
	v_div_fixup_f64 v[36:37], v[30:31], v[38:39], v[26:27]
	v_div_fixup_f64 v[34:35], v[32:33], v[40:41], v[28:29]
.LBB51_170:                             ;   in Loop: Header=BB51_114 Depth=1
	s_or_b32 exec_lo, exec_lo, s20
                                        ; implicit-def: $vgpr32_vgpr33
                                        ; implicit-def: $vgpr26_vgpr27
.LBB51_171:                             ;   in Loop: Header=BB51_114 Depth=1
	s_and_not1_saveexec_b32 s0, s1
	s_cbranch_execz .LBB51_173
; %bb.172:                              ;   in Loop: Header=BB51_114 Depth=1
	v_div_scale_f64 v[34:35], null, v[32:33], v[32:33], v[30:31]
	v_div_scale_f64 v[40:41], vcc_lo, v[30:31], v[32:33], v[30:31]
	s_delay_alu instid0(VALU_DEP_2) | instskip(SKIP_1) | instid1(TRANS32_DEP_1)
	v_rcp_f64_e32 v[36:37], v[34:35]
	v_nop
	v_fma_f64 v[38:39], -v[34:35], v[36:37], 1.0
	s_delay_alu instid0(VALU_DEP_1) | instskip(NEXT) | instid1(VALU_DEP_1)
	v_fmac_f64_e32 v[36:37], v[36:37], v[38:39]
	v_fma_f64 v[38:39], -v[34:35], v[36:37], 1.0
	s_delay_alu instid0(VALU_DEP_1) | instskip(NEXT) | instid1(VALU_DEP_1)
	v_fmac_f64_e32 v[36:37], v[36:37], v[38:39]
	v_mul_f64_e32 v[38:39], v[40:41], v[36:37]
	s_delay_alu instid0(VALU_DEP_1) | instskip(NEXT) | instid1(VALU_DEP_1)
	v_fma_f64 v[34:35], -v[34:35], v[38:39], v[40:41]
	v_div_fmas_f64 v[34:35], v[34:35], v[36:37], v[38:39]
	s_delay_alu instid0(VALU_DEP_1) | instskip(NEXT) | instid1(VALU_DEP_1)
	v_div_fixup_f64 v[34:35], v[34:35], v[32:33], v[30:31]
	v_fmac_f64_e32 v[32:33], v[30:31], v[34:35]
	s_delay_alu instid0(VALU_DEP_1) | instskip(SKIP_1) | instid1(VALU_DEP_2)
	v_div_scale_f64 v[30:31], null, v[32:33], v[32:33], 1.0
	v_div_scale_f64 v[40:41], vcc_lo, 1.0, v[32:33], 1.0
	v_rcp_f64_e32 v[36:37], v[30:31]
	v_nop
	s_delay_alu instid0(TRANS32_DEP_1) | instskip(NEXT) | instid1(VALU_DEP_1)
	v_fma_f64 v[38:39], -v[30:31], v[36:37], 1.0
	v_fmac_f64_e32 v[36:37], v[36:37], v[38:39]
	s_delay_alu instid0(VALU_DEP_1) | instskip(NEXT) | instid1(VALU_DEP_1)
	v_fma_f64 v[38:39], -v[30:31], v[36:37], 1.0
	v_fmac_f64_e32 v[36:37], v[36:37], v[38:39]
	s_delay_alu instid0(VALU_DEP_1) | instskip(NEXT) | instid1(VALU_DEP_1)
	v_mul_f64_e32 v[38:39], v[40:41], v[36:37]
	v_fma_f64 v[30:31], -v[30:31], v[38:39], v[40:41]
	s_delay_alu instid0(VALU_DEP_1) | instskip(SKIP_2) | instid1(VALU_DEP_3)
	v_div_fmas_f64 v[30:31], v[30:31], v[36:37], v[38:39]
	v_fma_f64 v[36:37], v[26:27], v[34:35], v[28:29]
	v_fma_f64 v[26:27], v[28:29], v[34:35], -v[26:27]
	v_div_fixup_f64 v[30:31], v[30:31], v[32:33], 1.0
	s_delay_alu instid0(VALU_DEP_1) | instskip(NEXT) | instid1(VALU_DEP_3)
	v_mul_f64_e32 v[36:37], v[36:37], v[30:31]
	v_mul_f64_e32 v[34:35], v[26:27], v[30:31]
.LBB51_173:                             ;   in Loop: Header=BB51_114 Depth=1
	s_or_b32 exec_lo, exec_lo, s0
.LBB51_174:                             ;   in Loop: Header=BB51_114 Depth=1
	v_cmp_gt_f64_e32 vcc_lo, 0, v[22:23]
	v_xor_b32_e32 v27, 0x80000000, v23
	v_mov_b32_e32 v26, v22
	v_xor_b32_e32 v28, 0x80000000, v25
	s_mov_b32 s1, -1
                                        ; implicit-def: $vgpr30_vgpr31
                                        ; implicit-def: $vgpr32_vgpr33
	s_delay_alu instid0(VALU_DEP_3) | instskip(SKIP_1) | instid1(VALU_DEP_3)
	v_cndmask_b32_e32 v27, v23, v27, vcc_lo
	v_cmp_gt_f64_e32 vcc_lo, 0, v[24:25]
	v_dual_cndmask_b32 v29, v25, v28 :: v_dual_mov_b32 v28, v24
	s_and_not1_b32 vcc_lo, exec_lo, s6
	s_delay_alu instid0(VALU_DEP_1)
	v_cmp_ge_f64_e64 s0, v[26:27], v[28:29]
	s_cbranch_vccnz .LBB51_184
; %bb.175:                              ;   in Loop: Header=BB51_114 Depth=1
                                        ; implicit-def: $vgpr30_vgpr31
                                        ; implicit-def: $vgpr38_vgpr39
	s_and_saveexec_b32 s1, s0
	s_delay_alu instid0(SALU_CYCLE_1)
	s_xor_b32 s20, exec_lo, s1
	s_cbranch_execz .LBB51_181
; %bb.176:                              ;   in Loop: Header=BB51_114 Depth=1
	v_cmp_neq_f64_e32 vcc_lo, 0, v[22:23]
	v_cmp_neq_f64_e64 s1, 0, v[24:25]
                                        ; implicit-def: $vgpr30_vgpr31
                                        ; implicit-def: $vgpr38_vgpr39
	s_or_b32 s1, vcc_lo, s1
	s_delay_alu instid0(SALU_CYCLE_1) | instskip(NEXT) | instid1(SALU_CYCLE_1)
	s_and_saveexec_b32 s21, s1
	s_xor_b32 s1, exec_lo, s21
	s_cbranch_execz .LBB51_178
; %bb.177:                              ;   in Loop: Header=BB51_114 Depth=1
	v_div_scale_f64 v[30:31], null, v[22:23], v[22:23], v[24:25]
	v_div_scale_f64 v[40:41], vcc_lo, v[24:25], v[22:23], v[24:25]
	s_delay_alu instid0(VALU_DEP_2) | instskip(SKIP_1) | instid1(TRANS32_DEP_1)
	v_rcp_f64_e32 v[32:33], v[30:31]
	v_nop
	v_fma_f64 v[38:39], -v[30:31], v[32:33], 1.0
	s_delay_alu instid0(VALU_DEP_1) | instskip(NEXT) | instid1(VALU_DEP_1)
	v_fmac_f64_e32 v[32:33], v[32:33], v[38:39]
	v_fma_f64 v[38:39], -v[30:31], v[32:33], 1.0
	s_delay_alu instid0(VALU_DEP_1) | instskip(NEXT) | instid1(VALU_DEP_1)
	v_fmac_f64_e32 v[32:33], v[32:33], v[38:39]
	v_mul_f64_e32 v[38:39], v[40:41], v[32:33]
	s_delay_alu instid0(VALU_DEP_1) | instskip(NEXT) | instid1(VALU_DEP_1)
	v_fma_f64 v[30:31], -v[30:31], v[38:39], v[40:41]
	v_div_fmas_f64 v[30:31], v[30:31], v[32:33], v[38:39]
	s_delay_alu instid0(VALU_DEP_1) | instskip(NEXT) | instid1(VALU_DEP_1)
	v_div_fixup_f64 v[30:31], v[30:31], v[22:23], v[24:25]
	v_fma_f64 v[32:33], v[24:25], v[30:31], v[22:23]
	s_delay_alu instid0(VALU_DEP_1) | instskip(SKIP_1) | instid1(VALU_DEP_2)
	v_div_scale_f64 v[38:39], null, v[32:33], v[32:33], 1.0
	v_div_scale_f64 v[48:49], vcc_lo, 1.0, v[32:33], 1.0
	v_rcp_f64_e32 v[40:41], v[38:39]
	v_nop
	s_delay_alu instid0(TRANS32_DEP_1) | instskip(NEXT) | instid1(VALU_DEP_1)
	v_fma_f64 v[46:47], -v[38:39], v[40:41], 1.0
	v_fmac_f64_e32 v[40:41], v[40:41], v[46:47]
	s_delay_alu instid0(VALU_DEP_1) | instskip(NEXT) | instid1(VALU_DEP_1)
	v_fma_f64 v[46:47], -v[38:39], v[40:41], 1.0
	v_fmac_f64_e32 v[40:41], v[40:41], v[46:47]
	s_delay_alu instid0(VALU_DEP_1) | instskip(NEXT) | instid1(VALU_DEP_1)
	v_mul_f64_e32 v[46:47], v[48:49], v[40:41]
	v_fma_f64 v[38:39], -v[38:39], v[46:47], v[48:49]
	s_delay_alu instid0(VALU_DEP_1) | instskip(SKIP_2) | instid1(VALU_DEP_3)
	v_div_fmas_f64 v[38:39], v[38:39], v[40:41], v[46:47]
	v_fma_f64 v[40:41], v[20:21], v[30:31], v[18:19]
	v_fma_f64 v[30:31], -v[18:19], v[30:31], v[20:21]
	v_div_fixup_f64 v[32:33], v[38:39], v[32:33], 1.0
	s_delay_alu instid0(VALU_DEP_1) | instskip(NEXT) | instid1(VALU_DEP_3)
	v_mul_f64_e32 v[38:39], v[40:41], v[32:33]
	v_mul_f64_e32 v[30:31], v[30:31], v[32:33]
.LBB51_178:                             ;   in Loop: Header=BB51_114 Depth=1
	s_and_not1_saveexec_b32 s21, s1
	s_cbranch_execz .LBB51_180
; %bb.179:                              ;   in Loop: Header=BB51_114 Depth=1
	v_div_scale_f64 v[30:31], null, v[26:27], v[26:27], v[18:19]
	v_div_scale_f64 v[32:33], null, v[28:29], v[28:29], v[20:21]
	v_div_scale_f64 v[58:59], vcc_lo, v[18:19], v[26:27], v[18:19]
	s_delay_alu instid0(VALU_DEP_3) | instskip(NEXT) | instid1(VALU_DEP_2)
	v_rcp_f64_e32 v[38:39], v[30:31]
	v_rcp_f64_e32 v[40:41], v[32:33]
	s_delay_alu instid0(TRANS32_DEP_2) | instskip(NEXT) | instid1(TRANS32_DEP_1)
	v_fma_f64 v[46:47], -v[30:31], v[38:39], 1.0
	v_fma_f64 v[48:49], -v[32:33], v[40:41], 1.0
	s_delay_alu instid0(VALU_DEP_2) | instskip(NEXT) | instid1(VALU_DEP_2)
	v_fmac_f64_e32 v[38:39], v[38:39], v[46:47]
	v_fmac_f64_e32 v[40:41], v[40:41], v[48:49]
	s_delay_alu instid0(VALU_DEP_2) | instskip(NEXT) | instid1(VALU_DEP_2)
	v_fma_f64 v[46:47], -v[30:31], v[38:39], 1.0
	v_fma_f64 v[48:49], -v[32:33], v[40:41], 1.0
	s_delay_alu instid0(VALU_DEP_2) | instskip(SKIP_1) | instid1(VALU_DEP_3)
	v_fmac_f64_e32 v[38:39], v[38:39], v[46:47]
	v_div_scale_f64 v[46:47], s1, v[20:21], v[28:29], v[20:21]
	v_fmac_f64_e32 v[40:41], v[40:41], v[48:49]
	s_delay_alu instid0(VALU_DEP_3) | instskip(NEXT) | instid1(VALU_DEP_2)
	v_mul_f64_e32 v[48:49], v[58:59], v[38:39]
	v_mul_f64_e32 v[60:61], v[46:47], v[40:41]
	s_delay_alu instid0(VALU_DEP_2) | instskip(NEXT) | instid1(VALU_DEP_2)
	v_fma_f64 v[30:31], -v[30:31], v[48:49], v[58:59]
	v_fma_f64 v[32:33], -v[32:33], v[60:61], v[46:47]
	s_delay_alu instid0(VALU_DEP_2) | instskip(SKIP_1) | instid1(VALU_DEP_2)
	v_div_fmas_f64 v[30:31], v[30:31], v[38:39], v[48:49]
	s_mov_b32 vcc_lo, s1
	v_div_fmas_f64 v[32:33], v[32:33], v[40:41], v[60:61]
	s_delay_alu instid0(VALU_DEP_2) | instskip(NEXT) | instid1(VALU_DEP_2)
	v_div_fixup_f64 v[38:39], v[30:31], v[26:27], v[18:19]
	v_div_fixup_f64 v[30:31], v[32:33], v[28:29], v[20:21]
.LBB51_180:                             ;   in Loop: Header=BB51_114 Depth=1
	s_or_b32 exec_lo, exec_lo, s21
.LBB51_181:                             ;   in Loop: Header=BB51_114 Depth=1
	s_and_not1_saveexec_b32 s1, s20
	s_cbranch_execz .LBB51_183
; %bb.182:                              ;   in Loop: Header=BB51_114 Depth=1
	v_div_scale_f64 v[30:31], null, v[24:25], v[24:25], v[22:23]
	v_div_scale_f64 v[40:41], vcc_lo, v[22:23], v[24:25], v[22:23]
	s_delay_alu instid0(VALU_DEP_2) | instskip(SKIP_1) | instid1(TRANS32_DEP_1)
	v_rcp_f64_e32 v[32:33], v[30:31]
	v_nop
	v_fma_f64 v[38:39], -v[30:31], v[32:33], 1.0
	s_delay_alu instid0(VALU_DEP_1) | instskip(NEXT) | instid1(VALU_DEP_1)
	v_fmac_f64_e32 v[32:33], v[32:33], v[38:39]
	v_fma_f64 v[38:39], -v[30:31], v[32:33], 1.0
	s_delay_alu instid0(VALU_DEP_1) | instskip(NEXT) | instid1(VALU_DEP_1)
	v_fmac_f64_e32 v[32:33], v[32:33], v[38:39]
	v_mul_f64_e32 v[38:39], v[40:41], v[32:33]
	s_delay_alu instid0(VALU_DEP_1) | instskip(NEXT) | instid1(VALU_DEP_1)
	v_fma_f64 v[30:31], -v[30:31], v[38:39], v[40:41]
	v_div_fmas_f64 v[30:31], v[30:31], v[32:33], v[38:39]
	s_delay_alu instid0(VALU_DEP_1) | instskip(NEXT) | instid1(VALU_DEP_1)
	v_div_fixup_f64 v[30:31], v[30:31], v[24:25], v[22:23]
	v_fma_f64 v[32:33], v[22:23], v[30:31], v[24:25]
	s_delay_alu instid0(VALU_DEP_1) | instskip(SKIP_1) | instid1(VALU_DEP_2)
	v_div_scale_f64 v[38:39], null, v[32:33], v[32:33], 1.0
	v_div_scale_f64 v[48:49], vcc_lo, 1.0, v[32:33], 1.0
	v_rcp_f64_e32 v[40:41], v[38:39]
	v_nop
	s_delay_alu instid0(TRANS32_DEP_1) | instskip(NEXT) | instid1(VALU_DEP_1)
	v_fma_f64 v[46:47], -v[38:39], v[40:41], 1.0
	v_fmac_f64_e32 v[40:41], v[40:41], v[46:47]
	s_delay_alu instid0(VALU_DEP_1) | instskip(NEXT) | instid1(VALU_DEP_1)
	v_fma_f64 v[46:47], -v[38:39], v[40:41], 1.0
	v_fmac_f64_e32 v[40:41], v[40:41], v[46:47]
	s_delay_alu instid0(VALU_DEP_1) | instskip(NEXT) | instid1(VALU_DEP_1)
	v_mul_f64_e32 v[46:47], v[48:49], v[40:41]
	v_fma_f64 v[38:39], -v[38:39], v[46:47], v[48:49]
	s_delay_alu instid0(VALU_DEP_1) | instskip(SKIP_2) | instid1(VALU_DEP_3)
	v_div_fmas_f64 v[38:39], v[38:39], v[40:41], v[46:47]
	v_fma_f64 v[40:41], v[18:19], v[30:31], v[20:21]
	v_fma_f64 v[30:31], v[20:21], v[30:31], -v[18:19]
	v_div_fixup_f64 v[32:33], v[38:39], v[32:33], 1.0
	s_delay_alu instid0(VALU_DEP_1) | instskip(NEXT) | instid1(VALU_DEP_3)
	v_mul_f64_e32 v[38:39], v[40:41], v[32:33]
	v_mul_f64_e32 v[30:31], v[30:31], v[32:33]
.LBB51_183:                             ;   in Loop: Header=BB51_114 Depth=1
	s_or_b32 exec_lo, exec_lo, s1
	s_delay_alu instid0(VALU_DEP_1) | instskip(SKIP_2) | instid1(VALU_DEP_2)
	v_mul_f64_e32 v[32:33], s[10:11], v[30:31]
	v_mul_f64_e32 v[30:31], s[8:9], v[30:31]
	s_mov_b32 s1, 0
	v_fma_f64 v[32:33], s[8:9], v[38:39], -v[32:33]
	s_delay_alu instid0(VALU_DEP_2)
	v_fmac_f64_e32 v[30:31], s[10:11], v[38:39]
.LBB51_184:                             ;   in Loop: Header=BB51_114 Depth=1
	s_and_b32 vcc_lo, exec_lo, s1
	s_cbranch_vccz .LBB51_113
; %bb.185:                              ;   in Loop: Header=BB51_114 Depth=1
                                        ; implicit-def: $vgpr30_vgpr31
                                        ; implicit-def: $vgpr32_vgpr33
	s_and_saveexec_b32 s1, s0
	s_delay_alu instid0(SALU_CYCLE_1)
	s_xor_b32 s1, exec_lo, s1
	s_cbranch_execz .LBB51_191
; %bb.186:                              ;   in Loop: Header=BB51_114 Depth=1
	v_cmp_neq_f64_e32 vcc_lo, 0, v[22:23]
	v_cmp_neq_f64_e64 s0, 0, v[24:25]
                                        ; implicit-def: $vgpr30_vgpr31
                                        ; implicit-def: $vgpr32_vgpr33
	s_or_b32 s0, vcc_lo, s0
	s_delay_alu instid0(SALU_CYCLE_1) | instskip(NEXT) | instid1(SALU_CYCLE_1)
	s_and_saveexec_b32 s20, s0
	s_xor_b32 s0, exec_lo, s20
	s_cbranch_execz .LBB51_188
; %bb.187:                              ;   in Loop: Header=BB51_114 Depth=1
	v_div_scale_f64 v[26:27], null, v[22:23], v[22:23], v[24:25]
	v_div_scale_f64 v[32:33], vcc_lo, v[24:25], v[22:23], v[24:25]
	s_delay_alu instid0(VALU_DEP_2) | instskip(SKIP_1) | instid1(TRANS32_DEP_1)
	v_rcp_f64_e32 v[28:29], v[26:27]
	v_nop
	v_fma_f64 v[30:31], -v[26:27], v[28:29], 1.0
	s_delay_alu instid0(VALU_DEP_1) | instskip(NEXT) | instid1(VALU_DEP_1)
	v_fmac_f64_e32 v[28:29], v[28:29], v[30:31]
	v_fma_f64 v[30:31], -v[26:27], v[28:29], 1.0
	s_delay_alu instid0(VALU_DEP_1) | instskip(NEXT) | instid1(VALU_DEP_1)
	v_fmac_f64_e32 v[28:29], v[28:29], v[30:31]
	v_mul_f64_e32 v[30:31], v[32:33], v[28:29]
	s_delay_alu instid0(VALU_DEP_1) | instskip(NEXT) | instid1(VALU_DEP_1)
	v_fma_f64 v[26:27], -v[26:27], v[30:31], v[32:33]
	v_div_fmas_f64 v[26:27], v[26:27], v[28:29], v[30:31]
	s_delay_alu instid0(VALU_DEP_1) | instskip(NEXT) | instid1(VALU_DEP_1)
	v_div_fixup_f64 v[26:27], v[26:27], v[22:23], v[24:25]
	v_fmac_f64_e32 v[22:23], v[24:25], v[26:27]
	s_delay_alu instid0(VALU_DEP_1) | instskip(SKIP_1) | instid1(VALU_DEP_2)
	v_div_scale_f64 v[24:25], null, v[22:23], v[22:23], 1.0
	v_div_scale_f64 v[32:33], vcc_lo, 1.0, v[22:23], 1.0
	v_rcp_f64_e32 v[28:29], v[24:25]
	v_nop
	s_delay_alu instid0(TRANS32_DEP_1) | instskip(NEXT) | instid1(VALU_DEP_1)
	v_fma_f64 v[30:31], -v[24:25], v[28:29], 1.0
	v_fmac_f64_e32 v[28:29], v[28:29], v[30:31]
	s_delay_alu instid0(VALU_DEP_1) | instskip(NEXT) | instid1(VALU_DEP_1)
	v_fma_f64 v[30:31], -v[24:25], v[28:29], 1.0
	v_fmac_f64_e32 v[28:29], v[28:29], v[30:31]
	s_delay_alu instid0(VALU_DEP_1) | instskip(NEXT) | instid1(VALU_DEP_1)
	v_mul_f64_e32 v[30:31], v[32:33], v[28:29]
	v_fma_f64 v[24:25], -v[24:25], v[30:31], v[32:33]
	s_delay_alu instid0(VALU_DEP_1) | instskip(SKIP_2) | instid1(VALU_DEP_3)
	v_div_fmas_f64 v[24:25], v[24:25], v[28:29], v[30:31]
	v_fma_f64 v[28:29], v[20:21], v[26:27], v[18:19]
	v_fma_f64 v[18:19], -v[18:19], v[26:27], v[20:21]
                                        ; implicit-def: $vgpr26_vgpr27
	v_div_fixup_f64 v[22:23], v[24:25], v[22:23], 1.0
	s_delay_alu instid0(VALU_DEP_1) | instskip(NEXT) | instid1(VALU_DEP_3)
	v_mul_f64_e32 v[32:33], v[28:29], v[22:23]
	v_mul_f64_e32 v[30:31], v[18:19], v[22:23]
                                        ; implicit-def: $vgpr18_vgpr19
                                        ; implicit-def: $vgpr28_vgpr29
.LBB51_188:                             ;   in Loop: Header=BB51_114 Depth=1
	s_and_not1_saveexec_b32 s20, s0
	s_cbranch_execz .LBB51_190
; %bb.189:                              ;   in Loop: Header=BB51_114 Depth=1
	v_div_scale_f64 v[22:23], null, v[26:27], v[26:27], v[18:19]
	v_div_scale_f64 v[24:25], null, v[28:29], v[28:29], v[20:21]
	v_div_scale_f64 v[46:47], vcc_lo, v[18:19], v[26:27], v[18:19]
	s_delay_alu instid0(VALU_DEP_3) | instskip(NEXT) | instid1(VALU_DEP_2)
	v_rcp_f64_e32 v[30:31], v[22:23]
	v_rcp_f64_e32 v[32:33], v[24:25]
	s_delay_alu instid0(TRANS32_DEP_2) | instskip(NEXT) | instid1(TRANS32_DEP_1)
	v_fma_f64 v[38:39], -v[22:23], v[30:31], 1.0
	v_fma_f64 v[40:41], -v[24:25], v[32:33], 1.0
	s_delay_alu instid0(VALU_DEP_2) | instskip(NEXT) | instid1(VALU_DEP_2)
	v_fmac_f64_e32 v[30:31], v[30:31], v[38:39]
	v_fmac_f64_e32 v[32:33], v[32:33], v[40:41]
	s_delay_alu instid0(VALU_DEP_2) | instskip(NEXT) | instid1(VALU_DEP_2)
	v_fma_f64 v[38:39], -v[22:23], v[30:31], 1.0
	v_fma_f64 v[40:41], -v[24:25], v[32:33], 1.0
	s_delay_alu instid0(VALU_DEP_2) | instskip(SKIP_1) | instid1(VALU_DEP_3)
	v_fmac_f64_e32 v[30:31], v[30:31], v[38:39]
	v_div_scale_f64 v[38:39], s0, v[20:21], v[28:29], v[20:21]
	v_fmac_f64_e32 v[32:33], v[32:33], v[40:41]
	s_delay_alu instid0(VALU_DEP_3) | instskip(NEXT) | instid1(VALU_DEP_2)
	v_mul_f64_e32 v[40:41], v[46:47], v[30:31]
	v_mul_f64_e32 v[48:49], v[38:39], v[32:33]
	s_delay_alu instid0(VALU_DEP_2) | instskip(NEXT) | instid1(VALU_DEP_2)
	v_fma_f64 v[22:23], -v[22:23], v[40:41], v[46:47]
	v_fma_f64 v[24:25], -v[24:25], v[48:49], v[38:39]
	s_delay_alu instid0(VALU_DEP_2) | instskip(SKIP_1) | instid1(VALU_DEP_2)
	v_div_fmas_f64 v[22:23], v[22:23], v[30:31], v[40:41]
	s_mov_b32 vcc_lo, s0
	v_div_fmas_f64 v[24:25], v[24:25], v[32:33], v[48:49]
	s_delay_alu instid0(VALU_DEP_2) | instskip(NEXT) | instid1(VALU_DEP_2)
	v_div_fixup_f64 v[32:33], v[22:23], v[26:27], v[18:19]
	v_div_fixup_f64 v[30:31], v[24:25], v[28:29], v[20:21]
.LBB51_190:                             ;   in Loop: Header=BB51_114 Depth=1
	s_or_b32 exec_lo, exec_lo, s20
                                        ; implicit-def: $vgpr24_vgpr25
                                        ; implicit-def: $vgpr18_vgpr19
.LBB51_191:                             ;   in Loop: Header=BB51_114 Depth=1
	s_and_not1_saveexec_b32 s0, s1
	s_cbranch_execz .LBB51_112
; %bb.192:                              ;   in Loop: Header=BB51_114 Depth=1
	v_div_scale_f64 v[26:27], null, v[24:25], v[24:25], v[22:23]
	v_div_scale_f64 v[32:33], vcc_lo, v[22:23], v[24:25], v[22:23]
	s_delay_alu instid0(VALU_DEP_2) | instskip(SKIP_1) | instid1(TRANS32_DEP_1)
	v_rcp_f64_e32 v[28:29], v[26:27]
	v_nop
	v_fma_f64 v[30:31], -v[26:27], v[28:29], 1.0
	s_delay_alu instid0(VALU_DEP_1) | instskip(NEXT) | instid1(VALU_DEP_1)
	v_fmac_f64_e32 v[28:29], v[28:29], v[30:31]
	v_fma_f64 v[30:31], -v[26:27], v[28:29], 1.0
	s_delay_alu instid0(VALU_DEP_1) | instskip(NEXT) | instid1(VALU_DEP_1)
	v_fmac_f64_e32 v[28:29], v[28:29], v[30:31]
	v_mul_f64_e32 v[30:31], v[32:33], v[28:29]
	s_delay_alu instid0(VALU_DEP_1) | instskip(NEXT) | instid1(VALU_DEP_1)
	v_fma_f64 v[26:27], -v[26:27], v[30:31], v[32:33]
	v_div_fmas_f64 v[26:27], v[26:27], v[28:29], v[30:31]
	s_delay_alu instid0(VALU_DEP_1) | instskip(NEXT) | instid1(VALU_DEP_1)
	v_div_fixup_f64 v[26:27], v[26:27], v[24:25], v[22:23]
	v_fmac_f64_e32 v[24:25], v[22:23], v[26:27]
	s_delay_alu instid0(VALU_DEP_1) | instskip(SKIP_1) | instid1(VALU_DEP_2)
	v_div_scale_f64 v[22:23], null, v[24:25], v[24:25], 1.0
	v_div_scale_f64 v[32:33], vcc_lo, 1.0, v[24:25], 1.0
	v_rcp_f64_e32 v[28:29], v[22:23]
	v_nop
	s_delay_alu instid0(TRANS32_DEP_1) | instskip(NEXT) | instid1(VALU_DEP_1)
	v_fma_f64 v[30:31], -v[22:23], v[28:29], 1.0
	v_fmac_f64_e32 v[28:29], v[28:29], v[30:31]
	s_delay_alu instid0(VALU_DEP_1) | instskip(NEXT) | instid1(VALU_DEP_1)
	v_fma_f64 v[30:31], -v[22:23], v[28:29], 1.0
	v_fmac_f64_e32 v[28:29], v[28:29], v[30:31]
	s_delay_alu instid0(VALU_DEP_1) | instskip(NEXT) | instid1(VALU_DEP_1)
	v_mul_f64_e32 v[30:31], v[32:33], v[28:29]
	v_fma_f64 v[22:23], -v[22:23], v[30:31], v[32:33]
	s_delay_alu instid0(VALU_DEP_1) | instskip(SKIP_2) | instid1(VALU_DEP_3)
	v_div_fmas_f64 v[22:23], v[22:23], v[28:29], v[30:31]
	v_fma_f64 v[28:29], v[18:19], v[26:27], v[20:21]
	v_fma_f64 v[18:19], v[20:21], v[26:27], -v[18:19]
	v_div_fixup_f64 v[22:23], v[22:23], v[24:25], 1.0
	s_delay_alu instid0(VALU_DEP_1) | instskip(NEXT) | instid1(VALU_DEP_3)
	v_mul_f64_e32 v[32:33], v[28:29], v[22:23]
	v_mul_f64_e32 v[30:31], v[18:19], v[22:23]
	s_branch .LBB51_112
.LBB51_193:
	s_sendmsg sendmsg(MSG_DEALLOC_VGPRS)
	s_endpgm
	.section	.rodata,"a",@progbits
	.p2align	6, 0x0
	.amdhsa_kernel _ZN2at6native12_GLOBAL__N_125multi_tensor_apply_kernelINS1_18TensorListMetadataILi4EEENS1_24PointwiseOpScalarFunctorIN3c107complexIdEELi4ELi3ELi3EEEJSt7dividesIS8_ES8_EEEvT_T0_DpT1_
		.amdhsa_group_segment_fixed_size 0
		.amdhsa_private_segment_fixed_size 0
		.amdhsa_kernarg_size 3328
		.amdhsa_user_sgpr_count 2
		.amdhsa_user_sgpr_dispatch_ptr 0
		.amdhsa_user_sgpr_queue_ptr 0
		.amdhsa_user_sgpr_kernarg_segment_ptr 1
		.amdhsa_user_sgpr_dispatch_id 0
		.amdhsa_user_sgpr_kernarg_preload_length 0
		.amdhsa_user_sgpr_kernarg_preload_offset 0
		.amdhsa_user_sgpr_private_segment_size 0
		.amdhsa_wavefront_size32 1
		.amdhsa_uses_dynamic_stack 0
		.amdhsa_enable_private_segment 0
		.amdhsa_system_sgpr_workgroup_id_x 1
		.amdhsa_system_sgpr_workgroup_id_y 0
		.amdhsa_system_sgpr_workgroup_id_z 0
		.amdhsa_system_sgpr_workgroup_info 0
		.amdhsa_system_vgpr_workitem_id 0
		.amdhsa_next_free_vgpr 82
		.amdhsa_next_free_sgpr 36
		.amdhsa_named_barrier_count 0
		.amdhsa_reserve_vcc 1
		.amdhsa_float_round_mode_32 0
		.amdhsa_float_round_mode_16_64 0
		.amdhsa_float_denorm_mode_32 3
		.amdhsa_float_denorm_mode_16_64 3
		.amdhsa_fp16_overflow 0
		.amdhsa_memory_ordered 1
		.amdhsa_forward_progress 1
		.amdhsa_inst_pref_size 109
		.amdhsa_round_robin_scheduling 0
		.amdhsa_exception_fp_ieee_invalid_op 0
		.amdhsa_exception_fp_denorm_src 0
		.amdhsa_exception_fp_ieee_div_zero 0
		.amdhsa_exception_fp_ieee_overflow 0
		.amdhsa_exception_fp_ieee_underflow 0
		.amdhsa_exception_fp_ieee_inexact 0
		.amdhsa_exception_int_div_zero 0
	.end_amdhsa_kernel
	.section	.text._ZN2at6native12_GLOBAL__N_125multi_tensor_apply_kernelINS1_18TensorListMetadataILi4EEENS1_24PointwiseOpScalarFunctorIN3c107complexIdEELi4ELi3ELi3EEEJSt7dividesIS8_ES8_EEEvT_T0_DpT1_,"axG",@progbits,_ZN2at6native12_GLOBAL__N_125multi_tensor_apply_kernelINS1_18TensorListMetadataILi4EEENS1_24PointwiseOpScalarFunctorIN3c107complexIdEELi4ELi3ELi3EEEJSt7dividesIS8_ES8_EEEvT_T0_DpT1_,comdat
.Lfunc_end51:
	.size	_ZN2at6native12_GLOBAL__N_125multi_tensor_apply_kernelINS1_18TensorListMetadataILi4EEENS1_24PointwiseOpScalarFunctorIN3c107complexIdEELi4ELi3ELi3EEEJSt7dividesIS8_ES8_EEEvT_T0_DpT1_, .Lfunc_end51-_ZN2at6native12_GLOBAL__N_125multi_tensor_apply_kernelINS1_18TensorListMetadataILi4EEENS1_24PointwiseOpScalarFunctorIN3c107complexIdEELi4ELi3ELi3EEEJSt7dividesIS8_ES8_EEEvT_T0_DpT1_
                                        ; -- End function
	.set _ZN2at6native12_GLOBAL__N_125multi_tensor_apply_kernelINS1_18TensorListMetadataILi4EEENS1_24PointwiseOpScalarFunctorIN3c107complexIdEELi4ELi3ELi3EEEJSt7dividesIS8_ES8_EEEvT_T0_DpT1_.num_vgpr, 82
	.set _ZN2at6native12_GLOBAL__N_125multi_tensor_apply_kernelINS1_18TensorListMetadataILi4EEENS1_24PointwiseOpScalarFunctorIN3c107complexIdEELi4ELi3ELi3EEEJSt7dividesIS8_ES8_EEEvT_T0_DpT1_.num_agpr, 0
	.set _ZN2at6native12_GLOBAL__N_125multi_tensor_apply_kernelINS1_18TensorListMetadataILi4EEENS1_24PointwiseOpScalarFunctorIN3c107complexIdEELi4ELi3ELi3EEEJSt7dividesIS8_ES8_EEEvT_T0_DpT1_.numbered_sgpr, 36
	.set _ZN2at6native12_GLOBAL__N_125multi_tensor_apply_kernelINS1_18TensorListMetadataILi4EEENS1_24PointwiseOpScalarFunctorIN3c107complexIdEELi4ELi3ELi3EEEJSt7dividesIS8_ES8_EEEvT_T0_DpT1_.num_named_barrier, 0
	.set _ZN2at6native12_GLOBAL__N_125multi_tensor_apply_kernelINS1_18TensorListMetadataILi4EEENS1_24PointwiseOpScalarFunctorIN3c107complexIdEELi4ELi3ELi3EEEJSt7dividesIS8_ES8_EEEvT_T0_DpT1_.private_seg_size, 0
	.set _ZN2at6native12_GLOBAL__N_125multi_tensor_apply_kernelINS1_18TensorListMetadataILi4EEENS1_24PointwiseOpScalarFunctorIN3c107complexIdEELi4ELi3ELi3EEEJSt7dividesIS8_ES8_EEEvT_T0_DpT1_.uses_vcc, 1
	.set _ZN2at6native12_GLOBAL__N_125multi_tensor_apply_kernelINS1_18TensorListMetadataILi4EEENS1_24PointwiseOpScalarFunctorIN3c107complexIdEELi4ELi3ELi3EEEJSt7dividesIS8_ES8_EEEvT_T0_DpT1_.uses_flat_scratch, 0
	.set _ZN2at6native12_GLOBAL__N_125multi_tensor_apply_kernelINS1_18TensorListMetadataILi4EEENS1_24PointwiseOpScalarFunctorIN3c107complexIdEELi4ELi3ELi3EEEJSt7dividesIS8_ES8_EEEvT_T0_DpT1_.has_dyn_sized_stack, 0
	.set _ZN2at6native12_GLOBAL__N_125multi_tensor_apply_kernelINS1_18TensorListMetadataILi4EEENS1_24PointwiseOpScalarFunctorIN3c107complexIdEELi4ELi3ELi3EEEJSt7dividesIS8_ES8_EEEvT_T0_DpT1_.has_recursion, 0
	.set _ZN2at6native12_GLOBAL__N_125multi_tensor_apply_kernelINS1_18TensorListMetadataILi4EEENS1_24PointwiseOpScalarFunctorIN3c107complexIdEELi4ELi3ELi3EEEJSt7dividesIS8_ES8_EEEvT_T0_DpT1_.has_indirect_call, 0
	.section	.AMDGPU.csdata,"",@progbits
; Kernel info:
; codeLenInByte = 13848
; TotalNumSgprs: 38
; NumVgprs: 82
; ScratchSize: 0
; MemoryBound: 1
; FloatMode: 240
; IeeeMode: 1
; LDSByteSize: 0 bytes/workgroup (compile time only)
; SGPRBlocks: 0
; VGPRBlocks: 5
; NumSGPRsForWavesPerEU: 38
; NumVGPRsForWavesPerEU: 82
; NamedBarCnt: 0
; Occupancy: 10
; WaveLimiterHint : 0
; COMPUTE_PGM_RSRC2:SCRATCH_EN: 0
; COMPUTE_PGM_RSRC2:USER_SGPR: 2
; COMPUTE_PGM_RSRC2:TRAP_HANDLER: 0
; COMPUTE_PGM_RSRC2:TGID_X_EN: 1
; COMPUTE_PGM_RSRC2:TGID_Y_EN: 0
; COMPUTE_PGM_RSRC2:TGID_Z_EN: 0
; COMPUTE_PGM_RSRC2:TIDIG_COMP_CNT: 0
	.section	.text._ZN2at6native12_GLOBAL__N_125multi_tensor_apply_kernelINS1_18TensorListMetadataILi4EEENS1_24PointwiseOpScalarFunctorIN3c107complexIfEELi4ELi3ELi3EEEJSt7dividesIS8_ES8_EEEvT_T0_DpT1_,"axG",@progbits,_ZN2at6native12_GLOBAL__N_125multi_tensor_apply_kernelINS1_18TensorListMetadataILi4EEENS1_24PointwiseOpScalarFunctorIN3c107complexIfEELi4ELi3ELi3EEEJSt7dividesIS8_ES8_EEEvT_T0_DpT1_,comdat
	.globl	_ZN2at6native12_GLOBAL__N_125multi_tensor_apply_kernelINS1_18TensorListMetadataILi4EEENS1_24PointwiseOpScalarFunctorIN3c107complexIfEELi4ELi3ELi3EEEJSt7dividesIS8_ES8_EEEvT_T0_DpT1_ ; -- Begin function _ZN2at6native12_GLOBAL__N_125multi_tensor_apply_kernelINS1_18TensorListMetadataILi4EEENS1_24PointwiseOpScalarFunctorIN3c107complexIfEELi4ELi3ELi3EEEJSt7dividesIS8_ES8_EEEvT_T0_DpT1_
	.p2align	8
	.type	_ZN2at6native12_GLOBAL__N_125multi_tensor_apply_kernelINS1_18TensorListMetadataILi4EEENS1_24PointwiseOpScalarFunctorIN3c107complexIfEELi4ELi3ELi3EEEJSt7dividesIS8_ES8_EEEvT_T0_DpT1_,@function
_ZN2at6native12_GLOBAL__N_125multi_tensor_apply_kernelINS1_18TensorListMetadataILi4EEENS1_24PointwiseOpScalarFunctorIN3c107complexIfEELi4ELi3ELi3EEEJSt7dividesIS8_ES8_EEEvT_T0_DpT1_: ; @_ZN2at6native12_GLOBAL__N_125multi_tensor_apply_kernelINS1_18TensorListMetadataILi4EEENS1_24PointwiseOpScalarFunctorIN3c107complexIfEELi4ELi3ELi3EEEJSt7dividesIS8_ES8_EEEvT_T0_DpT1_
; %bb.0:
	s_bfe_u32 s2, ttmp6, 0x4000c
	s_and_b32 s3, ttmp6, 15
	s_add_co_i32 s2, s2, 1
	s_getreg_b32 s4, hwreg(HW_REG_IB_STS2, 6, 4)
	s_mul_i32 s2, ttmp9, s2
	s_delay_alu instid0(SALU_CYCLE_1)
	s_add_co_i32 s3, s3, s2
	s_cmp_eq_u32 s4, 0
	s_cselect_b32 s2, ttmp9, s3
	s_mov_b32 s3, 0
	s_load_u8 s12, s[0:1], s2 offset:0x5a0
	s_add_nc_u64 s[4:5], s[0:1], s[2:3]
	s_mul_u64 s[6:7], s[2:3], 3
	s_delay_alu instid0(SALU_CYCLE_1)
	s_add_nc_u64 s[4:5], s[4:5], s[6:7]
	s_load_b32 s6, s[4:5], 0x6e0
	s_wait_kmcnt 0x0
	s_clause 0x4
	s_load_b64 s[8:9], s[0:1], s12 offset:0x240 scale_offset
	s_load_b64 s[10:11], s[0:1], s12 offset:0x360 scale_offset
	;; [unrolled: 1-line block ×5, first 2 shown]
	s_wait_xcnt 0x0
	s_load_b64 s[12:13], s[0:1], 0xbf0
	s_ashr_i32 s7, s6, 31
	s_delay_alu instid0(SALU_CYCLE_1)
	s_lshl_b64 s[4:5], s[6:7], 19
	s_wait_kmcnt 0x0
	s_add_nc_u64 s[8:9], s[8:9], s[4:5]
	s_add_nc_u64 s[10:11], s[10:11], s[4:5]
	;; [unrolled: 1-line block ×3, first 2 shown]
	s_or_b32 s2, s10, s8
	s_add_nc_u64 s[16:17], s[16:17], s[4:5]
	s_and_b32 s20, s2, 31
	s_and_b32 s2, s14, 31
	s_cmp_eq_u32 s20, 0
	s_cselect_b32 s20, -1, 0
	s_and_b64 s[4:5], s[16:17], 31
	s_cmp_eq_u64 s[2:3], 0
	s_cselect_b32 s21, -1, 0
	s_and_b32 s2, s18, 3
	s_and_b32 s20, s20, s21
	s_or_b64 s[2:3], s[4:5], s[2:3]
	s_lshl_b64 s[4:5], s[6:7], 16
	s_cmp_eq_u64 s[2:3], 0
	s_sub_nc_u64 s[18:19], s[18:19], s[4:5]
	s_cselect_b32 s2, -1, 0
	s_delay_alu instid0(SALU_CYCLE_1) | instskip(NEXT) | instid1(SALU_CYCLE_1)
	s_and_b32 s2, s20, s2
	s_and_b32 vcc_lo, exec_lo, s2
	s_mov_b32 s2, -1
	s_cbranch_vccnz .LBB52_109
; %bb.1:
	v_cmp_lt_i64_e64 s2, s[18:19], 1
	s_and_b32 vcc_lo, exec_lo, s2
	s_cbranch_vccnz .LBB52_108
; %bb.2:
	s_load_b32 s2, s[0:1], 0xc04
	v_min_i64 v[2:3], 0x10000, s[18:19]
	v_min_u64 v[4:5], 0x10000, s[18:19]
	s_and_b32 s3, s13, 0x7fffffff
	v_mov_b32_e32 v1, 0
	s_mov_b32 s21, 0
	s_mov_b32 s22, s13
	;; [unrolled: 1-line block ×6, first 2 shown]
	s_mov_b64 s[30:31], 0
	s_wait_kmcnt 0x0
	s_and_b32 s20, s2, 0xffff
	s_delay_alu instid0(SALU_CYCLE_1)
	s_lshl_b32 s24, s20, 1
	s_cmp_lg_u32 s3, 0
	s_mul_i32 s26, s20, 3
	s_cselect_b32 s2, -1, 0
	s_cmp_neq_f32 s12, 1.0
	s_cselect_b32 s3, -1, 0
	s_lshl_b32 s28, s20, 2
	s_or_b32 s33, s3, s2
	s_branch .LBB52_4
.LBB52_3:                               ;   in Loop: Header=BB52_4 Depth=1
	s_wait_xcnt 0x0
	s_or_b32 exec_lo, exec_lo, s2
	s_add_nc_u64 s[30:31], s[30:31], s[28:29]
	s_delay_alu instid0(SALU_CYCLE_1)
	v_cmp_ge_i64_e32 vcc_lo, s[30:31], v[2:3]
	s_cbranch_vccnz .LBB52_108
.LBB52_4:                               ; =>This Inner Loop Header: Depth=1
	v_add_nc_u64_e32 v[6:7], s[30:31], v[0:1]
	v_dual_mov_b32 v9, 0 :: v_dual_mov_b32 v8, 0
	v_dual_mov_b32 v32, 0 :: v_dual_mov_b32 v33, 0
	s_delay_alu instid0(VALU_DEP_3)
	v_cmp_lt_u64_e64 s2, v[6:7], v[4:5]
	s_and_saveexec_b32 s3, s2
	s_cbranch_execz .LBB52_6
; %bb.5:                                ;   in Loop: Header=BB52_4 Depth=1
	v_lshlrev_b64_e32 v[8:9], 3, v[6:7]
	s_delay_alu instid0(VALU_DEP_1)
	v_add_nc_u64_e32 v[10:11], s[14:15], v[8:9]
	v_add_nc_u64_e32 v[12:13], s[16:17], v[8:9]
	global_load_b64 v[14:15], v[10:11], off
	global_load_b64 v[8:9], v[12:13], off
	s_wait_loadcnt 0x1
	v_dual_mov_b32 v32, v15 :: v_dual_mov_b32 v33, v14
.LBB52_6:                               ;   in Loop: Header=BB52_4 Depth=1
	s_wait_xcnt 0x0
	s_or_b32 exec_lo, exec_lo, s3
	v_dual_mov_b32 v11, 0 :: v_dual_mov_b32 v39, 0
	v_mov_b32_e32 v38, 0
	s_and_saveexec_b32 s3, s2
	s_cbranch_execz .LBB52_8
; %bb.7:                                ;   in Loop: Header=BB52_4 Depth=1
	v_lshl_add_u64 v[12:13], v[6:7], 3, s[8:9]
	global_load_b64 v[38:39], v[12:13], off
.LBB52_8:                               ;   in Loop: Header=BB52_4 Depth=1
	s_wait_xcnt 0x0
	s_or_b32 exec_lo, exec_lo, s3
	v_add_nc_u64_e32 v[12:13], s[20:21], v[6:7]
	v_dual_mov_b32 v10, 0 :: v_dual_mov_b32 v34, 0
	v_mov_b32_e32 v35, 0
	s_delay_alu instid0(VALU_DEP_3)
	v_cmp_lt_u64_e64 s3, v[12:13], v[4:5]
	s_and_saveexec_b32 s4, s3
	s_cbranch_execz .LBB52_10
; %bb.9:                                ;   in Loop: Header=BB52_4 Depth=1
	v_lshlrev_b64_e32 v[10:11], 3, v[12:13]
	s_delay_alu instid0(VALU_DEP_1)
	v_add_nc_u64_e32 v[14:15], s[14:15], v[10:11]
	v_add_nc_u64_e32 v[16:17], s[16:17], v[10:11]
	global_load_b64 v[18:19], v[14:15], off
	global_load_b64 v[10:11], v[16:17], off
	s_wait_loadcnt 0x1
	v_dual_mov_b32 v34, v19 :: v_dual_mov_b32 v35, v18
.LBB52_10:                              ;   in Loop: Header=BB52_4 Depth=1
	s_wait_xcnt 0x0
	s_or_b32 exec_lo, exec_lo, s4
	v_dual_mov_b32 v15, 0 :: v_dual_mov_b32 v37, 0
	v_mov_b32_e32 v36, 0
	s_and_saveexec_b32 s4, s3
	s_cbranch_execz .LBB52_12
; %bb.11:                               ;   in Loop: Header=BB52_4 Depth=1
	v_lshl_add_u64 v[16:17], v[12:13], 3, s[8:9]
	global_load_b64 v[36:37], v[16:17], off
.LBB52_12:                              ;   in Loop: Header=BB52_4 Depth=1
	s_wait_xcnt 0x0
	s_or_b32 exec_lo, exec_lo, s4
	v_add_nc_u64_e32 v[16:17], s[24:25], v[6:7]
	v_dual_mov_b32 v14, 0 :: v_dual_mov_b32 v28, 0
	v_mov_b32_e32 v29, 0
	s_delay_alu instid0(VALU_DEP_3)
	v_cmp_lt_u64_e64 s4, v[16:17], v[4:5]
	s_and_saveexec_b32 s5, s4
	s_cbranch_execz .LBB52_14
; %bb.13:                               ;   in Loop: Header=BB52_4 Depth=1
	v_lshlrev_b64_e32 v[14:15], 3, v[16:17]
	s_delay_alu instid0(VALU_DEP_1)
	v_add_nc_u64_e32 v[18:19], s[14:15], v[14:15]
	v_add_nc_u64_e32 v[20:21], s[16:17], v[14:15]
	global_load_b64 v[22:23], v[18:19], off
	global_load_b64 v[14:15], v[20:21], off
	s_wait_loadcnt 0x1
	v_dual_mov_b32 v28, v23 :: v_dual_mov_b32 v29, v22
.LBB52_14:                              ;   in Loop: Header=BB52_4 Depth=1
	s_wait_xcnt 0x0
	s_or_b32 exec_lo, exec_lo, s5
	v_dual_mov_b32 v19, 0 :: v_dual_mov_b32 v31, 0
	v_mov_b32_e32 v30, 0
	s_and_saveexec_b32 s5, s4
	s_cbranch_execz .LBB52_16
; %bb.15:                               ;   in Loop: Header=BB52_4 Depth=1
	v_lshl_add_u64 v[20:21], v[16:17], 3, s[8:9]
	global_load_b64 v[30:31], v[20:21], off
.LBB52_16:                              ;   in Loop: Header=BB52_4 Depth=1
	s_wait_xcnt 0x0
	s_or_b32 exec_lo, exec_lo, s5
	v_add_nc_u64_e32 v[20:21], s[26:27], v[6:7]
	v_dual_mov_b32 v18, 0 :: v_dual_mov_b32 v22, 0
	v_mov_b32_e32 v23, 0
	s_delay_alu instid0(VALU_DEP_3)
	v_cmp_lt_u64_e64 s5, v[20:21], v[4:5]
	s_and_saveexec_b32 s6, s5
	s_cbranch_execz .LBB52_18
; %bb.17:                               ;   in Loop: Header=BB52_4 Depth=1
	v_lshlrev_b64_e32 v[18:19], 3, v[20:21]
	s_delay_alu instid0(VALU_DEP_1)
	v_add_nc_u64_e32 v[22:23], s[14:15], v[18:19]
	v_add_nc_u64_e32 v[24:25], s[16:17], v[18:19]
	global_load_b64 v[26:27], v[22:23], off
	global_load_b64 v[18:19], v[24:25], off
	s_wait_loadcnt 0x1
	s_wait_xcnt 0x1
	v_dual_mov_b32 v22, v27 :: v_dual_mov_b32 v23, v26
.LBB52_18:                              ;   in Loop: Header=BB52_4 Depth=1
	s_wait_xcnt 0x0
	s_or_b32 exec_lo, exec_lo, s6
	v_dual_mov_b32 v25, 0 :: v_dual_mov_b32 v24, 0
	s_and_saveexec_b32 s6, s5
	s_cbranch_execz .LBB52_20
; %bb.19:                               ;   in Loop: Header=BB52_4 Depth=1
	v_lshl_add_u64 v[24:25], v[20:21], 3, s[8:9]
	global_load_b64 v[24:25], v[24:25], off
.LBB52_20:                              ;   in Loop: Header=BB52_4 Depth=1
	s_wait_xcnt 0x0
	s_or_b32 exec_lo, exec_lo, s6
	s_wait_loadcnt 0x0
	v_cmp_gt_f32_e32 vcc_lo, 0, v38
	s_mov_b32 s7, -1
                                        ; implicit-def: $vgpr27
	v_cndmask_b32_e64 v41, v38, -v38, vcc_lo
	v_cmp_gt_f32_e32 vcc_lo, 0, v39
	v_cndmask_b32_e64 v42, v39, -v39, vcc_lo
	s_and_b32 vcc_lo, exec_lo, s33
	s_delay_alu instid0(VALU_DEP_1)
	v_cmp_ge_f32_e64 s6, v41, v42
	s_cbranch_vccz .LBB52_30
; %bb.21:                               ;   in Loop: Header=BB52_4 Depth=1
                                        ; implicit-def: $vgpr40
                                        ; implicit-def: $vgpr26
	s_and_saveexec_b32 s7, s6
	s_delay_alu instid0(SALU_CYCLE_1)
	s_xor_b32 s34, exec_lo, s7
	s_cbranch_execz .LBB52_27
; %bb.22:                               ;   in Loop: Header=BB52_4 Depth=1
	v_cmp_neq_f32_e32 vcc_lo, 0, v38
	v_cmp_neq_f32_e64 s7, 0, v39
                                        ; implicit-def: $vgpr40
                                        ; implicit-def: $vgpr26
	s_or_b32 s7, s7, vcc_lo
	s_delay_alu instid0(SALU_CYCLE_1) | instskip(NEXT) | instid1(SALU_CYCLE_1)
	s_and_saveexec_b32 s35, s7
	s_xor_b32 s7, exec_lo, s35
	s_cbranch_execz .LBB52_24
; %bb.23:                               ;   in Loop: Header=BB52_4 Depth=1
	v_div_scale_f32 v26, null, v38, v38, v39
	v_div_scale_f32 v43, vcc_lo, v39, v38, v39
	s_delay_alu instid0(VALU_DEP_2) | instskip(SKIP_1) | instid1(TRANS32_DEP_1)
	v_rcp_f32_e32 v27, v26
	v_nop
	v_fma_f32 v40, -v26, v27, 1.0
	s_delay_alu instid0(VALU_DEP_1) | instskip(NEXT) | instid1(VALU_DEP_1)
	v_fmac_f32_e32 v27, v40, v27
	v_mul_f32_e32 v40, v43, v27
	s_delay_alu instid0(VALU_DEP_1) | instskip(NEXT) | instid1(VALU_DEP_1)
	v_fma_f32 v44, -v26, v40, v43
	v_fmac_f32_e32 v40, v44, v27
	s_delay_alu instid0(VALU_DEP_1) | instskip(NEXT) | instid1(VALU_DEP_1)
	v_fma_f32 v26, -v26, v40, v43
	v_div_fmas_f32 v26, v26, v27, v40
	s_delay_alu instid0(VALU_DEP_1) | instskip(NEXT) | instid1(VALU_DEP_1)
	v_div_fixup_f32 v26, v26, v38, v39
	v_fma_f32 v27, v39, v26, v38
	s_delay_alu instid0(VALU_DEP_1) | instskip(SKIP_1) | instid1(VALU_DEP_2)
	v_div_scale_f32 v40, null, v27, v27, 1.0
	v_div_scale_f32 v45, vcc_lo, 1.0, v27, 1.0
	v_rcp_f32_e32 v43, v40
	v_nop
	s_delay_alu instid0(TRANS32_DEP_1) | instskip(NEXT) | instid1(VALU_DEP_1)
	v_fma_f32 v44, -v40, v43, 1.0
	v_fmac_f32_e32 v43, v44, v43
	s_delay_alu instid0(VALU_DEP_1) | instskip(NEXT) | instid1(VALU_DEP_1)
	v_mul_f32_e32 v44, v45, v43
	v_fma_f32 v46, -v40, v44, v45
	s_delay_alu instid0(VALU_DEP_1) | instskip(NEXT) | instid1(VALU_DEP_1)
	v_fmac_f32_e32 v44, v46, v43
	v_fma_f32 v40, -v40, v44, v45
	s_delay_alu instid0(VALU_DEP_1) | instskip(SKIP_1) | instid1(VALU_DEP_2)
	v_div_fmas_f32 v40, v40, v43, v44
	v_fma_f32 v43, v32, v26, v33
	v_div_fixup_f32 v27, v40, v27, 1.0
	s_delay_alu instid0(VALU_DEP_1) | instskip(NEXT) | instid1(VALU_DEP_1)
	v_dual_fma_f32 v40, -v33, v26, v32 :: v_dual_mul_f32 v26, v43, v27
	v_mul_f32_e32 v40, v40, v27
.LBB52_24:                              ;   in Loop: Header=BB52_4 Depth=1
	s_and_not1_saveexec_b32 s35, s7
	s_cbranch_execz .LBB52_26
; %bb.25:                               ;   in Loop: Header=BB52_4 Depth=1
	v_div_scale_f32 v26, null, v41, v41, v33
	v_div_scale_f32 v27, null, v42, v42, v32
	v_div_scale_f32 v46, vcc_lo, v33, v41, v33
	s_delay_alu instid0(VALU_DEP_3) | instskip(NEXT) | instid1(VALU_DEP_2)
	v_rcp_f32_e32 v40, v26
	v_rcp_f32_e32 v43, v27
	s_delay_alu instid0(TRANS32_DEP_2) | instskip(NEXT) | instid1(TRANS32_DEP_1)
	v_fma_f32 v44, -v26, v40, 1.0
	v_fma_f32 v45, -v27, v43, 1.0
	s_delay_alu instid0(VALU_DEP_1) | instskip(SKIP_1) | instid1(VALU_DEP_1)
	v_dual_fmac_f32 v40, v44, v40 :: v_dual_fmac_f32 v43, v45, v43
	v_div_scale_f32 v44, s7, v32, v42, v32
	v_dual_mul_f32 v45, v46, v40 :: v_dual_mul_f32 v47, v44, v43
	s_delay_alu instid0(VALU_DEP_1) | instskip(NEXT) | instid1(VALU_DEP_1)
	v_dual_fma_f32 v48, -v26, v45, v46 :: v_dual_fma_f32 v49, -v27, v47, v44
	v_dual_fmac_f32 v45, v48, v40 :: v_dual_fmac_f32 v47, v49, v43
	s_delay_alu instid0(VALU_DEP_1) | instskip(NEXT) | instid1(VALU_DEP_1)
	v_dual_fma_f32 v26, -v26, v45, v46 :: v_dual_fma_f32 v27, -v27, v47, v44
	v_div_fmas_f32 v26, v26, v40, v45
	s_mov_b32 vcc_lo, s7
	s_delay_alu instid0(VALU_DEP_2) | instskip(NEXT) | instid1(VALU_DEP_2)
	v_div_fmas_f32 v27, v27, v43, v47
	v_div_fixup_f32 v26, v26, v41, v33
	s_delay_alu instid0(VALU_DEP_2)
	v_div_fixup_f32 v40, v27, v42, v32
.LBB52_26:                              ;   in Loop: Header=BB52_4 Depth=1
	s_or_b32 exec_lo, exec_lo, s35
.LBB52_27:                              ;   in Loop: Header=BB52_4 Depth=1
	s_and_not1_saveexec_b32 s7, s34
	s_cbranch_execz .LBB52_29
; %bb.28:                               ;   in Loop: Header=BB52_4 Depth=1
	v_div_scale_f32 v26, null, v39, v39, v38
	v_div_scale_f32 v43, vcc_lo, v38, v39, v38
	s_delay_alu instid0(VALU_DEP_2) | instskip(SKIP_1) | instid1(TRANS32_DEP_1)
	v_rcp_f32_e32 v27, v26
	v_nop
	v_fma_f32 v40, -v26, v27, 1.0
	s_delay_alu instid0(VALU_DEP_1) | instskip(NEXT) | instid1(VALU_DEP_1)
	v_fmac_f32_e32 v27, v40, v27
	v_mul_f32_e32 v40, v43, v27
	s_delay_alu instid0(VALU_DEP_1) | instskip(NEXT) | instid1(VALU_DEP_1)
	v_fma_f32 v44, -v26, v40, v43
	v_fmac_f32_e32 v40, v44, v27
	s_delay_alu instid0(VALU_DEP_1) | instskip(NEXT) | instid1(VALU_DEP_1)
	v_fma_f32 v26, -v26, v40, v43
	v_div_fmas_f32 v26, v26, v27, v40
	s_delay_alu instid0(VALU_DEP_1) | instskip(NEXT) | instid1(VALU_DEP_1)
	v_div_fixup_f32 v26, v26, v39, v38
	v_fma_f32 v27, v38, v26, v39
	s_delay_alu instid0(VALU_DEP_1) | instskip(SKIP_1) | instid1(VALU_DEP_2)
	v_div_scale_f32 v40, null, v27, v27, 1.0
	v_div_scale_f32 v45, vcc_lo, 1.0, v27, 1.0
	v_rcp_f32_e32 v43, v40
	v_nop
	s_delay_alu instid0(TRANS32_DEP_1) | instskip(NEXT) | instid1(VALU_DEP_1)
	v_fma_f32 v44, -v40, v43, 1.0
	v_fmac_f32_e32 v43, v44, v43
	s_delay_alu instid0(VALU_DEP_1) | instskip(NEXT) | instid1(VALU_DEP_1)
	v_mul_f32_e32 v44, v45, v43
	v_fma_f32 v46, -v40, v44, v45
	s_delay_alu instid0(VALU_DEP_1) | instskip(NEXT) | instid1(VALU_DEP_1)
	v_fmac_f32_e32 v44, v46, v43
	v_fma_f32 v40, -v40, v44, v45
	s_delay_alu instid0(VALU_DEP_1) | instskip(SKIP_1) | instid1(VALU_DEP_2)
	v_div_fmas_f32 v40, v40, v43, v44
	v_fma_f32 v43, v33, v26, v32
	v_div_fixup_f32 v27, v40, v27, 1.0
	s_delay_alu instid0(VALU_DEP_1) | instskip(NEXT) | instid1(VALU_DEP_1)
	v_dual_fma_f32 v40, v32, v26, -v33 :: v_dual_mul_f32 v26, v43, v27
	v_mul_f32_e32 v40, v40, v27
.LBB52_29:                              ;   in Loop: Header=BB52_4 Depth=1
	s_or_b32 exec_lo, exec_lo, s7
	v_mov_b64_e32 v[44:45], s[12:13]
	v_mov_b64_e32 v[46:47], s[22:23]
	s_mov_b32 s7, 0
	s_delay_alu instid0(VALU_DEP_2) | instskip(NEXT) | instid1(VALU_DEP_2)
	v_pk_mul_f32 v[44:45], v[40:41], v[44:45] op_sel_hi:[0,1]
	v_pk_mul_f32 v[48:49], v[26:27], v[46:47] op_sel_hi:[0,1]
	s_delay_alu instid0(VALU_DEP_2) | instskip(NEXT) | instid1(VALU_DEP_2)
	v_pk_fma_f32 v[26:27], v[26:27], v[46:47], v[44:45] op_sel_hi:[0,1,1] neg_lo:[0,0,1] neg_hi:[0,0,1]
	v_add_f32_e32 v26, v48, v44
.LBB52_30:                              ;   in Loop: Header=BB52_4 Depth=1
	s_and_b32 vcc_lo, exec_lo, s7
	s_cbranch_vccz .LBB52_40
; %bb.31:                               ;   in Loop: Header=BB52_4 Depth=1
                                        ; implicit-def: $vgpr27
	s_and_saveexec_b32 s7, s6
	s_delay_alu instid0(SALU_CYCLE_1)
	s_xor_b32 s7, exec_lo, s7
	s_cbranch_execz .LBB52_37
; %bb.32:                               ;   in Loop: Header=BB52_4 Depth=1
	v_cmp_neq_f32_e32 vcc_lo, 0, v38
	v_cmp_neq_f32_e64 s6, 0, v39
                                        ; implicit-def: $vgpr27
	s_or_b32 s6, s6, vcc_lo
	s_delay_alu instid0(SALU_CYCLE_1) | instskip(NEXT) | instid1(SALU_CYCLE_1)
	s_and_saveexec_b32 s34, s6
	s_xor_b32 s6, exec_lo, s34
	s_cbranch_execz .LBB52_34
; %bb.33:                               ;   in Loop: Header=BB52_4 Depth=1
	v_div_scale_f32 v26, null, v38, v38, v39
	v_div_scale_f32 v41, vcc_lo, v39, v38, v39
	s_delay_alu instid0(VALU_DEP_2) | instskip(SKIP_1) | instid1(TRANS32_DEP_1)
	v_rcp_f32_e32 v27, v26
	v_nop
	v_fma_f32 v40, -v26, v27, 1.0
	s_delay_alu instid0(VALU_DEP_1) | instskip(NEXT) | instid1(VALU_DEP_1)
	v_fmac_f32_e32 v27, v40, v27
	v_mul_f32_e32 v40, v41, v27
	s_delay_alu instid0(VALU_DEP_1) | instskip(NEXT) | instid1(VALU_DEP_1)
	v_fma_f32 v42, -v26, v40, v41
	v_fmac_f32_e32 v40, v42, v27
	s_delay_alu instid0(VALU_DEP_1) | instskip(NEXT) | instid1(VALU_DEP_1)
	v_fma_f32 v26, -v26, v40, v41
	v_div_fmas_f32 v26, v26, v27, v40
	s_delay_alu instid0(VALU_DEP_1) | instskip(NEXT) | instid1(VALU_DEP_1)
	v_div_fixup_f32 v26, v26, v38, v39
	v_fmac_f32_e32 v38, v39, v26
	s_delay_alu instid0(VALU_DEP_1) | instskip(SKIP_1) | instid1(VALU_DEP_2)
	v_div_scale_f32 v27, null, v38, v38, 1.0
	v_div_scale_f32 v41, vcc_lo, 1.0, v38, 1.0
	v_rcp_f32_e32 v39, v27
	v_nop
	s_delay_alu instid0(TRANS32_DEP_1) | instskip(NEXT) | instid1(VALU_DEP_1)
	v_fma_f32 v40, -v27, v39, 1.0
	v_fmac_f32_e32 v39, v40, v39
	s_delay_alu instid0(VALU_DEP_1) | instskip(NEXT) | instid1(VALU_DEP_1)
	v_mul_f32_e32 v40, v41, v39
	v_fma_f32 v42, -v27, v40, v41
	s_delay_alu instid0(VALU_DEP_1) | instskip(NEXT) | instid1(VALU_DEP_1)
	v_fmac_f32_e32 v40, v42, v39
                                        ; implicit-def: $vgpr42
	v_fma_f32 v27, -v27, v40, v41
	s_delay_alu instid0(VALU_DEP_1) | instskip(SKIP_2) | instid1(VALU_DEP_3)
	v_div_fmas_f32 v39, v27, v39, v40
	v_pk_fma_f32 v[40:41], v[32:33], v[26:27], v[32:33] op_sel:[1,0,0] op_sel_hi:[0,0,1]
	v_pk_fma_f32 v[26:27], v[32:33], v[26:27], v[32:33] op_sel:[1,0,0] op_sel_hi:[0,1,1] neg_lo:[1,0,0] neg_hi:[1,0,0]
	v_div_fixup_f32 v32, v39, v38, 1.0
	s_delay_alu instid0(VALU_DEP_3) | instskip(NEXT) | instid1(VALU_DEP_1)
	v_mov_b32_e32 v27, v41
                                        ; implicit-def: $vgpr41
	v_pk_mul_f32 v[26:27], v[26:27], v[32:33] op_sel_hi:[1,0]
                                        ; implicit-def: $vgpr32_vgpr33
.LBB52_34:                              ;   in Loop: Header=BB52_4 Depth=1
	s_and_not1_saveexec_b32 s34, s6
	s_cbranch_execz .LBB52_36
; %bb.35:                               ;   in Loop: Header=BB52_4 Depth=1
	v_div_scale_f32 v26, null, v42, v42, v32
	v_div_scale_f32 v27, null, v41, v41, v33
	v_div_scale_f32 v44, vcc_lo, v32, v42, v32
	s_delay_alu instid0(VALU_DEP_3) | instskip(NEXT) | instid1(VALU_DEP_2)
	v_rcp_f32_e32 v38, v26
	v_rcp_f32_e32 v39, v27
	s_delay_alu instid0(TRANS32_DEP_2) | instskip(NEXT) | instid1(TRANS32_DEP_1)
	v_fma_f32 v40, -v26, v38, 1.0
	v_fma_f32 v43, -v27, v39, 1.0
	s_delay_alu instid0(VALU_DEP_1) | instskip(SKIP_1) | instid1(VALU_DEP_1)
	v_dual_fmac_f32 v38, v40, v38 :: v_dual_fmac_f32 v39, v43, v39
	v_div_scale_f32 v40, s6, v33, v41, v33
	v_mul_f32_e32 v45, v40, v39
	s_delay_alu instid0(VALU_DEP_1) | instskip(NEXT) | instid1(VALU_DEP_1)
	v_dual_mul_f32 v43, v44, v38 :: v_dual_fma_f32 v47, -v27, v45, v40
	v_fma_f32 v46, -v26, v43, v44
	s_delay_alu instid0(VALU_DEP_1) | instskip(NEXT) | instid1(VALU_DEP_1)
	v_dual_fmac_f32 v43, v46, v38 :: v_dual_fmac_f32 v45, v47, v39
	v_fma_f32 v26, -v26, v43, v44
	s_delay_alu instid0(VALU_DEP_2) | instskip(NEXT) | instid1(VALU_DEP_2)
	v_fma_f32 v27, -v27, v45, v40
	v_div_fmas_f32 v26, v26, v38, v43
	s_mov_b32 vcc_lo, s6
	s_delay_alu instid0(VALU_DEP_2) | instskip(NEXT) | instid1(VALU_DEP_2)
	v_div_fmas_f32 v27, v27, v39, v45
	v_div_fixup_f32 v26, v26, v42, v32
	s_delay_alu instid0(VALU_DEP_2)
	v_div_fixup_f32 v27, v27, v41, v33
.LBB52_36:                              ;   in Loop: Header=BB52_4 Depth=1
	s_or_b32 exec_lo, exec_lo, s34
                                        ; implicit-def: $vgpr39
                                        ; implicit-def: $vgpr32_vgpr33
.LBB52_37:                              ;   in Loop: Header=BB52_4 Depth=1
	s_and_not1_saveexec_b32 s6, s7
	s_cbranch_execz .LBB52_39
; %bb.38:                               ;   in Loop: Header=BB52_4 Depth=1
	v_div_scale_f32 v26, null, v39, v39, v38
	v_div_scale_f32 v41, vcc_lo, v38, v39, v38
	s_delay_alu instid0(VALU_DEP_2) | instskip(SKIP_1) | instid1(TRANS32_DEP_1)
	v_rcp_f32_e32 v27, v26
	v_nop
	v_fma_f32 v40, -v26, v27, 1.0
	s_delay_alu instid0(VALU_DEP_1) | instskip(NEXT) | instid1(VALU_DEP_1)
	v_fmac_f32_e32 v27, v40, v27
	v_mul_f32_e32 v40, v41, v27
	s_delay_alu instid0(VALU_DEP_1) | instskip(NEXT) | instid1(VALU_DEP_1)
	v_fma_f32 v42, -v26, v40, v41
	v_fmac_f32_e32 v40, v42, v27
	s_delay_alu instid0(VALU_DEP_1) | instskip(NEXT) | instid1(VALU_DEP_1)
	v_fma_f32 v26, -v26, v40, v41
	v_div_fmas_f32 v26, v26, v27, v40
	s_delay_alu instid0(VALU_DEP_1) | instskip(NEXT) | instid1(VALU_DEP_1)
	v_div_fixup_f32 v26, v26, v39, v38
	v_fmac_f32_e32 v39, v38, v26
	s_delay_alu instid0(VALU_DEP_1) | instskip(SKIP_1) | instid1(VALU_DEP_2)
	v_div_scale_f32 v27, null, v39, v39, 1.0
	v_div_scale_f32 v41, vcc_lo, 1.0, v39, 1.0
	v_rcp_f32_e32 v38, v27
	v_nop
	s_delay_alu instid0(TRANS32_DEP_1) | instskip(NEXT) | instid1(VALU_DEP_1)
	v_fma_f32 v40, -v27, v38, 1.0
	v_fmac_f32_e32 v38, v40, v38
	s_delay_alu instid0(VALU_DEP_1) | instskip(NEXT) | instid1(VALU_DEP_1)
	v_mul_f32_e32 v40, v41, v38
	v_fma_f32 v42, -v27, v40, v41
	s_delay_alu instid0(VALU_DEP_1) | instskip(NEXT) | instid1(VALU_DEP_1)
	v_fmac_f32_e32 v40, v42, v38
	v_fma_f32 v27, -v27, v40, v41
	s_delay_alu instid0(VALU_DEP_1) | instskip(SKIP_2) | instid1(VALU_DEP_3)
	v_div_fmas_f32 v38, v27, v38, v40
	v_pk_fma_f32 v[40:41], v[32:33], v[26:27], v[32:33] op_sel:[0,0,1] op_sel_hi:[1,0,0]
	v_pk_fma_f32 v[26:27], v[32:33], v[26:27], v[32:33] op_sel:[0,0,1] op_sel_hi:[1,1,0] neg_lo:[0,0,1] neg_hi:[0,0,1]
	v_div_fixup_f32 v32, v38, v39, 1.0
	s_delay_alu instid0(VALU_DEP_3) | instskip(NEXT) | instid1(VALU_DEP_1)
	v_mov_b32_e32 v27, v41
	v_pk_mul_f32 v[26:27], v[26:27], v[32:33] op_sel_hi:[1,0]
.LBB52_39:                              ;   in Loop: Header=BB52_4 Depth=1
	s_or_b32 exec_lo, exec_lo, s6
.LBB52_40:                              ;   in Loop: Header=BB52_4 Depth=1
	v_cmp_gt_f32_e32 vcc_lo, 0, v36
	s_mov_b32 s7, -1
                                        ; implicit-def: $vgpr33
	v_cndmask_b32_e64 v39, v36, -v36, vcc_lo
	v_cmp_gt_f32_e32 vcc_lo, 0, v37
	v_cndmask_b32_e64 v40, v37, -v37, vcc_lo
	s_and_not1_b32 vcc_lo, exec_lo, s33
	s_delay_alu instid0(VALU_DEP_1)
	v_cmp_ge_f32_e64 s6, v39, v40
	s_cbranch_vccnz .LBB52_50
; %bb.41:                               ;   in Loop: Header=BB52_4 Depth=1
                                        ; implicit-def: $vgpr38
                                        ; implicit-def: $vgpr32
	s_and_saveexec_b32 s7, s6
	s_delay_alu instid0(SALU_CYCLE_1)
	s_xor_b32 s34, exec_lo, s7
	s_cbranch_execz .LBB52_47
; %bb.42:                               ;   in Loop: Header=BB52_4 Depth=1
	v_cmp_neq_f32_e32 vcc_lo, 0, v36
	v_cmp_neq_f32_e64 s7, 0, v37
                                        ; implicit-def: $vgpr38
                                        ; implicit-def: $vgpr32
	s_or_b32 s7, s7, vcc_lo
	s_delay_alu instid0(SALU_CYCLE_1) | instskip(NEXT) | instid1(SALU_CYCLE_1)
	s_and_saveexec_b32 s35, s7
	s_xor_b32 s7, exec_lo, s35
	s_cbranch_execz .LBB52_44
; %bb.43:                               ;   in Loop: Header=BB52_4 Depth=1
	v_div_scale_f32 v32, null, v36, v36, v37
	v_div_scale_f32 v41, vcc_lo, v37, v36, v37
	s_delay_alu instid0(VALU_DEP_2) | instskip(SKIP_1) | instid1(TRANS32_DEP_1)
	v_rcp_f32_e32 v33, v32
	v_nop
	v_fma_f32 v38, -v32, v33, 1.0
	s_delay_alu instid0(VALU_DEP_1) | instskip(NEXT) | instid1(VALU_DEP_1)
	v_fmac_f32_e32 v33, v38, v33
	v_mul_f32_e32 v38, v41, v33
	s_delay_alu instid0(VALU_DEP_1) | instskip(NEXT) | instid1(VALU_DEP_1)
	v_fma_f32 v42, -v32, v38, v41
	v_fmac_f32_e32 v38, v42, v33
	s_delay_alu instid0(VALU_DEP_1) | instskip(NEXT) | instid1(VALU_DEP_1)
	v_fma_f32 v32, -v32, v38, v41
	v_div_fmas_f32 v32, v32, v33, v38
	s_delay_alu instid0(VALU_DEP_1) | instskip(NEXT) | instid1(VALU_DEP_1)
	v_div_fixup_f32 v32, v32, v36, v37
	v_fma_f32 v33, v37, v32, v36
	s_delay_alu instid0(VALU_DEP_1) | instskip(SKIP_1) | instid1(VALU_DEP_2)
	v_div_scale_f32 v38, null, v33, v33, 1.0
	v_div_scale_f32 v43, vcc_lo, 1.0, v33, 1.0
	v_rcp_f32_e32 v41, v38
	v_nop
	s_delay_alu instid0(TRANS32_DEP_1) | instskip(NEXT) | instid1(VALU_DEP_1)
	v_fma_f32 v42, -v38, v41, 1.0
	v_fmac_f32_e32 v41, v42, v41
	s_delay_alu instid0(VALU_DEP_1) | instskip(NEXT) | instid1(VALU_DEP_1)
	v_mul_f32_e32 v42, v43, v41
	v_fma_f32 v44, -v38, v42, v43
	s_delay_alu instid0(VALU_DEP_1) | instskip(NEXT) | instid1(VALU_DEP_1)
	v_fmac_f32_e32 v42, v44, v41
	v_fma_f32 v38, -v38, v42, v43
	s_delay_alu instid0(VALU_DEP_1) | instskip(SKIP_1) | instid1(VALU_DEP_2)
	v_div_fmas_f32 v38, v38, v41, v42
	v_fma_f32 v41, v34, v32, v35
	v_div_fixup_f32 v33, v38, v33, 1.0
	s_delay_alu instid0(VALU_DEP_1) | instskip(NEXT) | instid1(VALU_DEP_1)
	v_dual_fma_f32 v38, -v35, v32, v34 :: v_dual_mul_f32 v32, v41, v33
	v_mul_f32_e32 v38, v38, v33
.LBB52_44:                              ;   in Loop: Header=BB52_4 Depth=1
	s_and_not1_saveexec_b32 s35, s7
	s_cbranch_execz .LBB52_46
; %bb.45:                               ;   in Loop: Header=BB52_4 Depth=1
	v_div_scale_f32 v32, null, v39, v39, v35
	v_div_scale_f32 v33, null, v40, v40, v34
	v_div_scale_f32 v44, vcc_lo, v35, v39, v35
	s_delay_alu instid0(VALU_DEP_3) | instskip(NEXT) | instid1(VALU_DEP_2)
	v_rcp_f32_e32 v38, v32
	v_rcp_f32_e32 v41, v33
	s_delay_alu instid0(TRANS32_DEP_2) | instskip(NEXT) | instid1(TRANS32_DEP_1)
	v_fma_f32 v42, -v32, v38, 1.0
	v_fma_f32 v43, -v33, v41, 1.0
	s_delay_alu instid0(VALU_DEP_1) | instskip(SKIP_1) | instid1(VALU_DEP_1)
	v_dual_fmac_f32 v38, v42, v38 :: v_dual_fmac_f32 v41, v43, v41
	v_div_scale_f32 v42, s7, v34, v40, v34
	v_dual_mul_f32 v43, v44, v38 :: v_dual_mul_f32 v45, v42, v41
	s_delay_alu instid0(VALU_DEP_1) | instskip(NEXT) | instid1(VALU_DEP_1)
	v_dual_fma_f32 v46, -v32, v43, v44 :: v_dual_fma_f32 v47, -v33, v45, v42
	v_dual_fmac_f32 v43, v46, v38 :: v_dual_fmac_f32 v45, v47, v41
	s_delay_alu instid0(VALU_DEP_1) | instskip(NEXT) | instid1(VALU_DEP_1)
	v_dual_fma_f32 v32, -v32, v43, v44 :: v_dual_fma_f32 v33, -v33, v45, v42
	v_div_fmas_f32 v32, v32, v38, v43
	s_mov_b32 vcc_lo, s7
	s_delay_alu instid0(VALU_DEP_2) | instskip(NEXT) | instid1(VALU_DEP_2)
	v_div_fmas_f32 v33, v33, v41, v45
	v_div_fixup_f32 v32, v32, v39, v35
	s_delay_alu instid0(VALU_DEP_2)
	v_div_fixup_f32 v38, v33, v40, v34
.LBB52_46:                              ;   in Loop: Header=BB52_4 Depth=1
	s_or_b32 exec_lo, exec_lo, s35
.LBB52_47:                              ;   in Loop: Header=BB52_4 Depth=1
	s_and_not1_saveexec_b32 s7, s34
	s_cbranch_execz .LBB52_49
; %bb.48:                               ;   in Loop: Header=BB52_4 Depth=1
	v_div_scale_f32 v32, null, v37, v37, v36
	v_div_scale_f32 v41, vcc_lo, v36, v37, v36
	s_delay_alu instid0(VALU_DEP_2) | instskip(SKIP_1) | instid1(TRANS32_DEP_1)
	v_rcp_f32_e32 v33, v32
	v_nop
	v_fma_f32 v38, -v32, v33, 1.0
	s_delay_alu instid0(VALU_DEP_1) | instskip(NEXT) | instid1(VALU_DEP_1)
	v_fmac_f32_e32 v33, v38, v33
	v_mul_f32_e32 v38, v41, v33
	s_delay_alu instid0(VALU_DEP_1) | instskip(NEXT) | instid1(VALU_DEP_1)
	v_fma_f32 v42, -v32, v38, v41
	v_fmac_f32_e32 v38, v42, v33
	s_delay_alu instid0(VALU_DEP_1) | instskip(NEXT) | instid1(VALU_DEP_1)
	v_fma_f32 v32, -v32, v38, v41
	v_div_fmas_f32 v32, v32, v33, v38
	s_delay_alu instid0(VALU_DEP_1) | instskip(NEXT) | instid1(VALU_DEP_1)
	v_div_fixup_f32 v32, v32, v37, v36
	v_fma_f32 v33, v36, v32, v37
	s_delay_alu instid0(VALU_DEP_1) | instskip(SKIP_1) | instid1(VALU_DEP_2)
	v_div_scale_f32 v38, null, v33, v33, 1.0
	v_div_scale_f32 v43, vcc_lo, 1.0, v33, 1.0
	v_rcp_f32_e32 v41, v38
	v_nop
	s_delay_alu instid0(TRANS32_DEP_1) | instskip(NEXT) | instid1(VALU_DEP_1)
	v_fma_f32 v42, -v38, v41, 1.0
	v_fmac_f32_e32 v41, v42, v41
	s_delay_alu instid0(VALU_DEP_1) | instskip(NEXT) | instid1(VALU_DEP_1)
	v_mul_f32_e32 v42, v43, v41
	v_fma_f32 v44, -v38, v42, v43
	s_delay_alu instid0(VALU_DEP_1) | instskip(NEXT) | instid1(VALU_DEP_1)
	v_fmac_f32_e32 v42, v44, v41
	v_fma_f32 v38, -v38, v42, v43
	s_delay_alu instid0(VALU_DEP_1) | instskip(SKIP_1) | instid1(VALU_DEP_2)
	v_div_fmas_f32 v38, v38, v41, v42
	v_fma_f32 v41, v35, v32, v34
	v_div_fixup_f32 v33, v38, v33, 1.0
	s_delay_alu instid0(VALU_DEP_1) | instskip(NEXT) | instid1(VALU_DEP_1)
	v_dual_fma_f32 v38, v34, v32, -v35 :: v_dual_mul_f32 v32, v41, v33
	v_mul_f32_e32 v38, v38, v33
.LBB52_49:                              ;   in Loop: Header=BB52_4 Depth=1
	s_or_b32 exec_lo, exec_lo, s7
	v_mov_b64_e32 v[42:43], s[12:13]
	v_mov_b64_e32 v[44:45], s[22:23]
	s_mov_b32 s7, 0
	s_delay_alu instid0(VALU_DEP_2) | instskip(NEXT) | instid1(VALU_DEP_2)
	v_pk_mul_f32 v[42:43], v[38:39], v[42:43] op_sel_hi:[0,1]
	v_pk_mul_f32 v[46:47], v[32:33], v[44:45] op_sel_hi:[0,1]
	s_delay_alu instid0(VALU_DEP_2) | instskip(NEXT) | instid1(VALU_DEP_2)
	v_pk_fma_f32 v[32:33], v[32:33], v[44:45], v[42:43] op_sel_hi:[0,1,1] neg_lo:[0,0,1] neg_hi:[0,0,1]
	v_add_f32_e32 v32, v46, v42
.LBB52_50:                              ;   in Loop: Header=BB52_4 Depth=1
	s_and_b32 vcc_lo, exec_lo, s7
	s_cbranch_vccz .LBB52_60
; %bb.51:                               ;   in Loop: Header=BB52_4 Depth=1
                                        ; implicit-def: $vgpr33
	s_and_saveexec_b32 s7, s6
	s_delay_alu instid0(SALU_CYCLE_1)
	s_xor_b32 s7, exec_lo, s7
	s_cbranch_execz .LBB52_57
; %bb.52:                               ;   in Loop: Header=BB52_4 Depth=1
	v_cmp_neq_f32_e32 vcc_lo, 0, v36
	v_cmp_neq_f32_e64 s6, 0, v37
                                        ; implicit-def: $vgpr33
	s_or_b32 s6, s6, vcc_lo
	s_delay_alu instid0(SALU_CYCLE_1) | instskip(NEXT) | instid1(SALU_CYCLE_1)
	s_and_saveexec_b32 s34, s6
	s_xor_b32 s6, exec_lo, s34
	s_cbranch_execz .LBB52_54
; %bb.53:                               ;   in Loop: Header=BB52_4 Depth=1
	v_div_scale_f32 v32, null, v36, v36, v37
	v_div_scale_f32 v39, vcc_lo, v37, v36, v37
	s_delay_alu instid0(VALU_DEP_2) | instskip(SKIP_1) | instid1(TRANS32_DEP_1)
	v_rcp_f32_e32 v33, v32
	v_nop
	v_fma_f32 v38, -v32, v33, 1.0
	s_delay_alu instid0(VALU_DEP_1) | instskip(NEXT) | instid1(VALU_DEP_1)
	v_fmac_f32_e32 v33, v38, v33
	v_mul_f32_e32 v38, v39, v33
	s_delay_alu instid0(VALU_DEP_1) | instskip(NEXT) | instid1(VALU_DEP_1)
	v_fma_f32 v40, -v32, v38, v39
	v_fmac_f32_e32 v38, v40, v33
	s_delay_alu instid0(VALU_DEP_1) | instskip(NEXT) | instid1(VALU_DEP_1)
	v_fma_f32 v32, -v32, v38, v39
	v_div_fmas_f32 v32, v32, v33, v38
	s_delay_alu instid0(VALU_DEP_1) | instskip(NEXT) | instid1(VALU_DEP_1)
	v_div_fixup_f32 v32, v32, v36, v37
	v_fmac_f32_e32 v36, v37, v32
	s_delay_alu instid0(VALU_DEP_1) | instskip(SKIP_1) | instid1(VALU_DEP_2)
	v_div_scale_f32 v33, null, v36, v36, 1.0
	v_div_scale_f32 v39, vcc_lo, 1.0, v36, 1.0
	v_rcp_f32_e32 v37, v33
	v_nop
	s_delay_alu instid0(TRANS32_DEP_1) | instskip(NEXT) | instid1(VALU_DEP_1)
	v_fma_f32 v38, -v33, v37, 1.0
	v_fmac_f32_e32 v37, v38, v37
	s_delay_alu instid0(VALU_DEP_1) | instskip(NEXT) | instid1(VALU_DEP_1)
	v_mul_f32_e32 v38, v39, v37
	v_fma_f32 v40, -v33, v38, v39
	s_delay_alu instid0(VALU_DEP_1) | instskip(NEXT) | instid1(VALU_DEP_1)
	v_fmac_f32_e32 v38, v40, v37
                                        ; implicit-def: $vgpr40
	v_fma_f32 v33, -v33, v38, v39
	s_delay_alu instid0(VALU_DEP_1) | instskip(SKIP_2) | instid1(VALU_DEP_3)
	v_div_fmas_f32 v37, v33, v37, v38
	v_pk_fma_f32 v[38:39], v[34:35], v[32:33], v[34:35] op_sel:[1,0,0] op_sel_hi:[0,0,1]
	v_pk_fma_f32 v[32:33], v[34:35], v[32:33], v[34:35] op_sel:[1,0,0] op_sel_hi:[0,1,1] neg_lo:[1,0,0] neg_hi:[1,0,0]
	v_div_fixup_f32 v34, v37, v36, 1.0
	s_delay_alu instid0(VALU_DEP_3) | instskip(NEXT) | instid1(VALU_DEP_1)
	v_mov_b32_e32 v33, v39
                                        ; implicit-def: $vgpr39
	v_pk_mul_f32 v[32:33], v[32:33], v[34:35] op_sel_hi:[1,0]
                                        ; implicit-def: $vgpr34_vgpr35
.LBB52_54:                              ;   in Loop: Header=BB52_4 Depth=1
	s_and_not1_saveexec_b32 s34, s6
	s_cbranch_execz .LBB52_56
; %bb.55:                               ;   in Loop: Header=BB52_4 Depth=1
	v_div_scale_f32 v32, null, v40, v40, v34
	v_div_scale_f32 v33, null, v39, v39, v35
	v_div_scale_f32 v42, vcc_lo, v34, v40, v34
	s_delay_alu instid0(VALU_DEP_3) | instskip(NEXT) | instid1(VALU_DEP_2)
	v_rcp_f32_e32 v36, v32
	v_rcp_f32_e32 v37, v33
	s_delay_alu instid0(TRANS32_DEP_2) | instskip(NEXT) | instid1(TRANS32_DEP_1)
	v_fma_f32 v38, -v32, v36, 1.0
	v_fma_f32 v41, -v33, v37, 1.0
	s_delay_alu instid0(VALU_DEP_1) | instskip(SKIP_1) | instid1(VALU_DEP_1)
	v_dual_fmac_f32 v36, v38, v36 :: v_dual_fmac_f32 v37, v41, v37
	v_div_scale_f32 v38, s6, v35, v39, v35
	v_mul_f32_e32 v43, v38, v37
	s_delay_alu instid0(VALU_DEP_1) | instskip(NEXT) | instid1(VALU_DEP_1)
	v_dual_mul_f32 v41, v42, v36 :: v_dual_fma_f32 v45, -v33, v43, v38
	v_fma_f32 v44, -v32, v41, v42
	s_delay_alu instid0(VALU_DEP_1) | instskip(NEXT) | instid1(VALU_DEP_1)
	v_dual_fmac_f32 v41, v44, v36 :: v_dual_fmac_f32 v43, v45, v37
	v_fma_f32 v32, -v32, v41, v42
	s_delay_alu instid0(VALU_DEP_2) | instskip(NEXT) | instid1(VALU_DEP_2)
	v_fma_f32 v33, -v33, v43, v38
	v_div_fmas_f32 v32, v32, v36, v41
	s_mov_b32 vcc_lo, s6
	s_delay_alu instid0(VALU_DEP_2) | instskip(NEXT) | instid1(VALU_DEP_2)
	v_div_fmas_f32 v33, v33, v37, v43
	v_div_fixup_f32 v32, v32, v40, v34
	s_delay_alu instid0(VALU_DEP_2)
	v_div_fixup_f32 v33, v33, v39, v35
.LBB52_56:                              ;   in Loop: Header=BB52_4 Depth=1
	s_or_b32 exec_lo, exec_lo, s34
                                        ; implicit-def: $vgpr37
                                        ; implicit-def: $vgpr34_vgpr35
.LBB52_57:                              ;   in Loop: Header=BB52_4 Depth=1
	s_and_not1_saveexec_b32 s6, s7
	s_cbranch_execz .LBB52_59
; %bb.58:                               ;   in Loop: Header=BB52_4 Depth=1
	v_div_scale_f32 v32, null, v37, v37, v36
	v_div_scale_f32 v39, vcc_lo, v36, v37, v36
	s_delay_alu instid0(VALU_DEP_2) | instskip(SKIP_1) | instid1(TRANS32_DEP_1)
	v_rcp_f32_e32 v33, v32
	v_nop
	v_fma_f32 v38, -v32, v33, 1.0
	s_delay_alu instid0(VALU_DEP_1) | instskip(NEXT) | instid1(VALU_DEP_1)
	v_fmac_f32_e32 v33, v38, v33
	v_mul_f32_e32 v38, v39, v33
	s_delay_alu instid0(VALU_DEP_1) | instskip(NEXT) | instid1(VALU_DEP_1)
	v_fma_f32 v40, -v32, v38, v39
	v_fmac_f32_e32 v38, v40, v33
	s_delay_alu instid0(VALU_DEP_1) | instskip(NEXT) | instid1(VALU_DEP_1)
	v_fma_f32 v32, -v32, v38, v39
	v_div_fmas_f32 v32, v32, v33, v38
	s_delay_alu instid0(VALU_DEP_1) | instskip(NEXT) | instid1(VALU_DEP_1)
	v_div_fixup_f32 v32, v32, v37, v36
	v_fmac_f32_e32 v37, v36, v32
	s_delay_alu instid0(VALU_DEP_1) | instskip(SKIP_1) | instid1(VALU_DEP_2)
	v_div_scale_f32 v33, null, v37, v37, 1.0
	v_div_scale_f32 v39, vcc_lo, 1.0, v37, 1.0
	v_rcp_f32_e32 v36, v33
	v_nop
	s_delay_alu instid0(TRANS32_DEP_1) | instskip(NEXT) | instid1(VALU_DEP_1)
	v_fma_f32 v38, -v33, v36, 1.0
	v_fmac_f32_e32 v36, v38, v36
	s_delay_alu instid0(VALU_DEP_1) | instskip(NEXT) | instid1(VALU_DEP_1)
	v_mul_f32_e32 v38, v39, v36
	v_fma_f32 v40, -v33, v38, v39
	s_delay_alu instid0(VALU_DEP_1) | instskip(NEXT) | instid1(VALU_DEP_1)
	v_fmac_f32_e32 v38, v40, v36
	v_fma_f32 v33, -v33, v38, v39
	s_delay_alu instid0(VALU_DEP_1) | instskip(SKIP_2) | instid1(VALU_DEP_3)
	v_div_fmas_f32 v36, v33, v36, v38
	v_pk_fma_f32 v[38:39], v[34:35], v[32:33], v[34:35] op_sel:[0,0,1] op_sel_hi:[1,0,0]
	v_pk_fma_f32 v[32:33], v[34:35], v[32:33], v[34:35] op_sel:[0,0,1] op_sel_hi:[1,1,0] neg_lo:[0,0,1] neg_hi:[0,0,1]
	v_div_fixup_f32 v34, v36, v37, 1.0
	s_delay_alu instid0(VALU_DEP_3) | instskip(NEXT) | instid1(VALU_DEP_1)
	v_mov_b32_e32 v33, v39
	v_pk_mul_f32 v[32:33], v[32:33], v[34:35] op_sel_hi:[1,0]
.LBB52_59:                              ;   in Loop: Header=BB52_4 Depth=1
	s_or_b32 exec_lo, exec_lo, s6
.LBB52_60:                              ;   in Loop: Header=BB52_4 Depth=1
	v_cmp_gt_f32_e32 vcc_lo, 0, v30
	s_mov_b32 s7, -1
                                        ; implicit-def: $vgpr35
	v_cndmask_b32_e64 v37, v30, -v30, vcc_lo
	v_cmp_gt_f32_e32 vcc_lo, 0, v31
	v_cndmask_b32_e64 v38, v31, -v31, vcc_lo
	s_and_not1_b32 vcc_lo, exec_lo, s33
	s_delay_alu instid0(VALU_DEP_1)
	v_cmp_ge_f32_e64 s6, v37, v38
	s_cbranch_vccnz .LBB52_70
; %bb.61:                               ;   in Loop: Header=BB52_4 Depth=1
                                        ; implicit-def: $vgpr36
                                        ; implicit-def: $vgpr34
	s_and_saveexec_b32 s7, s6
	s_delay_alu instid0(SALU_CYCLE_1)
	s_xor_b32 s34, exec_lo, s7
	s_cbranch_execz .LBB52_67
; %bb.62:                               ;   in Loop: Header=BB52_4 Depth=1
	v_cmp_neq_f32_e32 vcc_lo, 0, v30
	v_cmp_neq_f32_e64 s7, 0, v31
                                        ; implicit-def: $vgpr36
                                        ; implicit-def: $vgpr34
	s_or_b32 s7, s7, vcc_lo
	s_delay_alu instid0(SALU_CYCLE_1) | instskip(NEXT) | instid1(SALU_CYCLE_1)
	s_and_saveexec_b32 s35, s7
	s_xor_b32 s7, exec_lo, s35
	s_cbranch_execz .LBB52_64
; %bb.63:                               ;   in Loop: Header=BB52_4 Depth=1
	v_div_scale_f32 v34, null, v30, v30, v31
	v_div_scale_f32 v39, vcc_lo, v31, v30, v31
	s_delay_alu instid0(VALU_DEP_2) | instskip(SKIP_1) | instid1(TRANS32_DEP_1)
	v_rcp_f32_e32 v35, v34
	v_nop
	v_fma_f32 v36, -v34, v35, 1.0
	s_delay_alu instid0(VALU_DEP_1) | instskip(NEXT) | instid1(VALU_DEP_1)
	v_fmac_f32_e32 v35, v36, v35
	v_mul_f32_e32 v36, v39, v35
	s_delay_alu instid0(VALU_DEP_1) | instskip(NEXT) | instid1(VALU_DEP_1)
	v_fma_f32 v40, -v34, v36, v39
	v_fmac_f32_e32 v36, v40, v35
	s_delay_alu instid0(VALU_DEP_1) | instskip(NEXT) | instid1(VALU_DEP_1)
	v_fma_f32 v34, -v34, v36, v39
	v_div_fmas_f32 v34, v34, v35, v36
	s_delay_alu instid0(VALU_DEP_1) | instskip(NEXT) | instid1(VALU_DEP_1)
	v_div_fixup_f32 v34, v34, v30, v31
	v_fma_f32 v35, v31, v34, v30
	s_delay_alu instid0(VALU_DEP_1) | instskip(SKIP_1) | instid1(VALU_DEP_2)
	v_div_scale_f32 v36, null, v35, v35, 1.0
	v_div_scale_f32 v41, vcc_lo, 1.0, v35, 1.0
	v_rcp_f32_e32 v39, v36
	v_nop
	s_delay_alu instid0(TRANS32_DEP_1) | instskip(NEXT) | instid1(VALU_DEP_1)
	v_fma_f32 v40, -v36, v39, 1.0
	v_fmac_f32_e32 v39, v40, v39
	s_delay_alu instid0(VALU_DEP_1) | instskip(NEXT) | instid1(VALU_DEP_1)
	v_mul_f32_e32 v40, v41, v39
	v_fma_f32 v42, -v36, v40, v41
	s_delay_alu instid0(VALU_DEP_1) | instskip(NEXT) | instid1(VALU_DEP_1)
	v_fmac_f32_e32 v40, v42, v39
	v_fma_f32 v36, -v36, v40, v41
	s_delay_alu instid0(VALU_DEP_1) | instskip(SKIP_1) | instid1(VALU_DEP_2)
	v_div_fmas_f32 v36, v36, v39, v40
	v_fma_f32 v39, v28, v34, v29
	v_div_fixup_f32 v35, v36, v35, 1.0
	s_delay_alu instid0(VALU_DEP_1) | instskip(NEXT) | instid1(VALU_DEP_1)
	v_dual_fma_f32 v36, -v29, v34, v28 :: v_dual_mul_f32 v34, v39, v35
	v_mul_f32_e32 v36, v36, v35
.LBB52_64:                              ;   in Loop: Header=BB52_4 Depth=1
	s_and_not1_saveexec_b32 s35, s7
	s_cbranch_execz .LBB52_66
; %bb.65:                               ;   in Loop: Header=BB52_4 Depth=1
	v_div_scale_f32 v34, null, v37, v37, v29
	v_div_scale_f32 v35, null, v38, v38, v28
	v_div_scale_f32 v42, vcc_lo, v29, v37, v29
	s_delay_alu instid0(VALU_DEP_3) | instskip(NEXT) | instid1(VALU_DEP_2)
	v_rcp_f32_e32 v36, v34
	v_rcp_f32_e32 v39, v35
	s_delay_alu instid0(TRANS32_DEP_2) | instskip(NEXT) | instid1(TRANS32_DEP_1)
	v_fma_f32 v40, -v34, v36, 1.0
	v_fma_f32 v41, -v35, v39, 1.0
	s_delay_alu instid0(VALU_DEP_1) | instskip(SKIP_1) | instid1(VALU_DEP_1)
	v_dual_fmac_f32 v36, v40, v36 :: v_dual_fmac_f32 v39, v41, v39
	v_div_scale_f32 v40, s7, v28, v38, v28
	v_dual_mul_f32 v41, v42, v36 :: v_dual_mul_f32 v43, v40, v39
	s_delay_alu instid0(VALU_DEP_1) | instskip(NEXT) | instid1(VALU_DEP_1)
	v_dual_fma_f32 v44, -v34, v41, v42 :: v_dual_fma_f32 v45, -v35, v43, v40
	v_dual_fmac_f32 v41, v44, v36 :: v_dual_fmac_f32 v43, v45, v39
	s_delay_alu instid0(VALU_DEP_1) | instskip(NEXT) | instid1(VALU_DEP_1)
	v_dual_fma_f32 v34, -v34, v41, v42 :: v_dual_fma_f32 v35, -v35, v43, v40
	v_div_fmas_f32 v34, v34, v36, v41
	s_mov_b32 vcc_lo, s7
	s_delay_alu instid0(VALU_DEP_2) | instskip(NEXT) | instid1(VALU_DEP_2)
	v_div_fmas_f32 v35, v35, v39, v43
	v_div_fixup_f32 v34, v34, v37, v29
	s_delay_alu instid0(VALU_DEP_2)
	v_div_fixup_f32 v36, v35, v38, v28
.LBB52_66:                              ;   in Loop: Header=BB52_4 Depth=1
	s_or_b32 exec_lo, exec_lo, s35
.LBB52_67:                              ;   in Loop: Header=BB52_4 Depth=1
	s_and_not1_saveexec_b32 s7, s34
	s_cbranch_execz .LBB52_69
; %bb.68:                               ;   in Loop: Header=BB52_4 Depth=1
	v_div_scale_f32 v34, null, v31, v31, v30
	v_div_scale_f32 v39, vcc_lo, v30, v31, v30
	s_delay_alu instid0(VALU_DEP_2) | instskip(SKIP_1) | instid1(TRANS32_DEP_1)
	v_rcp_f32_e32 v35, v34
	v_nop
	v_fma_f32 v36, -v34, v35, 1.0
	s_delay_alu instid0(VALU_DEP_1) | instskip(NEXT) | instid1(VALU_DEP_1)
	v_fmac_f32_e32 v35, v36, v35
	v_mul_f32_e32 v36, v39, v35
	s_delay_alu instid0(VALU_DEP_1) | instskip(NEXT) | instid1(VALU_DEP_1)
	v_fma_f32 v40, -v34, v36, v39
	v_fmac_f32_e32 v36, v40, v35
	s_delay_alu instid0(VALU_DEP_1) | instskip(NEXT) | instid1(VALU_DEP_1)
	v_fma_f32 v34, -v34, v36, v39
	v_div_fmas_f32 v34, v34, v35, v36
	s_delay_alu instid0(VALU_DEP_1) | instskip(NEXT) | instid1(VALU_DEP_1)
	v_div_fixup_f32 v34, v34, v31, v30
	v_fma_f32 v35, v30, v34, v31
	s_delay_alu instid0(VALU_DEP_1) | instskip(SKIP_1) | instid1(VALU_DEP_2)
	v_div_scale_f32 v36, null, v35, v35, 1.0
	v_div_scale_f32 v41, vcc_lo, 1.0, v35, 1.0
	v_rcp_f32_e32 v39, v36
	v_nop
	s_delay_alu instid0(TRANS32_DEP_1) | instskip(NEXT) | instid1(VALU_DEP_1)
	v_fma_f32 v40, -v36, v39, 1.0
	v_fmac_f32_e32 v39, v40, v39
	s_delay_alu instid0(VALU_DEP_1) | instskip(NEXT) | instid1(VALU_DEP_1)
	v_mul_f32_e32 v40, v41, v39
	v_fma_f32 v42, -v36, v40, v41
	s_delay_alu instid0(VALU_DEP_1) | instskip(NEXT) | instid1(VALU_DEP_1)
	v_fmac_f32_e32 v40, v42, v39
	v_fma_f32 v36, -v36, v40, v41
	s_delay_alu instid0(VALU_DEP_1) | instskip(SKIP_1) | instid1(VALU_DEP_2)
	v_div_fmas_f32 v36, v36, v39, v40
	v_fma_f32 v39, v29, v34, v28
	v_div_fixup_f32 v35, v36, v35, 1.0
	s_delay_alu instid0(VALU_DEP_1) | instskip(NEXT) | instid1(VALU_DEP_1)
	v_dual_fma_f32 v36, v28, v34, -v29 :: v_dual_mul_f32 v34, v39, v35
	v_mul_f32_e32 v36, v36, v35
.LBB52_69:                              ;   in Loop: Header=BB52_4 Depth=1
	s_or_b32 exec_lo, exec_lo, s7
	v_mov_b64_e32 v[40:41], s[12:13]
	v_mov_b64_e32 v[42:43], s[22:23]
	s_mov_b32 s7, 0
	s_delay_alu instid0(VALU_DEP_2) | instskip(NEXT) | instid1(VALU_DEP_2)
	v_pk_mul_f32 v[40:41], v[36:37], v[40:41] op_sel_hi:[0,1]
	v_pk_mul_f32 v[44:45], v[34:35], v[42:43] op_sel_hi:[0,1]
	s_delay_alu instid0(VALU_DEP_2) | instskip(NEXT) | instid1(VALU_DEP_2)
	v_pk_fma_f32 v[34:35], v[34:35], v[42:43], v[40:41] op_sel_hi:[0,1,1] neg_lo:[0,0,1] neg_hi:[0,0,1]
	v_add_f32_e32 v34, v44, v40
.LBB52_70:                              ;   in Loop: Header=BB52_4 Depth=1
	s_and_b32 vcc_lo, exec_lo, s7
	s_cbranch_vccz .LBB52_80
; %bb.71:                               ;   in Loop: Header=BB52_4 Depth=1
                                        ; implicit-def: $vgpr35
	s_and_saveexec_b32 s7, s6
	s_delay_alu instid0(SALU_CYCLE_1)
	s_xor_b32 s7, exec_lo, s7
	s_cbranch_execz .LBB52_77
; %bb.72:                               ;   in Loop: Header=BB52_4 Depth=1
	v_cmp_neq_f32_e32 vcc_lo, 0, v30
	v_cmp_neq_f32_e64 s6, 0, v31
                                        ; implicit-def: $vgpr35
	s_or_b32 s6, s6, vcc_lo
	s_delay_alu instid0(SALU_CYCLE_1) | instskip(NEXT) | instid1(SALU_CYCLE_1)
	s_and_saveexec_b32 s34, s6
	s_xor_b32 s6, exec_lo, s34
	s_cbranch_execz .LBB52_74
; %bb.73:                               ;   in Loop: Header=BB52_4 Depth=1
	v_div_scale_f32 v34, null, v30, v30, v31
	v_div_scale_f32 v37, vcc_lo, v31, v30, v31
	s_delay_alu instid0(VALU_DEP_2) | instskip(SKIP_1) | instid1(TRANS32_DEP_1)
	v_rcp_f32_e32 v35, v34
	v_nop
	v_fma_f32 v36, -v34, v35, 1.0
	s_delay_alu instid0(VALU_DEP_1) | instskip(NEXT) | instid1(VALU_DEP_1)
	v_fmac_f32_e32 v35, v36, v35
	v_mul_f32_e32 v36, v37, v35
	s_delay_alu instid0(VALU_DEP_1) | instskip(NEXT) | instid1(VALU_DEP_1)
	v_fma_f32 v38, -v34, v36, v37
	v_fmac_f32_e32 v36, v38, v35
	s_delay_alu instid0(VALU_DEP_1) | instskip(NEXT) | instid1(VALU_DEP_1)
	v_fma_f32 v34, -v34, v36, v37
	v_div_fmas_f32 v34, v34, v35, v36
	s_delay_alu instid0(VALU_DEP_1) | instskip(NEXT) | instid1(VALU_DEP_1)
	v_div_fixup_f32 v34, v34, v30, v31
	v_fmac_f32_e32 v30, v31, v34
	s_delay_alu instid0(VALU_DEP_1) | instskip(SKIP_1) | instid1(VALU_DEP_2)
	v_div_scale_f32 v31, null, v30, v30, 1.0
	v_div_scale_f32 v37, vcc_lo, 1.0, v30, 1.0
	v_rcp_f32_e32 v35, v31
	v_nop
	s_delay_alu instid0(TRANS32_DEP_1) | instskip(NEXT) | instid1(VALU_DEP_1)
	v_fma_f32 v36, -v31, v35, 1.0
	v_fmac_f32_e32 v35, v36, v35
	s_delay_alu instid0(VALU_DEP_1) | instskip(NEXT) | instid1(VALU_DEP_1)
	v_mul_f32_e32 v36, v37, v35
	v_fma_f32 v38, -v31, v36, v37
	s_delay_alu instid0(VALU_DEP_1) | instskip(NEXT) | instid1(VALU_DEP_1)
	v_fmac_f32_e32 v36, v38, v35
                                        ; implicit-def: $vgpr38
	v_fma_f32 v31, -v31, v36, v37
	s_delay_alu instid0(VALU_DEP_1) | instskip(SKIP_2) | instid1(VALU_DEP_3)
	v_div_fmas_f32 v31, v31, v35, v36
	v_pk_fma_f32 v[36:37], v[28:29], v[34:35], v[28:29] op_sel:[1,0,0] op_sel_hi:[0,0,1]
	v_pk_fma_f32 v[28:29], v[28:29], v[34:35], v[28:29] op_sel:[1,0,0] op_sel_hi:[0,1,1] neg_lo:[1,0,0] neg_hi:[1,0,0]
	v_div_fixup_f32 v30, v31, v30, 1.0
	s_delay_alu instid0(VALU_DEP_3) | instskip(NEXT) | instid1(VALU_DEP_1)
	v_mov_b32_e32 v29, v37
                                        ; implicit-def: $vgpr37
	v_pk_mul_f32 v[34:35], v[28:29], v[30:31] op_sel_hi:[1,0]
                                        ; implicit-def: $vgpr28_vgpr29
.LBB52_74:                              ;   in Loop: Header=BB52_4 Depth=1
	s_and_not1_saveexec_b32 s34, s6
	s_cbranch_execz .LBB52_76
; %bb.75:                               ;   in Loop: Header=BB52_4 Depth=1
	v_div_scale_f32 v30, null, v38, v38, v28
	v_div_scale_f32 v31, null, v37, v37, v29
	v_div_scale_f32 v40, vcc_lo, v28, v38, v28
	s_delay_alu instid0(VALU_DEP_3) | instskip(NEXT) | instid1(VALU_DEP_2)
	v_rcp_f32_e32 v34, v30
	v_rcp_f32_e32 v35, v31
	s_delay_alu instid0(TRANS32_DEP_2) | instskip(NEXT) | instid1(TRANS32_DEP_1)
	v_fma_f32 v36, -v30, v34, 1.0
	v_fma_f32 v39, -v31, v35, 1.0
	s_delay_alu instid0(VALU_DEP_1) | instskip(SKIP_1) | instid1(VALU_DEP_1)
	v_dual_fmac_f32 v34, v36, v34 :: v_dual_fmac_f32 v35, v39, v35
	v_div_scale_f32 v36, s6, v29, v37, v29
	v_mul_f32_e32 v41, v36, v35
	s_delay_alu instid0(VALU_DEP_1) | instskip(NEXT) | instid1(VALU_DEP_1)
	v_dual_mul_f32 v39, v40, v34 :: v_dual_fma_f32 v43, -v31, v41, v36
	v_fma_f32 v42, -v30, v39, v40
	s_delay_alu instid0(VALU_DEP_1) | instskip(NEXT) | instid1(VALU_DEP_1)
	v_dual_fmac_f32 v39, v42, v34 :: v_dual_fmac_f32 v41, v43, v35
	v_fma_f32 v30, -v30, v39, v40
	s_delay_alu instid0(VALU_DEP_2) | instskip(NEXT) | instid1(VALU_DEP_2)
	v_fma_f32 v31, -v31, v41, v36
	v_div_fmas_f32 v30, v30, v34, v39
	s_mov_b32 vcc_lo, s6
	s_delay_alu instid0(VALU_DEP_2) | instskip(NEXT) | instid1(VALU_DEP_2)
	v_div_fmas_f32 v31, v31, v35, v41
	v_div_fixup_f32 v34, v30, v38, v28
	s_delay_alu instid0(VALU_DEP_2)
	v_div_fixup_f32 v35, v31, v37, v29
.LBB52_76:                              ;   in Loop: Header=BB52_4 Depth=1
	s_or_b32 exec_lo, exec_lo, s34
                                        ; implicit-def: $vgpr31
                                        ; implicit-def: $vgpr28_vgpr29
.LBB52_77:                              ;   in Loop: Header=BB52_4 Depth=1
	s_and_not1_saveexec_b32 s6, s7
	s_cbranch_execz .LBB52_79
; %bb.78:                               ;   in Loop: Header=BB52_4 Depth=1
	v_div_scale_f32 v34, null, v31, v31, v30
	v_div_scale_f32 v37, vcc_lo, v30, v31, v30
	s_delay_alu instid0(VALU_DEP_2) | instskip(SKIP_1) | instid1(TRANS32_DEP_1)
	v_rcp_f32_e32 v35, v34
	v_nop
	v_fma_f32 v36, -v34, v35, 1.0
	s_delay_alu instid0(VALU_DEP_1) | instskip(NEXT) | instid1(VALU_DEP_1)
	v_fmac_f32_e32 v35, v36, v35
	v_mul_f32_e32 v36, v37, v35
	s_delay_alu instid0(VALU_DEP_1) | instskip(NEXT) | instid1(VALU_DEP_1)
	v_fma_f32 v38, -v34, v36, v37
	v_fmac_f32_e32 v36, v38, v35
	s_delay_alu instid0(VALU_DEP_1) | instskip(NEXT) | instid1(VALU_DEP_1)
	v_fma_f32 v34, -v34, v36, v37
	v_div_fmas_f32 v34, v34, v35, v36
	s_delay_alu instid0(VALU_DEP_1) | instskip(NEXT) | instid1(VALU_DEP_1)
	v_div_fixup_f32 v34, v34, v31, v30
	v_fmac_f32_e32 v31, v30, v34
	s_delay_alu instid0(VALU_DEP_1) | instskip(SKIP_1) | instid1(VALU_DEP_2)
	v_div_scale_f32 v30, null, v31, v31, 1.0
	v_div_scale_f32 v37, vcc_lo, 1.0, v31, 1.0
	v_rcp_f32_e32 v35, v30
	v_nop
	s_delay_alu instid0(TRANS32_DEP_1) | instskip(NEXT) | instid1(VALU_DEP_1)
	v_fma_f32 v36, -v30, v35, 1.0
	v_fmac_f32_e32 v35, v36, v35
	s_delay_alu instid0(VALU_DEP_1) | instskip(NEXT) | instid1(VALU_DEP_1)
	v_mul_f32_e32 v36, v37, v35
	v_fma_f32 v38, -v30, v36, v37
	s_delay_alu instid0(VALU_DEP_1) | instskip(NEXT) | instid1(VALU_DEP_1)
	v_fmac_f32_e32 v36, v38, v35
	v_fma_f32 v30, -v30, v36, v37
	s_delay_alu instid0(VALU_DEP_1) | instskip(SKIP_2) | instid1(VALU_DEP_3)
	v_div_fmas_f32 v30, v30, v35, v36
	v_pk_fma_f32 v[36:37], v[28:29], v[34:35], v[28:29] op_sel:[0,0,1] op_sel_hi:[1,0,0]
	v_pk_fma_f32 v[28:29], v[28:29], v[34:35], v[28:29] op_sel:[0,0,1] op_sel_hi:[1,1,0] neg_lo:[0,0,1] neg_hi:[0,0,1]
	v_div_fixup_f32 v30, v30, v31, 1.0
	s_delay_alu instid0(VALU_DEP_3) | instskip(NEXT) | instid1(VALU_DEP_1)
	v_mov_b32_e32 v29, v37
	v_pk_mul_f32 v[34:35], v[28:29], v[30:31] op_sel_hi:[1,0]
.LBB52_79:                              ;   in Loop: Header=BB52_4 Depth=1
	s_or_b32 exec_lo, exec_lo, s6
.LBB52_80:                              ;   in Loop: Header=BB52_4 Depth=1
	v_cmp_gt_f32_e32 vcc_lo, 0, v24
	s_mov_b32 s7, -1
                                        ; implicit-def: $vgpr29
	v_cndmask_b32_e64 v31, v24, -v24, vcc_lo
	v_cmp_gt_f32_e32 vcc_lo, 0, v25
	v_cndmask_b32_e64 v36, v25, -v25, vcc_lo
	s_and_not1_b32 vcc_lo, exec_lo, s33
	s_delay_alu instid0(VALU_DEP_1)
	v_cmp_ge_f32_e64 s6, v31, v36
	s_cbranch_vccz .LBB52_86
; %bb.81:                               ;   in Loop: Header=BB52_4 Depth=1
	s_and_b32 vcc_lo, exec_lo, s7
	s_cbranch_vccnz .LBB52_95
.LBB52_82:                              ;   in Loop: Header=BB52_4 Depth=1
	s_and_saveexec_b32 s6, s2
	s_delay_alu instid0(SALU_CYCLE_1)
	s_xor_b32 s2, exec_lo, s6
	s_cbranch_execnz .LBB52_104
.LBB52_83:                              ;   in Loop: Header=BB52_4 Depth=1
	s_or_b32 exec_lo, exec_lo, s2
	s_and_saveexec_b32 s2, s3
	s_cbranch_execnz .LBB52_105
.LBB52_84:                              ;   in Loop: Header=BB52_4 Depth=1
	s_or_b32 exec_lo, exec_lo, s2
	s_and_saveexec_b32 s2, s4
	s_cbranch_execnz .LBB52_106
.LBB52_85:                              ;   in Loop: Header=BB52_4 Depth=1
	s_or_b32 exec_lo, exec_lo, s2
	s_and_saveexec_b32 s2, s5
	s_cbranch_execz .LBB52_3
	s_branch .LBB52_107
.LBB52_86:                              ;   in Loop: Header=BB52_4 Depth=1
                                        ; implicit-def: $vgpr30
                                        ; implicit-def: $vgpr28
	s_and_saveexec_b32 s7, s6
	s_delay_alu instid0(SALU_CYCLE_1)
	s_xor_b32 s34, exec_lo, s7
	s_cbranch_execz .LBB52_92
; %bb.87:                               ;   in Loop: Header=BB52_4 Depth=1
	v_cmp_neq_f32_e32 vcc_lo, 0, v24
	v_cmp_neq_f32_e64 s7, 0, v25
                                        ; implicit-def: $vgpr30
                                        ; implicit-def: $vgpr28
	s_or_b32 s7, s7, vcc_lo
	s_delay_alu instid0(SALU_CYCLE_1) | instskip(NEXT) | instid1(SALU_CYCLE_1)
	s_and_saveexec_b32 s35, s7
	s_xor_b32 s7, exec_lo, s35
	s_cbranch_execz .LBB52_89
; %bb.88:                               ;   in Loop: Header=BB52_4 Depth=1
	v_div_scale_f32 v28, null, v24, v24, v25
	v_div_scale_f32 v37, vcc_lo, v25, v24, v25
	s_delay_alu instid0(VALU_DEP_2) | instskip(SKIP_1) | instid1(TRANS32_DEP_1)
	v_rcp_f32_e32 v29, v28
	v_nop
	v_fma_f32 v30, -v28, v29, 1.0
	s_delay_alu instid0(VALU_DEP_1) | instskip(NEXT) | instid1(VALU_DEP_1)
	v_fmac_f32_e32 v29, v30, v29
	v_mul_f32_e32 v30, v37, v29
	s_delay_alu instid0(VALU_DEP_1) | instskip(NEXT) | instid1(VALU_DEP_1)
	v_fma_f32 v38, -v28, v30, v37
	v_fmac_f32_e32 v30, v38, v29
	s_delay_alu instid0(VALU_DEP_1) | instskip(NEXT) | instid1(VALU_DEP_1)
	v_fma_f32 v28, -v28, v30, v37
	v_div_fmas_f32 v28, v28, v29, v30
	s_delay_alu instid0(VALU_DEP_1) | instskip(NEXT) | instid1(VALU_DEP_1)
	v_div_fixup_f32 v28, v28, v24, v25
	v_fma_f32 v29, v25, v28, v24
	s_delay_alu instid0(VALU_DEP_1) | instskip(SKIP_1) | instid1(VALU_DEP_2)
	v_div_scale_f32 v30, null, v29, v29, 1.0
	v_div_scale_f32 v39, vcc_lo, 1.0, v29, 1.0
	v_rcp_f32_e32 v37, v30
	v_nop
	s_delay_alu instid0(TRANS32_DEP_1) | instskip(NEXT) | instid1(VALU_DEP_1)
	v_fma_f32 v38, -v30, v37, 1.0
	v_fmac_f32_e32 v37, v38, v37
	s_delay_alu instid0(VALU_DEP_1) | instskip(NEXT) | instid1(VALU_DEP_1)
	v_mul_f32_e32 v38, v39, v37
	v_fma_f32 v40, -v30, v38, v39
	s_delay_alu instid0(VALU_DEP_1) | instskip(NEXT) | instid1(VALU_DEP_1)
	v_fmac_f32_e32 v38, v40, v37
	v_fma_f32 v30, -v30, v38, v39
	s_delay_alu instid0(VALU_DEP_1) | instskip(SKIP_1) | instid1(VALU_DEP_2)
	v_div_fmas_f32 v30, v30, v37, v38
	v_fma_f32 v37, v22, v28, v23
	v_div_fixup_f32 v29, v30, v29, 1.0
	s_delay_alu instid0(VALU_DEP_1) | instskip(NEXT) | instid1(VALU_DEP_1)
	v_dual_fma_f32 v30, -v23, v28, v22 :: v_dual_mul_f32 v28, v37, v29
	v_mul_f32_e32 v30, v30, v29
.LBB52_89:                              ;   in Loop: Header=BB52_4 Depth=1
	s_and_not1_saveexec_b32 s35, s7
	s_cbranch_execz .LBB52_91
; %bb.90:                               ;   in Loop: Header=BB52_4 Depth=1
	v_div_scale_f32 v28, null, v31, v31, v23
	v_div_scale_f32 v29, null, v36, v36, v22
	v_div_scale_f32 v40, vcc_lo, v23, v31, v23
	s_delay_alu instid0(VALU_DEP_3) | instskip(NEXT) | instid1(VALU_DEP_2)
	v_rcp_f32_e32 v30, v28
	v_rcp_f32_e32 v37, v29
	s_delay_alu instid0(TRANS32_DEP_2) | instskip(NEXT) | instid1(TRANS32_DEP_1)
	v_fma_f32 v38, -v28, v30, 1.0
	v_fma_f32 v39, -v29, v37, 1.0
	s_delay_alu instid0(VALU_DEP_1) | instskip(SKIP_1) | instid1(VALU_DEP_1)
	v_dual_fmac_f32 v30, v38, v30 :: v_dual_fmac_f32 v37, v39, v37
	v_div_scale_f32 v38, s7, v22, v36, v22
	v_dual_mul_f32 v39, v40, v30 :: v_dual_mul_f32 v41, v38, v37
	s_delay_alu instid0(VALU_DEP_1) | instskip(NEXT) | instid1(VALU_DEP_1)
	v_dual_fma_f32 v42, -v28, v39, v40 :: v_dual_fma_f32 v43, -v29, v41, v38
	v_dual_fmac_f32 v39, v42, v30 :: v_dual_fmac_f32 v41, v43, v37
	s_delay_alu instid0(VALU_DEP_1) | instskip(NEXT) | instid1(VALU_DEP_1)
	v_dual_fma_f32 v28, -v28, v39, v40 :: v_dual_fma_f32 v29, -v29, v41, v38
	v_div_fmas_f32 v28, v28, v30, v39
	s_mov_b32 vcc_lo, s7
	s_delay_alu instid0(VALU_DEP_2) | instskip(NEXT) | instid1(VALU_DEP_2)
	v_div_fmas_f32 v29, v29, v37, v41
	v_div_fixup_f32 v28, v28, v31, v23
	s_delay_alu instid0(VALU_DEP_2)
	v_div_fixup_f32 v30, v29, v36, v22
.LBB52_91:                              ;   in Loop: Header=BB52_4 Depth=1
	s_or_b32 exec_lo, exec_lo, s35
.LBB52_92:                              ;   in Loop: Header=BB52_4 Depth=1
	s_and_not1_saveexec_b32 s7, s34
	s_cbranch_execz .LBB52_94
; %bb.93:                               ;   in Loop: Header=BB52_4 Depth=1
	v_div_scale_f32 v28, null, v25, v25, v24
	v_div_scale_f32 v37, vcc_lo, v24, v25, v24
	s_delay_alu instid0(VALU_DEP_2) | instskip(SKIP_1) | instid1(TRANS32_DEP_1)
	v_rcp_f32_e32 v29, v28
	v_nop
	v_fma_f32 v30, -v28, v29, 1.0
	s_delay_alu instid0(VALU_DEP_1) | instskip(NEXT) | instid1(VALU_DEP_1)
	v_fmac_f32_e32 v29, v30, v29
	v_mul_f32_e32 v30, v37, v29
	s_delay_alu instid0(VALU_DEP_1) | instskip(NEXT) | instid1(VALU_DEP_1)
	v_fma_f32 v38, -v28, v30, v37
	v_fmac_f32_e32 v30, v38, v29
	s_delay_alu instid0(VALU_DEP_1) | instskip(NEXT) | instid1(VALU_DEP_1)
	v_fma_f32 v28, -v28, v30, v37
	v_div_fmas_f32 v28, v28, v29, v30
	s_delay_alu instid0(VALU_DEP_1) | instskip(NEXT) | instid1(VALU_DEP_1)
	v_div_fixup_f32 v28, v28, v25, v24
	v_fma_f32 v29, v24, v28, v25
	s_delay_alu instid0(VALU_DEP_1) | instskip(SKIP_1) | instid1(VALU_DEP_2)
	v_div_scale_f32 v30, null, v29, v29, 1.0
	v_div_scale_f32 v39, vcc_lo, 1.0, v29, 1.0
	v_rcp_f32_e32 v37, v30
	v_nop
	s_delay_alu instid0(TRANS32_DEP_1) | instskip(NEXT) | instid1(VALU_DEP_1)
	v_fma_f32 v38, -v30, v37, 1.0
	v_fmac_f32_e32 v37, v38, v37
	s_delay_alu instid0(VALU_DEP_1) | instskip(NEXT) | instid1(VALU_DEP_1)
	v_mul_f32_e32 v38, v39, v37
	v_fma_f32 v40, -v30, v38, v39
	s_delay_alu instid0(VALU_DEP_1) | instskip(NEXT) | instid1(VALU_DEP_1)
	v_fmac_f32_e32 v38, v40, v37
	v_fma_f32 v30, -v30, v38, v39
	s_delay_alu instid0(VALU_DEP_1) | instskip(SKIP_1) | instid1(VALU_DEP_2)
	v_div_fmas_f32 v30, v30, v37, v38
	v_fma_f32 v37, v23, v28, v22
	v_div_fixup_f32 v29, v30, v29, 1.0
	s_delay_alu instid0(VALU_DEP_1) | instskip(NEXT) | instid1(VALU_DEP_1)
	v_dual_fma_f32 v30, v22, v28, -v23 :: v_dual_mul_f32 v28, v37, v29
	v_mul_f32_e32 v30, v30, v29
.LBB52_94:                              ;   in Loop: Header=BB52_4 Depth=1
	s_or_b32 exec_lo, exec_lo, s7
	v_mov_b64_e32 v[38:39], s[12:13]
	v_mov_b64_e32 v[40:41], s[22:23]
	s_delay_alu instid0(VALU_DEP_2) | instskip(NEXT) | instid1(VALU_DEP_2)
	v_pk_mul_f32 v[38:39], v[30:31], v[38:39] op_sel_hi:[0,1]
	v_pk_mul_f32 v[42:43], v[28:29], v[40:41] op_sel_hi:[0,1]
	s_delay_alu instid0(VALU_DEP_2) | instskip(NEXT) | instid1(VALU_DEP_2)
	v_pk_fma_f32 v[28:29], v[28:29], v[40:41], v[38:39] op_sel_hi:[0,1,1] neg_lo:[0,0,1] neg_hi:[0,0,1]
	v_add_f32_e32 v28, v42, v38
	s_branch .LBB52_82
.LBB52_95:                              ;   in Loop: Header=BB52_4 Depth=1
                                        ; implicit-def: $vgpr29
	s_and_saveexec_b32 s7, s6
	s_delay_alu instid0(SALU_CYCLE_1)
	s_xor_b32 s7, exec_lo, s7
	s_cbranch_execz .LBB52_101
; %bb.96:                               ;   in Loop: Header=BB52_4 Depth=1
	v_cmp_neq_f32_e32 vcc_lo, 0, v24
	v_cmp_neq_f32_e64 s6, 0, v25
                                        ; implicit-def: $vgpr29
	s_or_b32 s6, s6, vcc_lo
	s_delay_alu instid0(SALU_CYCLE_1) | instskip(NEXT) | instid1(SALU_CYCLE_1)
	s_and_saveexec_b32 s34, s6
	s_xor_b32 s6, exec_lo, s34
	s_cbranch_execz .LBB52_98
; %bb.97:                               ;   in Loop: Header=BB52_4 Depth=1
	v_div_scale_f32 v28, null, v24, v24, v25
	v_div_scale_f32 v31, vcc_lo, v25, v24, v25
	s_delay_alu instid0(VALU_DEP_2) | instskip(SKIP_1) | instid1(TRANS32_DEP_1)
	v_rcp_f32_e32 v29, v28
	v_nop
	v_fma_f32 v30, -v28, v29, 1.0
	s_delay_alu instid0(VALU_DEP_1) | instskip(NEXT) | instid1(VALU_DEP_1)
	v_fmac_f32_e32 v29, v30, v29
	v_mul_f32_e32 v30, v31, v29
	s_delay_alu instid0(VALU_DEP_1) | instskip(NEXT) | instid1(VALU_DEP_1)
	v_fma_f32 v36, -v28, v30, v31
	v_fmac_f32_e32 v30, v36, v29
	s_delay_alu instid0(VALU_DEP_1) | instskip(NEXT) | instid1(VALU_DEP_1)
	v_fma_f32 v28, -v28, v30, v31
	v_div_fmas_f32 v28, v28, v29, v30
	s_delay_alu instid0(VALU_DEP_1) | instskip(NEXT) | instid1(VALU_DEP_1)
	v_div_fixup_f32 v28, v28, v24, v25
	v_fmac_f32_e32 v24, v25, v28
	s_delay_alu instid0(VALU_DEP_1) | instskip(SKIP_1) | instid1(VALU_DEP_2)
	v_div_scale_f32 v25, null, v24, v24, 1.0
	v_div_scale_f32 v31, vcc_lo, 1.0, v24, 1.0
	v_rcp_f32_e32 v29, v25
	v_nop
	s_delay_alu instid0(TRANS32_DEP_1) | instskip(NEXT) | instid1(VALU_DEP_1)
	v_fma_f32 v30, -v25, v29, 1.0
	v_fmac_f32_e32 v29, v30, v29
	s_delay_alu instid0(VALU_DEP_1) | instskip(NEXT) | instid1(VALU_DEP_1)
	v_mul_f32_e32 v30, v31, v29
	v_fma_f32 v36, -v25, v30, v31
	s_delay_alu instid0(VALU_DEP_1) | instskip(NEXT) | instid1(VALU_DEP_1)
	v_fmac_f32_e32 v30, v36, v29
                                        ; implicit-def: $vgpr36
	v_fma_f32 v25, -v25, v30, v31
	s_delay_alu instid0(VALU_DEP_1) | instskip(SKIP_2) | instid1(VALU_DEP_3)
	v_div_fmas_f32 v25, v25, v29, v30
	v_pk_fma_f32 v[30:31], v[22:23], v[28:29], v[22:23] op_sel:[1,0,0] op_sel_hi:[0,0,1]
	v_pk_fma_f32 v[22:23], v[22:23], v[28:29], v[22:23] op_sel:[1,0,0] op_sel_hi:[0,1,1] neg_lo:[1,0,0] neg_hi:[1,0,0]
	v_div_fixup_f32 v24, v25, v24, 1.0
	s_delay_alu instid0(VALU_DEP_3) | instskip(NEXT) | instid1(VALU_DEP_1)
	v_mov_b32_e32 v23, v31
                                        ; implicit-def: $vgpr31
	v_pk_mul_f32 v[28:29], v[22:23], v[24:25] op_sel_hi:[1,0]
                                        ; implicit-def: $vgpr22_vgpr23
.LBB52_98:                              ;   in Loop: Header=BB52_4 Depth=1
	s_and_not1_saveexec_b32 s34, s6
	s_cbranch_execz .LBB52_100
; %bb.99:                               ;   in Loop: Header=BB52_4 Depth=1
	v_div_scale_f32 v24, null, v36, v36, v22
	v_div_scale_f32 v25, null, v31, v31, v23
	v_div_scale_f32 v38, vcc_lo, v22, v36, v22
	s_delay_alu instid0(VALU_DEP_3) | instskip(NEXT) | instid1(VALU_DEP_2)
	v_rcp_f32_e32 v28, v24
	v_rcp_f32_e32 v29, v25
	s_delay_alu instid0(TRANS32_DEP_2) | instskip(NEXT) | instid1(TRANS32_DEP_1)
	v_fma_f32 v30, -v24, v28, 1.0
	v_fma_f32 v37, -v25, v29, 1.0
	s_delay_alu instid0(VALU_DEP_1) | instskip(SKIP_1) | instid1(VALU_DEP_1)
	v_dual_fmac_f32 v28, v30, v28 :: v_dual_fmac_f32 v29, v37, v29
	v_div_scale_f32 v30, s6, v23, v31, v23
	v_mul_f32_e32 v39, v30, v29
	s_delay_alu instid0(VALU_DEP_1) | instskip(NEXT) | instid1(VALU_DEP_1)
	v_dual_mul_f32 v37, v38, v28 :: v_dual_fma_f32 v41, -v25, v39, v30
	v_fma_f32 v40, -v24, v37, v38
	s_delay_alu instid0(VALU_DEP_1) | instskip(NEXT) | instid1(VALU_DEP_1)
	v_dual_fmac_f32 v37, v40, v28 :: v_dual_fmac_f32 v39, v41, v29
	v_fma_f32 v24, -v24, v37, v38
	s_delay_alu instid0(VALU_DEP_2) | instskip(NEXT) | instid1(VALU_DEP_2)
	v_fma_f32 v25, -v25, v39, v30
	v_div_fmas_f32 v24, v24, v28, v37
	s_mov_b32 vcc_lo, s6
	s_delay_alu instid0(VALU_DEP_2) | instskip(NEXT) | instid1(VALU_DEP_2)
	v_div_fmas_f32 v25, v25, v29, v39
	v_div_fixup_f32 v28, v24, v36, v22
	s_delay_alu instid0(VALU_DEP_2)
	v_div_fixup_f32 v29, v25, v31, v23
.LBB52_100:                             ;   in Loop: Header=BB52_4 Depth=1
	s_or_b32 exec_lo, exec_lo, s34
                                        ; implicit-def: $vgpr25
                                        ; implicit-def: $vgpr22_vgpr23
.LBB52_101:                             ;   in Loop: Header=BB52_4 Depth=1
	s_and_not1_saveexec_b32 s6, s7
	s_cbranch_execz .LBB52_103
; %bb.102:                              ;   in Loop: Header=BB52_4 Depth=1
	v_div_scale_f32 v28, null, v25, v25, v24
	v_div_scale_f32 v31, vcc_lo, v24, v25, v24
	s_delay_alu instid0(VALU_DEP_2) | instskip(SKIP_1) | instid1(TRANS32_DEP_1)
	v_rcp_f32_e32 v29, v28
	v_nop
	v_fma_f32 v30, -v28, v29, 1.0
	s_delay_alu instid0(VALU_DEP_1) | instskip(NEXT) | instid1(VALU_DEP_1)
	v_fmac_f32_e32 v29, v30, v29
	v_mul_f32_e32 v30, v31, v29
	s_delay_alu instid0(VALU_DEP_1) | instskip(NEXT) | instid1(VALU_DEP_1)
	v_fma_f32 v36, -v28, v30, v31
	v_fmac_f32_e32 v30, v36, v29
	s_delay_alu instid0(VALU_DEP_1) | instskip(NEXT) | instid1(VALU_DEP_1)
	v_fma_f32 v28, -v28, v30, v31
	v_div_fmas_f32 v28, v28, v29, v30
	s_delay_alu instid0(VALU_DEP_1) | instskip(NEXT) | instid1(VALU_DEP_1)
	v_div_fixup_f32 v28, v28, v25, v24
	v_fmac_f32_e32 v25, v24, v28
	s_delay_alu instid0(VALU_DEP_1) | instskip(SKIP_1) | instid1(VALU_DEP_2)
	v_div_scale_f32 v24, null, v25, v25, 1.0
	v_div_scale_f32 v31, vcc_lo, 1.0, v25, 1.0
	v_rcp_f32_e32 v29, v24
	v_nop
	s_delay_alu instid0(TRANS32_DEP_1) | instskip(NEXT) | instid1(VALU_DEP_1)
	v_fma_f32 v30, -v24, v29, 1.0
	v_fmac_f32_e32 v29, v30, v29
	s_delay_alu instid0(VALU_DEP_1) | instskip(NEXT) | instid1(VALU_DEP_1)
	v_mul_f32_e32 v30, v31, v29
	v_fma_f32 v36, -v24, v30, v31
	s_delay_alu instid0(VALU_DEP_1) | instskip(NEXT) | instid1(VALU_DEP_1)
	v_fmac_f32_e32 v30, v36, v29
	v_fma_f32 v24, -v24, v30, v31
	s_delay_alu instid0(VALU_DEP_1) | instskip(SKIP_2) | instid1(VALU_DEP_3)
	v_div_fmas_f32 v24, v24, v29, v30
	v_pk_fma_f32 v[30:31], v[22:23], v[28:29], v[22:23] op_sel:[0,0,1] op_sel_hi:[1,0,0]
	v_pk_fma_f32 v[22:23], v[22:23], v[28:29], v[22:23] op_sel:[0,0,1] op_sel_hi:[1,1,0] neg_lo:[0,0,1] neg_hi:[0,0,1]
	v_div_fixup_f32 v24, v24, v25, 1.0
	s_delay_alu instid0(VALU_DEP_3) | instskip(NEXT) | instid1(VALU_DEP_1)
	v_mov_b32_e32 v23, v31
	v_pk_mul_f32 v[28:29], v[22:23], v[24:25] op_sel_hi:[1,0]
.LBB52_103:                             ;   in Loop: Header=BB52_4 Depth=1
	s_or_b32 exec_lo, exec_lo, s6
	s_and_saveexec_b32 s6, s2
	s_delay_alu instid0(SALU_CYCLE_1)
	s_xor_b32 s2, exec_lo, s6
	s_cbranch_execz .LBB52_83
.LBB52_104:                             ;   in Loop: Header=BB52_4 Depth=1
	v_dual_add_f32 v8, v8, v27 :: v_dual_add_f32 v9, v9, v26
	v_lshl_add_u64 v[6:7], v[6:7], 3, s[10:11]
	global_store_b64 v[6:7], v[8:9], off
	s_wait_xcnt 0x0
	s_or_b32 exec_lo, exec_lo, s2
	s_and_saveexec_b32 s2, s3
	s_cbranch_execz .LBB52_84
.LBB52_105:                             ;   in Loop: Header=BB52_4 Depth=1
	v_dual_add_f32 v6, v10, v33 :: v_dual_add_f32 v7, v11, v32
	v_lshl_add_u64 v[8:9], v[12:13], 3, s[10:11]
	global_store_b64 v[8:9], v[6:7], off
	s_wait_xcnt 0x0
	s_or_b32 exec_lo, exec_lo, s2
	s_and_saveexec_b32 s2, s4
	s_cbranch_execz .LBB52_85
.LBB52_106:                             ;   in Loop: Header=BB52_4 Depth=1
	v_dual_add_f32 v6, v14, v35 :: v_dual_add_f32 v7, v15, v34
	v_lshl_add_u64 v[8:9], v[16:17], 3, s[10:11]
	global_store_b64 v[8:9], v[6:7], off
	s_wait_xcnt 0x0
	s_or_b32 exec_lo, exec_lo, s2
	s_and_saveexec_b32 s2, s5
	s_cbranch_execz .LBB52_3
.LBB52_107:                             ;   in Loop: Header=BB52_4 Depth=1
	v_dual_add_f32 v6, v18, v29 :: v_dual_add_f32 v7, v19, v28
	v_lshl_add_u64 v[8:9], v[20:21], 3, s[10:11]
	global_store_b64 v[8:9], v[6:7], off
	s_branch .LBB52_3
.LBB52_108:
	s_mov_b32 s2, 0
.LBB52_109:
	s_delay_alu instid0(SALU_CYCLE_1)
	s_and_not1_b32 vcc_lo, exec_lo, s2
	s_cbranch_vccnz .LBB52_193
; %bb.110:
	v_min_i64 v[26:27], 0x10000, s[18:19]
	v_dual_mov_b32 v29, 0 :: v_dual_lshlrev_b32 v28, 2, v0
	s_mov_b32 s2, exec_lo
	s_delay_alu instid0(VALU_DEP_1)
	v_cmpx_lt_i64_e64 v[28:29], v[26:27]
	s_cbranch_execz .LBB52_193
; %bb.111:
	s_load_b32 s0, s[0:1], 0xc04
	s_cmp_neq_f32 s12, 1.0
	v_dual_mov_b32 v1, v29 :: v_dual_lshlrev_b32 v28, 5, v0
	s_mov_b32 s3, 0
	s_wait_xcnt 0x0
	s_cselect_b32 s1, -1, 0
	s_and_b32 s2, s13, 0x7fffffff
	s_mov_b32 s4, s13
	s_cmp_lg_u32 s2, 0
	s_mov_b32 s5, s12
	s_cselect_b32 s6, -1, 0
	s_mov_b32 s7, s3
	s_or_b32 s18, s1, s6
	s_mov_b32 s19, s3
	s_wait_kmcnt 0x0
	s_and_b32 s2, s0, 0xffff
	s_delay_alu instid0(SALU_CYCLE_1)
	s_lshl_b32 s6, s2, 5
	s_branch .LBB52_114
.LBB52_112:                             ;   in Loop: Header=BB52_114 Depth=1
	s_or_b32 exec_lo, exec_lo, s0
.LBB52_113:                             ;   in Loop: Header=BB52_114 Depth=1
	v_add_nc_u64_e32 v[0:1], s[2:3], v[0:1]
	s_wait_loadcnt 0x0
	v_dual_add_f32 v8, v8, v18 :: v_dual_add_f32 v9, v9, v19
	v_dual_add_f32 v6, v6, v30 :: v_dual_add_f32 v7, v7, v31
	;; [unrolled: 1-line block ×3, first 2 shown]
	s_delay_alu instid0(VALU_DEP_4) | instskip(SKIP_4) | instid1(VALU_DEP_2)
	v_lshlrev_b64_e32 v[12:13], 2, v[0:1]
	v_dual_add_f32 v4, v4, v10 :: v_dual_add_f32 v5, v5, v11
	s_add_nc_u64 s[16:17], s[16:17], s[6:7]
	s_add_nc_u64 s[8:9], s[8:9], s[6:7]
	;; [unrolled: 1-line block ×3, first 2 shown]
	v_cmp_ge_i64_e32 vcc_lo, v[12:13], v[26:27]
	v_add_nc_u64_e32 v[12:13], s[10:11], v[28:29]
	s_add_nc_u64 s[10:11], s[10:11], s[6:7]
	s_clause 0x1
	global_store_b128 v[12:13], v[6:9], off
	global_store_b128 v[12:13], v[2:5], off offset:16
	s_or_b32 s19, vcc_lo, s19
	s_wait_xcnt 0x0
	s_and_not1_b32 exec_lo, exec_lo, s19
	s_cbranch_execz .LBB52_193
.LBB52_114:                             ; =>This Inner Loop Header: Depth=1
	v_add_nc_u64_e32 v[30:31], s[8:9], v[28:29]
	v_add_nc_u64_e32 v[32:33], s[16:17], v[28:29]
	;; [unrolled: 1-line block ×3, first 2 shown]
	s_mov_b32 s1, -1
	s_clause 0x1
	global_load_b128 v[22:25], v[30:31], off
	global_load_b128 v[14:17], v[30:31], off offset:16
	s_clause 0x1
	global_load_b128 v[2:5], v[32:33], off offset:16
	global_load_b128 v[6:9], v[32:33], off
	s_clause 0x1
	global_load_b128 v[10:13], v[34:35], off offset:16
	global_load_b128 v[18:21], v[34:35], off
                                        ; implicit-def: $vgpr31
	s_wait_loadcnt 0x5
	v_cmp_gt_f32_e32 vcc_lo, 0, v23
	s_wait_xcnt 0x2
	v_cndmask_b32_e64 v33, v23, -v23, vcc_lo
	v_cmp_gt_f32_e32 vcc_lo, 0, v22
	s_wait_xcnt 0x0
	v_cndmask_b32_e64 v34, v22, -v22, vcc_lo
	s_and_b32 vcc_lo, exec_lo, s18
	s_delay_alu instid0(VALU_DEP_1)
	v_cmp_ge_f32_e64 s0, v34, v33
	s_cbranch_vccz .LBB52_124
; %bb.115:                              ;   in Loop: Header=BB52_114 Depth=1
                                        ; implicit-def: $vgpr32
                                        ; implicit-def: $vgpr30
	s_and_saveexec_b32 s1, s0
	s_delay_alu instid0(SALU_CYCLE_1)
	s_xor_b32 s20, exec_lo, s1
	s_cbranch_execz .LBB52_121
; %bb.116:                              ;   in Loop: Header=BB52_114 Depth=1
	v_cmp_neq_f32_e32 vcc_lo, 0, v22
	v_cmp_neq_f32_e64 s1, 0, v23
                                        ; implicit-def: $vgpr32
                                        ; implicit-def: $vgpr30
	s_or_b32 s1, vcc_lo, s1
	s_delay_alu instid0(SALU_CYCLE_1) | instskip(NEXT) | instid1(SALU_CYCLE_1)
	s_and_saveexec_b32 s21, s1
	s_xor_b32 s1, exec_lo, s21
	s_cbranch_execz .LBB52_118
; %bb.117:                              ;   in Loop: Header=BB52_114 Depth=1
	v_div_scale_f32 v30, null, v22, v22, v23
	v_div_scale_f32 v35, vcc_lo, v23, v22, v23
	s_delay_alu instid0(VALU_DEP_2) | instskip(SKIP_1) | instid1(TRANS32_DEP_1)
	v_rcp_f32_e32 v31, v30
	v_nop
	v_fma_f32 v32, -v30, v31, 1.0
	s_delay_alu instid0(VALU_DEP_1) | instskip(NEXT) | instid1(VALU_DEP_1)
	v_fmac_f32_e32 v31, v32, v31
	v_mul_f32_e32 v32, v35, v31
	s_delay_alu instid0(VALU_DEP_1) | instskip(NEXT) | instid1(VALU_DEP_1)
	v_fma_f32 v36, -v30, v32, v35
	v_fmac_f32_e32 v32, v36, v31
	s_delay_alu instid0(VALU_DEP_1) | instskip(NEXT) | instid1(VALU_DEP_1)
	v_fma_f32 v30, -v30, v32, v35
	v_div_fmas_f32 v30, v30, v31, v32
	s_delay_alu instid0(VALU_DEP_1) | instskip(NEXT) | instid1(VALU_DEP_1)
	v_div_fixup_f32 v30, v30, v22, v23
	v_fma_f32 v31, v23, v30, v22
	s_delay_alu instid0(VALU_DEP_1) | instskip(SKIP_1) | instid1(VALU_DEP_2)
	v_div_scale_f32 v32, null, v31, v31, 1.0
	v_div_scale_f32 v37, vcc_lo, 1.0, v31, 1.0
	v_rcp_f32_e32 v35, v32
	v_nop
	s_delay_alu instid0(TRANS32_DEP_1) | instskip(NEXT) | instid1(VALU_DEP_1)
	v_fma_f32 v36, -v32, v35, 1.0
	v_fmac_f32_e32 v35, v36, v35
	s_delay_alu instid0(VALU_DEP_1) | instskip(NEXT) | instid1(VALU_DEP_1)
	v_mul_f32_e32 v36, v37, v35
	v_fma_f32 v38, -v32, v36, v37
	s_delay_alu instid0(VALU_DEP_1) | instskip(NEXT) | instid1(VALU_DEP_1)
	v_fmac_f32_e32 v36, v38, v35
	v_fma_f32 v32, -v32, v36, v37
	s_delay_alu instid0(VALU_DEP_1) | instskip(SKIP_2) | instid1(VALU_DEP_2)
	v_div_fmas_f32 v32, v32, v35, v36
	s_wait_loadcnt 0x0
	v_fma_f32 v35, v19, v30, v18
	v_div_fixup_f32 v31, v32, v31, 1.0
	s_delay_alu instid0(VALU_DEP_1) | instskip(NEXT) | instid1(VALU_DEP_1)
	v_dual_fma_f32 v32, -v18, v30, v19 :: v_dual_mul_f32 v30, v35, v31
	v_mul_f32_e32 v32, v32, v31
.LBB52_118:                             ;   in Loop: Header=BB52_114 Depth=1
	s_and_not1_saveexec_b32 s21, s1
	s_cbranch_execz .LBB52_120
; %bb.119:                              ;   in Loop: Header=BB52_114 Depth=1
	s_wait_loadcnt 0x0
	v_div_scale_f32 v30, null, v34, v34, v18
	v_div_scale_f32 v31, null, v33, v33, v19
	v_div_scale_f32 v38, vcc_lo, v18, v34, v18
	s_delay_alu instid0(VALU_DEP_3) | instskip(NEXT) | instid1(VALU_DEP_2)
	v_rcp_f32_e32 v32, v30
	v_rcp_f32_e32 v35, v31
	s_delay_alu instid0(TRANS32_DEP_2) | instskip(NEXT) | instid1(TRANS32_DEP_1)
	v_fma_f32 v36, -v30, v32, 1.0
	v_fma_f32 v37, -v31, v35, 1.0
	s_delay_alu instid0(VALU_DEP_1) | instskip(SKIP_1) | instid1(VALU_DEP_1)
	v_dual_fmac_f32 v32, v36, v32 :: v_dual_fmac_f32 v35, v37, v35
	v_div_scale_f32 v36, s1, v19, v33, v19
	v_dual_mul_f32 v37, v38, v32 :: v_dual_mul_f32 v39, v36, v35
	s_delay_alu instid0(VALU_DEP_1) | instskip(NEXT) | instid1(VALU_DEP_1)
	v_dual_fma_f32 v40, -v30, v37, v38 :: v_dual_fma_f32 v41, -v31, v39, v36
	v_dual_fmac_f32 v37, v40, v32 :: v_dual_fmac_f32 v39, v41, v35
	s_delay_alu instid0(VALU_DEP_1) | instskip(NEXT) | instid1(VALU_DEP_1)
	v_dual_fma_f32 v30, -v30, v37, v38 :: v_dual_fma_f32 v31, -v31, v39, v36
	v_div_fmas_f32 v30, v30, v32, v37
	s_mov_b32 vcc_lo, s1
	s_delay_alu instid0(VALU_DEP_2) | instskip(NEXT) | instid1(VALU_DEP_2)
	v_div_fmas_f32 v31, v31, v35, v39
	v_div_fixup_f32 v30, v30, v34, v18
	s_delay_alu instid0(VALU_DEP_2)
	v_div_fixup_f32 v32, v31, v33, v19
.LBB52_120:                             ;   in Loop: Header=BB52_114 Depth=1
	s_or_b32 exec_lo, exec_lo, s21
.LBB52_121:                             ;   in Loop: Header=BB52_114 Depth=1
	s_and_not1_saveexec_b32 s1, s20
	s_cbranch_execz .LBB52_123
; %bb.122:                              ;   in Loop: Header=BB52_114 Depth=1
	v_div_scale_f32 v30, null, v23, v23, v22
	v_div_scale_f32 v35, vcc_lo, v22, v23, v22
	s_delay_alu instid0(VALU_DEP_2) | instskip(SKIP_1) | instid1(TRANS32_DEP_1)
	v_rcp_f32_e32 v31, v30
	v_nop
	v_fma_f32 v32, -v30, v31, 1.0
	s_delay_alu instid0(VALU_DEP_1) | instskip(NEXT) | instid1(VALU_DEP_1)
	v_fmac_f32_e32 v31, v32, v31
	v_mul_f32_e32 v32, v35, v31
	s_delay_alu instid0(VALU_DEP_1) | instskip(NEXT) | instid1(VALU_DEP_1)
	v_fma_f32 v36, -v30, v32, v35
	v_fmac_f32_e32 v32, v36, v31
	s_delay_alu instid0(VALU_DEP_1) | instskip(NEXT) | instid1(VALU_DEP_1)
	v_fma_f32 v30, -v30, v32, v35
	v_div_fmas_f32 v30, v30, v31, v32
	s_delay_alu instid0(VALU_DEP_1) | instskip(NEXT) | instid1(VALU_DEP_1)
	v_div_fixup_f32 v30, v30, v23, v22
	v_fma_f32 v31, v22, v30, v23
	s_delay_alu instid0(VALU_DEP_1) | instskip(SKIP_1) | instid1(VALU_DEP_2)
	v_div_scale_f32 v32, null, v31, v31, 1.0
	v_div_scale_f32 v37, vcc_lo, 1.0, v31, 1.0
	v_rcp_f32_e32 v35, v32
	v_nop
	s_delay_alu instid0(TRANS32_DEP_1) | instskip(NEXT) | instid1(VALU_DEP_1)
	v_fma_f32 v36, -v32, v35, 1.0
	v_fmac_f32_e32 v35, v36, v35
	s_delay_alu instid0(VALU_DEP_1) | instskip(NEXT) | instid1(VALU_DEP_1)
	v_mul_f32_e32 v36, v37, v35
	v_fma_f32 v38, -v32, v36, v37
	s_delay_alu instid0(VALU_DEP_1) | instskip(NEXT) | instid1(VALU_DEP_1)
	v_fmac_f32_e32 v36, v38, v35
	v_fma_f32 v32, -v32, v36, v37
	s_delay_alu instid0(VALU_DEP_1) | instskip(SKIP_2) | instid1(VALU_DEP_2)
	v_div_fmas_f32 v32, v32, v35, v36
	s_wait_loadcnt 0x0
	v_fma_f32 v35, v18, v30, v19
	v_div_fixup_f32 v31, v32, v31, 1.0
	v_fma_f32 v32, v19, v30, -v18
	s_delay_alu instid0(VALU_DEP_1)
	v_dual_mul_f32 v30, v35, v31 :: v_dual_mul_f32 v32, v32, v31
.LBB52_123:                             ;   in Loop: Header=BB52_114 Depth=1
	s_or_b32 exec_lo, exec_lo, s1
	v_mov_b64_e32 v[36:37], s[4:5]
	v_mov_b64_e32 v[38:39], s[12:13]
	s_mov_b32 s1, 0
	s_delay_alu instid0(VALU_DEP_2) | instskip(NEXT) | instid1(VALU_DEP_2)
	v_pk_mul_f32 v[36:37], v[32:33], v[36:37] op_sel_hi:[0,1]
	v_pk_mul_f32 v[40:41], v[30:31], v[38:39] op_sel_hi:[0,1]
	s_delay_alu instid0(VALU_DEP_2) | instskip(NEXT) | instid1(VALU_DEP_2)
	v_pk_fma_f32 v[30:31], v[30:31], v[38:39], v[36:37] op_sel_hi:[0,1,1]
	v_sub_f32_e32 v30, v40, v36
.LBB52_124:                             ;   in Loop: Header=BB52_114 Depth=1
	s_and_b32 vcc_lo, exec_lo, s1
	s_cbranch_vccz .LBB52_134
; %bb.125:                              ;   in Loop: Header=BB52_114 Depth=1
                                        ; implicit-def: $vgpr31
	s_and_saveexec_b32 s1, s0
	s_delay_alu instid0(SALU_CYCLE_1)
	s_xor_b32 s1, exec_lo, s1
	s_cbranch_execz .LBB52_131
; %bb.126:                              ;   in Loop: Header=BB52_114 Depth=1
	v_cmp_neq_f32_e32 vcc_lo, 0, v22
	v_cmp_neq_f32_e64 s0, 0, v23
                                        ; implicit-def: $vgpr31
	s_or_b32 s0, vcc_lo, s0
	s_delay_alu instid0(SALU_CYCLE_1) | instskip(NEXT) | instid1(SALU_CYCLE_1)
	s_and_saveexec_b32 s20, s0
	s_xor_b32 s0, exec_lo, s20
	s_cbranch_execz .LBB52_128
; %bb.127:                              ;   in Loop: Header=BB52_114 Depth=1
	v_div_scale_f32 v30, null, v22, v22, v23
	v_div_scale_f32 v33, vcc_lo, v23, v22, v23
	s_delay_alu instid0(VALU_DEP_2) | instskip(SKIP_1) | instid1(TRANS32_DEP_1)
	v_rcp_f32_e32 v31, v30
	v_nop
	v_fma_f32 v32, -v30, v31, 1.0
	s_delay_alu instid0(VALU_DEP_1) | instskip(NEXT) | instid1(VALU_DEP_1)
	v_fmac_f32_e32 v31, v32, v31
	v_mul_f32_e32 v32, v33, v31
	s_delay_alu instid0(VALU_DEP_1) | instskip(NEXT) | instid1(VALU_DEP_1)
	v_fma_f32 v34, -v30, v32, v33
	v_fmac_f32_e32 v32, v34, v31
	s_delay_alu instid0(VALU_DEP_1) | instskip(NEXT) | instid1(VALU_DEP_1)
	v_fma_f32 v30, -v30, v32, v33
	v_div_fmas_f32 v30, v30, v31, v32
	s_delay_alu instid0(VALU_DEP_1) | instskip(NEXT) | instid1(VALU_DEP_1)
	v_div_fixup_f32 v30, v30, v22, v23
	v_fma_f32 v34, v23, v30, v22
	s_delay_alu instid0(VALU_DEP_1) | instskip(SKIP_1) | instid1(VALU_DEP_2)
	v_div_scale_f32 v31, null, v34, v34, 1.0
	v_div_scale_f32 v35, vcc_lo, 1.0, v34, 1.0
	v_rcp_f32_e32 v32, v31
	v_nop
	s_delay_alu instid0(TRANS32_DEP_1) | instskip(NEXT) | instid1(VALU_DEP_1)
	v_fma_f32 v33, -v31, v32, 1.0
	v_fmac_f32_e32 v32, v33, v32
	s_delay_alu instid0(VALU_DEP_1) | instskip(NEXT) | instid1(VALU_DEP_1)
	v_mul_f32_e32 v33, v35, v32
	v_fma_f32 v36, -v31, v33, v35
	s_delay_alu instid0(VALU_DEP_1) | instskip(NEXT) | instid1(VALU_DEP_1)
	v_fmac_f32_e32 v33, v36, v32
	v_fma_f32 v31, -v31, v33, v35
	s_delay_alu instid0(VALU_DEP_1) | instskip(SKIP_3) | instid1(VALU_DEP_3)
	v_div_fmas_f32 v35, v31, v32, v33
	s_wait_loadcnt 0x0
	v_pk_fma_f32 v[32:33], v[18:19], v[30:31], v[18:19] op_sel:[1,0,0] op_sel_hi:[0,0,1] neg_lo:[1,0,0] neg_hi:[1,0,0]
	v_pk_fma_f32 v[30:31], v[18:19], v[30:31], v[18:19] op_sel:[1,0,0] op_sel_hi:[0,0,1]
	v_div_fixup_f32 v32, v35, v34, 1.0
	s_delay_alu instid0(VALU_DEP_3) | instskip(NEXT) | instid1(VALU_DEP_1)
	v_mov_b32_e32 v31, v33
                                        ; implicit-def: $vgpr34
	v_pk_mul_f32 v[30:31], v[30:31], v[32:33] op_sel_hi:[1,0]
                                        ; implicit-def: $vgpr33
.LBB52_128:                             ;   in Loop: Header=BB52_114 Depth=1
	s_and_not1_saveexec_b32 s20, s0
	s_cbranch_execz .LBB52_130
; %bb.129:                              ;   in Loop: Header=BB52_114 Depth=1
	s_wait_loadcnt 0x0
	v_div_scale_f32 v30, null, v34, v34, v18
	v_div_scale_f32 v31, null, v33, v33, v19
	v_div_scale_f32 v38, vcc_lo, v18, v34, v18
	s_delay_alu instid0(VALU_DEP_3) | instskip(NEXT) | instid1(VALU_DEP_2)
	v_rcp_f32_e32 v32, v30
	v_rcp_f32_e32 v35, v31
	s_delay_alu instid0(TRANS32_DEP_2) | instskip(NEXT) | instid1(TRANS32_DEP_1)
	v_fma_f32 v36, -v30, v32, 1.0
	v_fma_f32 v37, -v31, v35, 1.0
	s_delay_alu instid0(VALU_DEP_1) | instskip(SKIP_1) | instid1(VALU_DEP_1)
	v_dual_fmac_f32 v32, v36, v32 :: v_dual_fmac_f32 v35, v37, v35
	v_div_scale_f32 v36, s0, v19, v33, v19
	v_dual_mul_f32 v37, v38, v32 :: v_dual_mul_f32 v39, v36, v35
	s_delay_alu instid0(VALU_DEP_1) | instskip(NEXT) | instid1(VALU_DEP_1)
	v_dual_fma_f32 v40, -v30, v37, v38 :: v_dual_fma_f32 v41, -v31, v39, v36
	v_dual_fmac_f32 v37, v40, v32 :: v_dual_fmac_f32 v39, v41, v35
	s_delay_alu instid0(VALU_DEP_1) | instskip(NEXT) | instid1(VALU_DEP_1)
	v_dual_fma_f32 v30, -v30, v37, v38 :: v_dual_fma_f32 v31, -v31, v39, v36
	v_div_fmas_f32 v30, v30, v32, v37
	s_mov_b32 vcc_lo, s0
	s_delay_alu instid0(VALU_DEP_2) | instskip(NEXT) | instid1(VALU_DEP_2)
	v_div_fmas_f32 v31, v31, v35, v39
	v_div_fixup_f32 v30, v30, v34, v18
	s_delay_alu instid0(VALU_DEP_2)
	v_div_fixup_f32 v31, v31, v33, v19
.LBB52_130:                             ;   in Loop: Header=BB52_114 Depth=1
	s_or_b32 exec_lo, exec_lo, s20
.LBB52_131:                             ;   in Loop: Header=BB52_114 Depth=1
	s_and_not1_saveexec_b32 s0, s1
	s_cbranch_execz .LBB52_133
; %bb.132:                              ;   in Loop: Header=BB52_114 Depth=1
	v_div_scale_f32 v30, null, v23, v23, v22
	v_div_scale_f32 v33, vcc_lo, v22, v23, v22
	s_delay_alu instid0(VALU_DEP_2) | instskip(SKIP_1) | instid1(TRANS32_DEP_1)
	v_rcp_f32_e32 v31, v30
	v_nop
	v_fma_f32 v32, -v30, v31, 1.0
	s_delay_alu instid0(VALU_DEP_1) | instskip(NEXT) | instid1(VALU_DEP_1)
	v_fmac_f32_e32 v31, v32, v31
	v_mul_f32_e32 v32, v33, v31
	s_delay_alu instid0(VALU_DEP_1) | instskip(NEXT) | instid1(VALU_DEP_1)
	v_fma_f32 v34, -v30, v32, v33
	v_fmac_f32_e32 v32, v34, v31
	s_delay_alu instid0(VALU_DEP_1) | instskip(NEXT) | instid1(VALU_DEP_1)
	v_fma_f32 v30, -v30, v32, v33
	v_div_fmas_f32 v30, v30, v31, v32
	s_delay_alu instid0(VALU_DEP_1) | instskip(NEXT) | instid1(VALU_DEP_1)
	v_div_fixup_f32 v30, v30, v23, v22
	v_fma_f32 v31, v22, v30, v23
	s_delay_alu instid0(VALU_DEP_1) | instskip(SKIP_1) | instid1(VALU_DEP_2)
	v_div_scale_f32 v22, null, v31, v31, 1.0
	v_div_scale_f32 v33, vcc_lo, 1.0, v31, 1.0
	v_rcp_f32_e32 v23, v22
	v_nop
	s_delay_alu instid0(TRANS32_DEP_1) | instskip(NEXT) | instid1(VALU_DEP_1)
	v_fma_f32 v32, -v22, v23, 1.0
	v_fmac_f32_e32 v23, v32, v23
	s_delay_alu instid0(VALU_DEP_1) | instskip(NEXT) | instid1(VALU_DEP_1)
	v_mul_f32_e32 v32, v33, v23
	v_fma_f32 v34, -v22, v32, v33
	s_delay_alu instid0(VALU_DEP_1) | instskip(NEXT) | instid1(VALU_DEP_1)
	v_fmac_f32_e32 v32, v34, v23
	v_fma_f32 v22, -v22, v32, v33
	s_delay_alu instid0(VALU_DEP_1) | instskip(SKIP_3) | instid1(VALU_DEP_3)
	v_div_fmas_f32 v32, v22, v23, v32
	s_wait_loadcnt 0x0
	v_pk_fma_f32 v[22:23], v[18:19], v[30:31], v[18:19] op_sel:[0,0,1] op_sel_hi:[1,0,0] neg_lo:[0,0,1] neg_hi:[0,0,1]
	v_pk_fma_f32 v[18:19], v[18:19], v[30:31], v[18:19] op_sel:[0,0,1] op_sel_hi:[1,0,0]
	v_div_fixup_f32 v22, v32, v31, 1.0
	s_delay_alu instid0(VALU_DEP_3) | instskip(NEXT) | instid1(VALU_DEP_1)
	v_mov_b32_e32 v19, v23
	v_pk_mul_f32 v[30:31], v[18:19], v[22:23] op_sel_hi:[1,0]
.LBB52_133:                             ;   in Loop: Header=BB52_114 Depth=1
	s_or_b32 exec_lo, exec_lo, s0
.LBB52_134:                             ;   in Loop: Header=BB52_114 Depth=1
	v_cmp_gt_f32_e32 vcc_lo, 0, v25
	s_mov_b32 s1, -1
                                        ; implicit-def: $vgpr19
	v_cndmask_b32_e64 v23, v25, -v25, vcc_lo
	v_cmp_gt_f32_e32 vcc_lo, 0, v24
	v_cndmask_b32_e64 v32, v24, -v24, vcc_lo
	s_and_not1_b32 vcc_lo, exec_lo, s18
	s_delay_alu instid0(VALU_DEP_1)
	v_cmp_ge_f32_e64 s0, v32, v23
	s_cbranch_vccnz .LBB52_144
; %bb.135:                              ;   in Loop: Header=BB52_114 Depth=1
                                        ; implicit-def: $vgpr22
                                        ; implicit-def: $vgpr18
	s_and_saveexec_b32 s1, s0
	s_delay_alu instid0(SALU_CYCLE_1)
	s_xor_b32 s20, exec_lo, s1
	s_cbranch_execz .LBB52_141
; %bb.136:                              ;   in Loop: Header=BB52_114 Depth=1
	v_cmp_neq_f32_e32 vcc_lo, 0, v24
	v_cmp_neq_f32_e64 s1, 0, v25
                                        ; implicit-def: $vgpr22
                                        ; implicit-def: $vgpr18
	s_or_b32 s1, vcc_lo, s1
	s_delay_alu instid0(SALU_CYCLE_1) | instskip(NEXT) | instid1(SALU_CYCLE_1)
	s_and_saveexec_b32 s21, s1
	s_xor_b32 s1, exec_lo, s21
	s_cbranch_execz .LBB52_138
; %bb.137:                              ;   in Loop: Header=BB52_114 Depth=1
	s_wait_loadcnt 0x0
	v_div_scale_f32 v18, null, v24, v24, v25
	v_div_scale_f32 v33, vcc_lo, v25, v24, v25
	s_delay_alu instid0(VALU_DEP_2) | instskip(SKIP_1) | instid1(TRANS32_DEP_1)
	v_rcp_f32_e32 v19, v18
	v_nop
	v_fma_f32 v22, -v18, v19, 1.0
	s_delay_alu instid0(VALU_DEP_1) | instskip(NEXT) | instid1(VALU_DEP_1)
	v_fmac_f32_e32 v19, v22, v19
	v_mul_f32_e32 v22, v33, v19
	s_delay_alu instid0(VALU_DEP_1) | instskip(NEXT) | instid1(VALU_DEP_1)
	v_fma_f32 v34, -v18, v22, v33
	v_fmac_f32_e32 v22, v34, v19
	s_delay_alu instid0(VALU_DEP_1) | instskip(NEXT) | instid1(VALU_DEP_1)
	v_fma_f32 v18, -v18, v22, v33
	v_div_fmas_f32 v18, v18, v19, v22
	s_delay_alu instid0(VALU_DEP_1) | instskip(NEXT) | instid1(VALU_DEP_1)
	v_div_fixup_f32 v18, v18, v24, v25
	v_fma_f32 v19, v25, v18, v24
	s_delay_alu instid0(VALU_DEP_1) | instskip(SKIP_1) | instid1(VALU_DEP_2)
	v_div_scale_f32 v22, null, v19, v19, 1.0
	v_div_scale_f32 v35, vcc_lo, 1.0, v19, 1.0
	v_rcp_f32_e32 v33, v22
	v_nop
	s_delay_alu instid0(TRANS32_DEP_1) | instskip(NEXT) | instid1(VALU_DEP_1)
	v_fma_f32 v34, -v22, v33, 1.0
	v_fmac_f32_e32 v33, v34, v33
	s_delay_alu instid0(VALU_DEP_1) | instskip(NEXT) | instid1(VALU_DEP_1)
	v_mul_f32_e32 v34, v35, v33
	v_fma_f32 v36, -v22, v34, v35
	s_delay_alu instid0(VALU_DEP_1) | instskip(NEXT) | instid1(VALU_DEP_1)
	v_fmac_f32_e32 v34, v36, v33
	v_fma_f32 v22, -v22, v34, v35
	s_delay_alu instid0(VALU_DEP_1) | instskip(SKIP_1) | instid1(VALU_DEP_2)
	v_div_fmas_f32 v22, v22, v33, v34
	v_fma_f32 v33, v21, v18, v20
	v_div_fixup_f32 v19, v22, v19, 1.0
	s_delay_alu instid0(VALU_DEP_1) | instskip(NEXT) | instid1(VALU_DEP_1)
	v_dual_fma_f32 v22, -v20, v18, v21 :: v_dual_mul_f32 v18, v33, v19
	v_mul_f32_e32 v22, v22, v19
.LBB52_138:                             ;   in Loop: Header=BB52_114 Depth=1
	s_and_not1_saveexec_b32 s21, s1
	s_cbranch_execz .LBB52_140
; %bb.139:                              ;   in Loop: Header=BB52_114 Depth=1
	s_wait_loadcnt 0x0
	v_div_scale_f32 v18, null, v32, v32, v20
	v_div_scale_f32 v19, null, v23, v23, v21
	v_div_scale_f32 v36, vcc_lo, v20, v32, v20
	s_delay_alu instid0(VALU_DEP_3) | instskip(NEXT) | instid1(VALU_DEP_2)
	v_rcp_f32_e32 v22, v18
	v_rcp_f32_e32 v33, v19
	s_delay_alu instid0(TRANS32_DEP_2) | instskip(NEXT) | instid1(TRANS32_DEP_1)
	v_fma_f32 v34, -v18, v22, 1.0
	v_fma_f32 v35, -v19, v33, 1.0
	s_delay_alu instid0(VALU_DEP_1) | instskip(SKIP_1) | instid1(VALU_DEP_1)
	v_dual_fmac_f32 v22, v34, v22 :: v_dual_fmac_f32 v33, v35, v33
	v_div_scale_f32 v34, s1, v21, v23, v21
	v_dual_mul_f32 v35, v36, v22 :: v_dual_mul_f32 v37, v34, v33
	s_delay_alu instid0(VALU_DEP_1) | instskip(NEXT) | instid1(VALU_DEP_1)
	v_dual_fma_f32 v38, -v18, v35, v36 :: v_dual_fma_f32 v39, -v19, v37, v34
	v_dual_fmac_f32 v35, v38, v22 :: v_dual_fmac_f32 v37, v39, v33
	s_delay_alu instid0(VALU_DEP_1) | instskip(NEXT) | instid1(VALU_DEP_1)
	v_dual_fma_f32 v18, -v18, v35, v36 :: v_dual_fma_f32 v19, -v19, v37, v34
	v_div_fmas_f32 v18, v18, v22, v35
	s_mov_b32 vcc_lo, s1
	s_delay_alu instid0(VALU_DEP_2) | instskip(NEXT) | instid1(VALU_DEP_2)
	v_div_fmas_f32 v19, v19, v33, v37
	v_div_fixup_f32 v18, v18, v32, v20
	s_delay_alu instid0(VALU_DEP_2)
	v_div_fixup_f32 v22, v19, v23, v21
.LBB52_140:                             ;   in Loop: Header=BB52_114 Depth=1
	s_or_b32 exec_lo, exec_lo, s21
.LBB52_141:                             ;   in Loop: Header=BB52_114 Depth=1
	s_and_not1_saveexec_b32 s1, s20
	s_cbranch_execz .LBB52_143
; %bb.142:                              ;   in Loop: Header=BB52_114 Depth=1
	s_wait_loadcnt 0x0
	v_div_scale_f32 v18, null, v25, v25, v24
	v_div_scale_f32 v33, vcc_lo, v24, v25, v24
	s_delay_alu instid0(VALU_DEP_2) | instskip(SKIP_1) | instid1(TRANS32_DEP_1)
	v_rcp_f32_e32 v19, v18
	v_nop
	v_fma_f32 v22, -v18, v19, 1.0
	s_delay_alu instid0(VALU_DEP_1) | instskip(NEXT) | instid1(VALU_DEP_1)
	v_fmac_f32_e32 v19, v22, v19
	v_mul_f32_e32 v22, v33, v19
	s_delay_alu instid0(VALU_DEP_1) | instskip(NEXT) | instid1(VALU_DEP_1)
	v_fma_f32 v34, -v18, v22, v33
	v_fmac_f32_e32 v22, v34, v19
	s_delay_alu instid0(VALU_DEP_1) | instskip(NEXT) | instid1(VALU_DEP_1)
	v_fma_f32 v18, -v18, v22, v33
	v_div_fmas_f32 v18, v18, v19, v22
	s_delay_alu instid0(VALU_DEP_1) | instskip(NEXT) | instid1(VALU_DEP_1)
	v_div_fixup_f32 v18, v18, v25, v24
	v_fma_f32 v19, v24, v18, v25
	s_delay_alu instid0(VALU_DEP_1) | instskip(SKIP_1) | instid1(VALU_DEP_2)
	v_div_scale_f32 v22, null, v19, v19, 1.0
	v_div_scale_f32 v35, vcc_lo, 1.0, v19, 1.0
	v_rcp_f32_e32 v33, v22
	v_nop
	s_delay_alu instid0(TRANS32_DEP_1) | instskip(NEXT) | instid1(VALU_DEP_1)
	v_fma_f32 v34, -v22, v33, 1.0
	v_fmac_f32_e32 v33, v34, v33
	s_delay_alu instid0(VALU_DEP_1) | instskip(NEXT) | instid1(VALU_DEP_1)
	v_mul_f32_e32 v34, v35, v33
	v_fma_f32 v36, -v22, v34, v35
	s_delay_alu instid0(VALU_DEP_1) | instskip(NEXT) | instid1(VALU_DEP_1)
	v_fmac_f32_e32 v34, v36, v33
	v_fma_f32 v22, -v22, v34, v35
	s_delay_alu instid0(VALU_DEP_1) | instskip(NEXT) | instid1(VALU_DEP_1)
	v_div_fmas_f32 v22, v22, v33, v34
	v_div_fixup_f32 v19, v22, v19, 1.0
	v_dual_fma_f32 v22, v21, v18, -v20 :: v_dual_fma_f32 v33, v20, v18, v21
	s_delay_alu instid0(VALU_DEP_1)
	v_dual_mul_f32 v22, v22, v19 :: v_dual_mul_f32 v18, v33, v19
.LBB52_143:                             ;   in Loop: Header=BB52_114 Depth=1
	s_or_b32 exec_lo, exec_lo, s1
	v_mov_b64_e32 v[34:35], s[4:5]
	v_mov_b64_e32 v[36:37], s[12:13]
	s_mov_b32 s1, 0
	s_delay_alu instid0(VALU_DEP_2) | instskip(SKIP_1) | instid1(VALU_DEP_2)
	v_pk_mul_f32 v[34:35], v[22:23], v[34:35] op_sel_hi:[0,1]
	s_wait_loadcnt 0x0
	v_pk_mul_f32 v[38:39], v[18:19], v[36:37] op_sel_hi:[0,1]
	s_delay_alu instid0(VALU_DEP_2) | instskip(NEXT) | instid1(VALU_DEP_2)
	v_pk_fma_f32 v[18:19], v[18:19], v[36:37], v[34:35] op_sel_hi:[0,1,1]
	v_sub_f32_e32 v18, v38, v34
.LBB52_144:                             ;   in Loop: Header=BB52_114 Depth=1
	s_and_b32 vcc_lo, exec_lo, s1
	s_cbranch_vccz .LBB52_154
; %bb.145:                              ;   in Loop: Header=BB52_114 Depth=1
                                        ; implicit-def: $vgpr19
	s_and_saveexec_b32 s1, s0
	s_delay_alu instid0(SALU_CYCLE_1)
	s_xor_b32 s1, exec_lo, s1
	s_cbranch_execz .LBB52_151
; %bb.146:                              ;   in Loop: Header=BB52_114 Depth=1
	v_cmp_neq_f32_e32 vcc_lo, 0, v24
	v_cmp_neq_f32_e64 s0, 0, v25
                                        ; implicit-def: $vgpr19
	s_or_b32 s0, vcc_lo, s0
	s_delay_alu instid0(SALU_CYCLE_1) | instskip(NEXT) | instid1(SALU_CYCLE_1)
	s_and_saveexec_b32 s20, s0
	s_xor_b32 s0, exec_lo, s20
	s_cbranch_execz .LBB52_148
; %bb.147:                              ;   in Loop: Header=BB52_114 Depth=1
	s_wait_loadcnt 0x0
	v_div_scale_f32 v18, null, v24, v24, v25
	v_div_scale_f32 v23, vcc_lo, v25, v24, v25
	s_delay_alu instid0(VALU_DEP_2) | instskip(SKIP_1) | instid1(TRANS32_DEP_1)
	v_rcp_f32_e32 v19, v18
	v_nop
	v_fma_f32 v22, -v18, v19, 1.0
	s_delay_alu instid0(VALU_DEP_1) | instskip(NEXT) | instid1(VALU_DEP_1)
	v_fmac_f32_e32 v19, v22, v19
	v_mul_f32_e32 v22, v23, v19
	s_delay_alu instid0(VALU_DEP_1) | instskip(NEXT) | instid1(VALU_DEP_1)
	v_fma_f32 v32, -v18, v22, v23
	v_fmac_f32_e32 v22, v32, v19
	s_delay_alu instid0(VALU_DEP_1) | instskip(NEXT) | instid1(VALU_DEP_1)
	v_fma_f32 v18, -v18, v22, v23
	v_div_fmas_f32 v18, v18, v19, v22
	s_delay_alu instid0(VALU_DEP_1) | instskip(NEXT) | instid1(VALU_DEP_1)
	v_div_fixup_f32 v18, v18, v24, v25
	v_fmac_f32_e32 v24, v25, v18
	s_delay_alu instid0(VALU_DEP_1) | instskip(SKIP_1) | instid1(VALU_DEP_2)
	v_div_scale_f32 v19, null, v24, v24, 1.0
	v_div_scale_f32 v25, vcc_lo, 1.0, v24, 1.0
	v_rcp_f32_e32 v22, v19
	v_nop
	s_delay_alu instid0(TRANS32_DEP_1) | instskip(NEXT) | instid1(VALU_DEP_1)
	v_fma_f32 v23, -v19, v22, 1.0
	v_fmac_f32_e32 v22, v23, v22
	s_delay_alu instid0(VALU_DEP_1) | instskip(NEXT) | instid1(VALU_DEP_1)
	v_mul_f32_e32 v23, v25, v22
	v_fma_f32 v32, -v19, v23, v25
	s_delay_alu instid0(VALU_DEP_1) | instskip(NEXT) | instid1(VALU_DEP_1)
	v_fmac_f32_e32 v23, v32, v22
                                        ; implicit-def: $vgpr32
	v_fma_f32 v19, -v19, v23, v25
	s_delay_alu instid0(VALU_DEP_1) | instskip(SKIP_2) | instid1(VALU_DEP_3)
	v_div_fmas_f32 v25, v19, v22, v23
	v_pk_fma_f32 v[22:23], v[20:21], v[18:19], v[20:21] op_sel:[1,0,0] op_sel_hi:[0,0,1] neg_lo:[1,0,0] neg_hi:[1,0,0]
	v_pk_fma_f32 v[18:19], v[20:21], v[18:19], v[20:21] op_sel:[1,0,0] op_sel_hi:[0,0,1]
	v_div_fixup_f32 v20, v25, v24, 1.0
	s_delay_alu instid0(VALU_DEP_3) | instskip(NEXT) | instid1(VALU_DEP_1)
	v_mov_b32_e32 v19, v23
                                        ; implicit-def: $vgpr23
	v_pk_mul_f32 v[18:19], v[18:19], v[20:21] op_sel_hi:[1,0]
                                        ; implicit-def: $vgpr20_vgpr21
.LBB52_148:                             ;   in Loop: Header=BB52_114 Depth=1
	s_and_not1_saveexec_b32 s20, s0
	s_cbranch_execz .LBB52_150
; %bb.149:                              ;   in Loop: Header=BB52_114 Depth=1
	s_wait_loadcnt 0x0
	v_div_scale_f32 v18, null, v32, v32, v20
	v_div_scale_f32 v19, null, v23, v23, v21
	v_div_scale_f32 v34, vcc_lo, v20, v32, v20
	s_delay_alu instid0(VALU_DEP_3) | instskip(NEXT) | instid1(VALU_DEP_2)
	v_rcp_f32_e32 v22, v18
	v_rcp_f32_e32 v24, v19
	s_delay_alu instid0(TRANS32_DEP_2) | instskip(NEXT) | instid1(TRANS32_DEP_1)
	v_fma_f32 v25, -v18, v22, 1.0
	v_fma_f32 v33, -v19, v24, 1.0
	s_delay_alu instid0(VALU_DEP_1) | instskip(NEXT) | instid1(VALU_DEP_3)
	v_fmac_f32_e32 v24, v33, v24
	v_fmac_f32_e32 v22, v25, v22
	v_div_scale_f32 v25, s0, v21, v23, v21
	s_delay_alu instid0(VALU_DEP_1) | instskip(NEXT) | instid1(VALU_DEP_1)
	v_dual_mul_f32 v35, v25, v24 :: v_dual_mul_f32 v33, v34, v22
	v_dual_fma_f32 v37, -v19, v35, v25 :: v_dual_fma_f32 v36, -v18, v33, v34
	s_delay_alu instid0(VALU_DEP_1) | instskip(NEXT) | instid1(VALU_DEP_1)
	v_dual_fmac_f32 v35, v37, v24 :: v_dual_fmac_f32 v33, v36, v22
	v_dual_fma_f32 v19, -v19, v35, v25 :: v_dual_fma_f32 v18, -v18, v33, v34
	s_delay_alu instid0(VALU_DEP_1) | instskip(SKIP_1) | instid1(VALU_DEP_2)
	v_div_fmas_f32 v18, v18, v22, v33
	s_mov_b32 vcc_lo, s0
	v_div_fmas_f32 v19, v19, v24, v35
	s_delay_alu instid0(VALU_DEP_2) | instskip(NEXT) | instid1(VALU_DEP_2)
	v_div_fixup_f32 v18, v18, v32, v20
	v_div_fixup_f32 v19, v19, v23, v21
.LBB52_150:                             ;   in Loop: Header=BB52_114 Depth=1
	s_or_b32 exec_lo, exec_lo, s20
                                        ; implicit-def: $vgpr22_vgpr23_vgpr24_vgpr25
                                        ; implicit-def: $vgpr20_vgpr21
.LBB52_151:                             ;   in Loop: Header=BB52_114 Depth=1
	s_and_not1_saveexec_b32 s0, s1
	s_cbranch_execz .LBB52_153
; %bb.152:                              ;   in Loop: Header=BB52_114 Depth=1
	s_wait_loadcnt 0x0
	v_div_scale_f32 v18, null, v25, v25, v24
	v_div_scale_f32 v23, vcc_lo, v24, v25, v24
	s_delay_alu instid0(VALU_DEP_2) | instskip(SKIP_1) | instid1(TRANS32_DEP_1)
	v_rcp_f32_e32 v19, v18
	v_nop
	v_fma_f32 v22, -v18, v19, 1.0
	s_delay_alu instid0(VALU_DEP_1) | instskip(NEXT) | instid1(VALU_DEP_1)
	v_fmac_f32_e32 v19, v22, v19
	v_mul_f32_e32 v22, v23, v19
	s_delay_alu instid0(VALU_DEP_1) | instskip(NEXT) | instid1(VALU_DEP_1)
	v_fma_f32 v32, -v18, v22, v23
	v_fmac_f32_e32 v22, v32, v19
	s_delay_alu instid0(VALU_DEP_1) | instskip(NEXT) | instid1(VALU_DEP_1)
	v_fma_f32 v18, -v18, v22, v23
	v_div_fmas_f32 v18, v18, v19, v22
	s_delay_alu instid0(VALU_DEP_1) | instskip(NEXT) | instid1(VALU_DEP_1)
	v_div_fixup_f32 v18, v18, v25, v24
	v_fmac_f32_e32 v25, v24, v18
	s_delay_alu instid0(VALU_DEP_1) | instskip(SKIP_1) | instid1(VALU_DEP_2)
	v_div_scale_f32 v19, null, v25, v25, 1.0
	v_div_scale_f32 v24, vcc_lo, 1.0, v25, 1.0
	v_rcp_f32_e32 v22, v19
	v_nop
	s_delay_alu instid0(TRANS32_DEP_1) | instskip(NEXT) | instid1(VALU_DEP_1)
	v_fma_f32 v23, -v19, v22, 1.0
	v_fmac_f32_e32 v22, v23, v22
	s_delay_alu instid0(VALU_DEP_1) | instskip(NEXT) | instid1(VALU_DEP_1)
	v_mul_f32_e32 v23, v24, v22
	v_fma_f32 v32, -v19, v23, v24
	s_delay_alu instid0(VALU_DEP_1) | instskip(NEXT) | instid1(VALU_DEP_1)
	v_fmac_f32_e32 v23, v32, v22
	v_fma_f32 v19, -v19, v23, v24
	s_delay_alu instid0(VALU_DEP_1) | instskip(SKIP_2) | instid1(VALU_DEP_3)
	v_div_fmas_f32 v24, v19, v22, v23
	v_pk_fma_f32 v[22:23], v[20:21], v[18:19], v[20:21] op_sel:[0,0,1] op_sel_hi:[1,0,0] neg_lo:[0,0,1] neg_hi:[0,0,1]
	v_pk_fma_f32 v[18:19], v[20:21], v[18:19], v[20:21] op_sel:[0,0,1] op_sel_hi:[1,0,0]
	v_div_fixup_f32 v20, v24, v25, 1.0
	s_delay_alu instid0(VALU_DEP_3) | instskip(NEXT) | instid1(VALU_DEP_1)
	v_mov_b32_e32 v19, v23
	v_pk_mul_f32 v[18:19], v[18:19], v[20:21] op_sel_hi:[1,0]
.LBB52_153:                             ;   in Loop: Header=BB52_114 Depth=1
	s_or_b32 exec_lo, exec_lo, s0
.LBB52_154:                             ;   in Loop: Header=BB52_114 Depth=1
	s_wait_loadcnt 0x4
	v_cmp_gt_f32_e32 vcc_lo, 0, v15
	s_mov_b32 s1, -1
                                        ; implicit-def: $vgpr21
	v_cndmask_b32_e64 v23, v15, -v15, vcc_lo
	v_cmp_gt_f32_e32 vcc_lo, 0, v14
	v_cndmask_b32_e64 v24, v14, -v14, vcc_lo
	s_and_not1_b32 vcc_lo, exec_lo, s18
	s_delay_alu instid0(VALU_DEP_1)
	v_cmp_ge_f32_e64 s0, v24, v23
	s_cbranch_vccnz .LBB52_164
; %bb.155:                              ;   in Loop: Header=BB52_114 Depth=1
                                        ; implicit-def: $vgpr22
                                        ; implicit-def: $vgpr20
	s_and_saveexec_b32 s1, s0
	s_delay_alu instid0(SALU_CYCLE_1)
	s_xor_b32 s20, exec_lo, s1
	s_cbranch_execz .LBB52_161
; %bb.156:                              ;   in Loop: Header=BB52_114 Depth=1
	v_cmp_neq_f32_e32 vcc_lo, 0, v14
	v_cmp_neq_f32_e64 s1, 0, v15
                                        ; implicit-def: $vgpr22
                                        ; implicit-def: $vgpr20
	s_or_b32 s1, vcc_lo, s1
	s_delay_alu instid0(SALU_CYCLE_1) | instskip(NEXT) | instid1(SALU_CYCLE_1)
	s_and_saveexec_b32 s21, s1
	s_xor_b32 s1, exec_lo, s21
	s_cbranch_execz .LBB52_158
; %bb.157:                              ;   in Loop: Header=BB52_114 Depth=1
	s_wait_loadcnt 0x0
	v_div_scale_f32 v20, null, v14, v14, v15
	v_div_scale_f32 v25, vcc_lo, v15, v14, v15
	s_delay_alu instid0(VALU_DEP_2) | instskip(SKIP_1) | instid1(TRANS32_DEP_1)
	v_rcp_f32_e32 v21, v20
	v_nop
	v_fma_f32 v22, -v20, v21, 1.0
	s_delay_alu instid0(VALU_DEP_1) | instskip(NEXT) | instid1(VALU_DEP_1)
	v_fmac_f32_e32 v21, v22, v21
	v_mul_f32_e32 v22, v25, v21
	s_delay_alu instid0(VALU_DEP_1) | instskip(NEXT) | instid1(VALU_DEP_1)
	v_fma_f32 v32, -v20, v22, v25
	v_fmac_f32_e32 v22, v32, v21
	s_delay_alu instid0(VALU_DEP_1) | instskip(NEXT) | instid1(VALU_DEP_1)
	v_fma_f32 v20, -v20, v22, v25
	v_div_fmas_f32 v20, v20, v21, v22
	s_delay_alu instid0(VALU_DEP_1) | instskip(NEXT) | instid1(VALU_DEP_1)
	v_div_fixup_f32 v20, v20, v14, v15
	v_fma_f32 v21, v15, v20, v14
	s_delay_alu instid0(VALU_DEP_1) | instskip(SKIP_1) | instid1(VALU_DEP_2)
	v_div_scale_f32 v22, null, v21, v21, 1.0
	v_div_scale_f32 v33, vcc_lo, 1.0, v21, 1.0
	v_rcp_f32_e32 v25, v22
	v_nop
	s_delay_alu instid0(TRANS32_DEP_1) | instskip(NEXT) | instid1(VALU_DEP_1)
	v_fma_f32 v32, -v22, v25, 1.0
	v_fmac_f32_e32 v25, v32, v25
	s_delay_alu instid0(VALU_DEP_1) | instskip(NEXT) | instid1(VALU_DEP_1)
	v_mul_f32_e32 v32, v33, v25
	v_fma_f32 v34, -v22, v32, v33
	s_delay_alu instid0(VALU_DEP_1) | instskip(NEXT) | instid1(VALU_DEP_1)
	v_fmac_f32_e32 v32, v34, v25
	v_fma_f32 v22, -v22, v32, v33
	s_delay_alu instid0(VALU_DEP_1) | instskip(SKIP_1) | instid1(VALU_DEP_2)
	v_div_fmas_f32 v22, v22, v25, v32
	v_fma_f32 v25, v11, v20, v10
	v_div_fixup_f32 v21, v22, v21, 1.0
	s_delay_alu instid0(VALU_DEP_1) | instskip(NEXT) | instid1(VALU_DEP_1)
	v_dual_fma_f32 v22, -v10, v20, v11 :: v_dual_mul_f32 v20, v25, v21
	v_mul_f32_e32 v22, v22, v21
.LBB52_158:                             ;   in Loop: Header=BB52_114 Depth=1
	s_and_not1_saveexec_b32 s21, s1
	s_cbranch_execz .LBB52_160
; %bb.159:                              ;   in Loop: Header=BB52_114 Depth=1
	s_wait_loadcnt 0x0
	v_div_scale_f32 v20, null, v24, v24, v10
	v_div_scale_f32 v21, null, v23, v23, v11
	v_div_scale_f32 v34, vcc_lo, v10, v24, v10
	s_delay_alu instid0(VALU_DEP_3) | instskip(NEXT) | instid1(VALU_DEP_2)
	v_rcp_f32_e32 v22, v20
	v_rcp_f32_e32 v25, v21
	s_delay_alu instid0(TRANS32_DEP_2) | instskip(NEXT) | instid1(TRANS32_DEP_1)
	v_fma_f32 v32, -v20, v22, 1.0
	v_fma_f32 v33, -v21, v25, 1.0
	s_delay_alu instid0(VALU_DEP_1) | instskip(SKIP_1) | instid1(VALU_DEP_1)
	v_dual_fmac_f32 v22, v32, v22 :: v_dual_fmac_f32 v25, v33, v25
	v_div_scale_f32 v32, s1, v11, v23, v11
	v_dual_mul_f32 v33, v34, v22 :: v_dual_mul_f32 v35, v32, v25
	s_delay_alu instid0(VALU_DEP_1) | instskip(NEXT) | instid1(VALU_DEP_1)
	v_dual_fma_f32 v36, -v20, v33, v34 :: v_dual_fma_f32 v37, -v21, v35, v32
	v_dual_fmac_f32 v33, v36, v22 :: v_dual_fmac_f32 v35, v37, v25
	s_delay_alu instid0(VALU_DEP_1) | instskip(NEXT) | instid1(VALU_DEP_1)
	v_dual_fma_f32 v20, -v20, v33, v34 :: v_dual_fma_f32 v21, -v21, v35, v32
	v_div_fmas_f32 v20, v20, v22, v33
	s_mov_b32 vcc_lo, s1
	s_delay_alu instid0(VALU_DEP_2) | instskip(NEXT) | instid1(VALU_DEP_2)
	v_div_fmas_f32 v21, v21, v25, v35
	v_div_fixup_f32 v20, v20, v24, v10
	s_delay_alu instid0(VALU_DEP_2)
	v_div_fixup_f32 v22, v21, v23, v11
.LBB52_160:                             ;   in Loop: Header=BB52_114 Depth=1
	s_or_b32 exec_lo, exec_lo, s21
.LBB52_161:                             ;   in Loop: Header=BB52_114 Depth=1
	s_and_not1_saveexec_b32 s1, s20
	s_cbranch_execz .LBB52_163
; %bb.162:                              ;   in Loop: Header=BB52_114 Depth=1
	s_wait_loadcnt 0x0
	v_div_scale_f32 v20, null, v15, v15, v14
	v_div_scale_f32 v25, vcc_lo, v14, v15, v14
	s_delay_alu instid0(VALU_DEP_2) | instskip(SKIP_1) | instid1(TRANS32_DEP_1)
	v_rcp_f32_e32 v21, v20
	v_nop
	v_fma_f32 v22, -v20, v21, 1.0
	s_delay_alu instid0(VALU_DEP_1) | instskip(NEXT) | instid1(VALU_DEP_1)
	v_fmac_f32_e32 v21, v22, v21
	v_mul_f32_e32 v22, v25, v21
	s_delay_alu instid0(VALU_DEP_1) | instskip(NEXT) | instid1(VALU_DEP_1)
	v_fma_f32 v32, -v20, v22, v25
	v_fmac_f32_e32 v22, v32, v21
	s_delay_alu instid0(VALU_DEP_1) | instskip(NEXT) | instid1(VALU_DEP_1)
	v_fma_f32 v20, -v20, v22, v25
	v_div_fmas_f32 v20, v20, v21, v22
	s_delay_alu instid0(VALU_DEP_1) | instskip(NEXT) | instid1(VALU_DEP_1)
	v_div_fixup_f32 v20, v20, v15, v14
	v_fma_f32 v21, v14, v20, v15
	s_delay_alu instid0(VALU_DEP_1) | instskip(SKIP_1) | instid1(VALU_DEP_2)
	v_div_scale_f32 v22, null, v21, v21, 1.0
	v_div_scale_f32 v33, vcc_lo, 1.0, v21, 1.0
	v_rcp_f32_e32 v25, v22
	v_nop
	s_delay_alu instid0(TRANS32_DEP_1) | instskip(NEXT) | instid1(VALU_DEP_1)
	v_fma_f32 v32, -v22, v25, 1.0
	v_fmac_f32_e32 v25, v32, v25
	s_delay_alu instid0(VALU_DEP_1) | instskip(NEXT) | instid1(VALU_DEP_1)
	v_mul_f32_e32 v32, v33, v25
	v_fma_f32 v34, -v22, v32, v33
	s_delay_alu instid0(VALU_DEP_1) | instskip(NEXT) | instid1(VALU_DEP_1)
	v_fmac_f32_e32 v32, v34, v25
	v_fma_f32 v22, -v22, v32, v33
	s_delay_alu instid0(VALU_DEP_1) | instskip(SKIP_1) | instid1(VALU_DEP_2)
	v_div_fmas_f32 v22, v22, v25, v32
	v_fma_f32 v25, v10, v20, v11
	v_div_fixup_f32 v21, v22, v21, 1.0
	s_delay_alu instid0(VALU_DEP_1) | instskip(NEXT) | instid1(VALU_DEP_1)
	v_dual_fma_f32 v22, v11, v20, -v10 :: v_dual_mul_f32 v20, v25, v21
	v_mul_f32_e32 v22, v22, v21
.LBB52_163:                             ;   in Loop: Header=BB52_114 Depth=1
	s_or_b32 exec_lo, exec_lo, s1
	v_mov_b64_e32 v[32:33], s[4:5]
	v_mov_b64_e32 v[34:35], s[12:13]
	s_mov_b32 s1, 0
	s_delay_alu instid0(VALU_DEP_2) | instskip(SKIP_1) | instid1(VALU_DEP_2)
	v_pk_mul_f32 v[32:33], v[22:23], v[32:33] op_sel_hi:[0,1]
	s_wait_loadcnt 0x0
	v_pk_mul_f32 v[36:37], v[20:21], v[34:35] op_sel_hi:[0,1]
	s_delay_alu instid0(VALU_DEP_2) | instskip(NEXT) | instid1(VALU_DEP_2)
	v_pk_fma_f32 v[20:21], v[20:21], v[34:35], v[32:33] op_sel_hi:[0,1,1]
	v_sub_f32_e32 v20, v36, v32
.LBB52_164:                             ;   in Loop: Header=BB52_114 Depth=1
	s_and_b32 vcc_lo, exec_lo, s1
	s_cbranch_vccz .LBB52_174
; %bb.165:                              ;   in Loop: Header=BB52_114 Depth=1
                                        ; implicit-def: $vgpr21
	s_and_saveexec_b32 s1, s0
	s_delay_alu instid0(SALU_CYCLE_1)
	s_xor_b32 s1, exec_lo, s1
	s_cbranch_execz .LBB52_171
; %bb.166:                              ;   in Loop: Header=BB52_114 Depth=1
	v_cmp_neq_f32_e32 vcc_lo, 0, v14
	v_cmp_neq_f32_e64 s0, 0, v15
                                        ; implicit-def: $vgpr21
	s_or_b32 s0, vcc_lo, s0
	s_delay_alu instid0(SALU_CYCLE_1) | instskip(NEXT) | instid1(SALU_CYCLE_1)
	s_and_saveexec_b32 s20, s0
	s_xor_b32 s0, exec_lo, s20
	s_cbranch_execz .LBB52_168
; %bb.167:                              ;   in Loop: Header=BB52_114 Depth=1
	s_wait_loadcnt 0x0
	v_div_scale_f32 v20, null, v14, v14, v15
	v_div_scale_f32 v23, vcc_lo, v15, v14, v15
	s_delay_alu instid0(VALU_DEP_2) | instskip(SKIP_1) | instid1(TRANS32_DEP_1)
	v_rcp_f32_e32 v21, v20
	v_nop
	v_fma_f32 v22, -v20, v21, 1.0
	s_delay_alu instid0(VALU_DEP_1) | instskip(NEXT) | instid1(VALU_DEP_1)
	v_fmac_f32_e32 v21, v22, v21
	v_mul_f32_e32 v22, v23, v21
	s_delay_alu instid0(VALU_DEP_1) | instskip(NEXT) | instid1(VALU_DEP_1)
	v_fma_f32 v24, -v20, v22, v23
	v_fmac_f32_e32 v22, v24, v21
	s_delay_alu instid0(VALU_DEP_1) | instskip(NEXT) | instid1(VALU_DEP_1)
	v_fma_f32 v20, -v20, v22, v23
	v_div_fmas_f32 v20, v20, v21, v22
	s_delay_alu instid0(VALU_DEP_1) | instskip(NEXT) | instid1(VALU_DEP_1)
	v_div_fixup_f32 v20, v20, v14, v15
	v_fma_f32 v24, v15, v20, v14
	s_delay_alu instid0(VALU_DEP_1) | instskip(SKIP_1) | instid1(VALU_DEP_2)
	v_div_scale_f32 v21, null, v24, v24, 1.0
	v_div_scale_f32 v25, vcc_lo, 1.0, v24, 1.0
	v_rcp_f32_e32 v22, v21
	v_nop
	s_delay_alu instid0(TRANS32_DEP_1) | instskip(NEXT) | instid1(VALU_DEP_1)
	v_fma_f32 v23, -v21, v22, 1.0
	v_fmac_f32_e32 v22, v23, v22
	s_delay_alu instid0(VALU_DEP_1) | instskip(NEXT) | instid1(VALU_DEP_1)
	v_mul_f32_e32 v23, v25, v22
	v_fma_f32 v32, -v21, v23, v25
	s_delay_alu instid0(VALU_DEP_1) | instskip(NEXT) | instid1(VALU_DEP_1)
	v_fmac_f32_e32 v23, v32, v22
	v_fma_f32 v21, -v21, v23, v25
	s_delay_alu instid0(VALU_DEP_1) | instskip(SKIP_2) | instid1(VALU_DEP_3)
	v_div_fmas_f32 v25, v21, v22, v23
	v_pk_fma_f32 v[22:23], v[10:11], v[20:21], v[10:11] op_sel:[1,0,0] op_sel_hi:[0,0,1] neg_lo:[1,0,0] neg_hi:[1,0,0]
	v_pk_fma_f32 v[20:21], v[10:11], v[20:21], v[10:11] op_sel:[1,0,0] op_sel_hi:[0,0,1]
	v_div_fixup_f32 v22, v25, v24, 1.0
	s_delay_alu instid0(VALU_DEP_3) | instskip(NEXT) | instid1(VALU_DEP_1)
	v_mov_b32_e32 v21, v23
                                        ; implicit-def: $vgpr24
	v_pk_mul_f32 v[20:21], v[20:21], v[22:23] op_sel_hi:[1,0]
                                        ; implicit-def: $vgpr23
.LBB52_168:                             ;   in Loop: Header=BB52_114 Depth=1
	s_and_not1_saveexec_b32 s20, s0
	s_cbranch_execz .LBB52_170
; %bb.169:                              ;   in Loop: Header=BB52_114 Depth=1
	s_wait_loadcnt 0x0
	v_div_scale_f32 v20, null, v24, v24, v10
	v_div_scale_f32 v21, null, v23, v23, v11
	v_div_scale_f32 v34, vcc_lo, v10, v24, v10
	s_delay_alu instid0(VALU_DEP_3) | instskip(NEXT) | instid1(VALU_DEP_2)
	v_rcp_f32_e32 v22, v20
	v_rcp_f32_e32 v25, v21
	s_delay_alu instid0(TRANS32_DEP_2) | instskip(NEXT) | instid1(TRANS32_DEP_1)
	v_fma_f32 v32, -v20, v22, 1.0
	v_fma_f32 v33, -v21, v25, 1.0
	s_delay_alu instid0(VALU_DEP_1) | instskip(SKIP_1) | instid1(VALU_DEP_1)
	v_dual_fmac_f32 v22, v32, v22 :: v_dual_fmac_f32 v25, v33, v25
	v_div_scale_f32 v32, s0, v11, v23, v11
	v_dual_mul_f32 v33, v34, v22 :: v_dual_mul_f32 v35, v32, v25
	s_delay_alu instid0(VALU_DEP_1) | instskip(NEXT) | instid1(VALU_DEP_1)
	v_dual_fma_f32 v36, -v20, v33, v34 :: v_dual_fma_f32 v37, -v21, v35, v32
	v_dual_fmac_f32 v33, v36, v22 :: v_dual_fmac_f32 v35, v37, v25
	s_delay_alu instid0(VALU_DEP_1) | instskip(NEXT) | instid1(VALU_DEP_1)
	v_dual_fma_f32 v20, -v20, v33, v34 :: v_dual_fma_f32 v21, -v21, v35, v32
	v_div_fmas_f32 v20, v20, v22, v33
	s_mov_b32 vcc_lo, s0
	s_delay_alu instid0(VALU_DEP_2) | instskip(NEXT) | instid1(VALU_DEP_2)
	v_div_fmas_f32 v21, v21, v25, v35
	v_div_fixup_f32 v20, v20, v24, v10
	s_delay_alu instid0(VALU_DEP_2)
	v_div_fixup_f32 v21, v21, v23, v11
.LBB52_170:                             ;   in Loop: Header=BB52_114 Depth=1
	s_or_b32 exec_lo, exec_lo, s20
.LBB52_171:                             ;   in Loop: Header=BB52_114 Depth=1
	s_and_not1_saveexec_b32 s0, s1
	s_cbranch_execz .LBB52_173
; %bb.172:                              ;   in Loop: Header=BB52_114 Depth=1
	s_wait_loadcnt 0x0
	v_div_scale_f32 v20, null, v15, v15, v14
	v_div_scale_f32 v23, vcc_lo, v14, v15, v14
	s_delay_alu instid0(VALU_DEP_2) | instskip(SKIP_1) | instid1(TRANS32_DEP_1)
	v_rcp_f32_e32 v21, v20
	v_nop
	v_fma_f32 v22, -v20, v21, 1.0
	s_delay_alu instid0(VALU_DEP_1) | instskip(NEXT) | instid1(VALU_DEP_1)
	v_fmac_f32_e32 v21, v22, v21
	v_mul_f32_e32 v22, v23, v21
	s_delay_alu instid0(VALU_DEP_1) | instskip(NEXT) | instid1(VALU_DEP_1)
	v_fma_f32 v24, -v20, v22, v23
	v_fmac_f32_e32 v22, v24, v21
	s_delay_alu instid0(VALU_DEP_1) | instskip(NEXT) | instid1(VALU_DEP_1)
	v_fma_f32 v20, -v20, v22, v23
	v_div_fmas_f32 v20, v20, v21, v22
	s_delay_alu instid0(VALU_DEP_1) | instskip(NEXT) | instid1(VALU_DEP_1)
	v_div_fixup_f32 v20, v20, v15, v14
	v_fma_f32 v21, v14, v20, v15
	s_delay_alu instid0(VALU_DEP_1) | instskip(SKIP_1) | instid1(VALU_DEP_2)
	v_div_scale_f32 v14, null, v21, v21, 1.0
	v_div_scale_f32 v23, vcc_lo, 1.0, v21, 1.0
	v_rcp_f32_e32 v15, v14
	v_nop
	s_delay_alu instid0(TRANS32_DEP_1) | instskip(NEXT) | instid1(VALU_DEP_1)
	v_fma_f32 v22, -v14, v15, 1.0
	v_fmac_f32_e32 v15, v22, v15
	s_delay_alu instid0(VALU_DEP_1) | instskip(NEXT) | instid1(VALU_DEP_1)
	v_mul_f32_e32 v22, v23, v15
	v_fma_f32 v24, -v14, v22, v23
	s_delay_alu instid0(VALU_DEP_1) | instskip(NEXT) | instid1(VALU_DEP_1)
	v_fmac_f32_e32 v22, v24, v15
	v_fma_f32 v14, -v14, v22, v23
	s_delay_alu instid0(VALU_DEP_1) | instskip(SKIP_2) | instid1(VALU_DEP_3)
	v_div_fmas_f32 v22, v14, v15, v22
	v_pk_fma_f32 v[14:15], v[10:11], v[20:21], v[10:11] op_sel:[0,0,1] op_sel_hi:[1,0,0] neg_lo:[0,0,1] neg_hi:[0,0,1]
	v_pk_fma_f32 v[10:11], v[10:11], v[20:21], v[10:11] op_sel:[0,0,1] op_sel_hi:[1,0,0]
	v_div_fixup_f32 v14, v22, v21, 1.0
	s_delay_alu instid0(VALU_DEP_3) | instskip(NEXT) | instid1(VALU_DEP_1)
	v_mov_b32_e32 v11, v15
	v_pk_mul_f32 v[20:21], v[10:11], v[14:15] op_sel_hi:[1,0]
.LBB52_173:                             ;   in Loop: Header=BB52_114 Depth=1
	s_or_b32 exec_lo, exec_lo, s0
.LBB52_174:                             ;   in Loop: Header=BB52_114 Depth=1
	v_cmp_gt_f32_e32 vcc_lo, 0, v17
	s_mov_b32 s1, -1
                                        ; implicit-def: $vgpr11
	v_cndmask_b32_e64 v15, v17, -v17, vcc_lo
	v_cmp_gt_f32_e32 vcc_lo, 0, v16
	v_cndmask_b32_e64 v22, v16, -v16, vcc_lo
	s_and_not1_b32 vcc_lo, exec_lo, s18
	s_delay_alu instid0(VALU_DEP_1)
	v_cmp_ge_f32_e64 s0, v22, v15
	s_cbranch_vccnz .LBB52_184
; %bb.175:                              ;   in Loop: Header=BB52_114 Depth=1
                                        ; implicit-def: $vgpr14
                                        ; implicit-def: $vgpr10
	s_and_saveexec_b32 s1, s0
	s_delay_alu instid0(SALU_CYCLE_1)
	s_xor_b32 s20, exec_lo, s1
	s_cbranch_execz .LBB52_181
; %bb.176:                              ;   in Loop: Header=BB52_114 Depth=1
	v_cmp_neq_f32_e32 vcc_lo, 0, v16
	v_cmp_neq_f32_e64 s1, 0, v17
                                        ; implicit-def: $vgpr14
                                        ; implicit-def: $vgpr10
	s_or_b32 s1, vcc_lo, s1
	s_delay_alu instid0(SALU_CYCLE_1) | instskip(NEXT) | instid1(SALU_CYCLE_1)
	s_and_saveexec_b32 s21, s1
	s_xor_b32 s1, exec_lo, s21
	s_cbranch_execz .LBB52_178
; %bb.177:                              ;   in Loop: Header=BB52_114 Depth=1
	s_wait_loadcnt 0x1
	v_div_scale_f32 v10, null, v16, v16, v17
	v_div_scale_f32 v23, vcc_lo, v17, v16, v17
	s_delay_alu instid0(VALU_DEP_2) | instskip(SKIP_1) | instid1(TRANS32_DEP_1)
	v_rcp_f32_e32 v11, v10
	v_nop
	v_fma_f32 v14, -v10, v11, 1.0
	s_delay_alu instid0(VALU_DEP_1) | instskip(NEXT) | instid1(VALU_DEP_1)
	v_fmac_f32_e32 v11, v14, v11
	v_mul_f32_e32 v14, v23, v11
	s_delay_alu instid0(VALU_DEP_1) | instskip(NEXT) | instid1(VALU_DEP_1)
	v_fma_f32 v24, -v10, v14, v23
	v_fmac_f32_e32 v14, v24, v11
	s_delay_alu instid0(VALU_DEP_1) | instskip(NEXT) | instid1(VALU_DEP_1)
	v_fma_f32 v10, -v10, v14, v23
	v_div_fmas_f32 v10, v10, v11, v14
	s_delay_alu instid0(VALU_DEP_1) | instskip(NEXT) | instid1(VALU_DEP_1)
	v_div_fixup_f32 v10, v10, v16, v17
	v_fma_f32 v11, v17, v10, v16
	s_delay_alu instid0(VALU_DEP_1) | instskip(SKIP_1) | instid1(VALU_DEP_2)
	v_div_scale_f32 v14, null, v11, v11, 1.0
	v_div_scale_f32 v25, vcc_lo, 1.0, v11, 1.0
	v_rcp_f32_e32 v23, v14
	v_nop
	s_delay_alu instid0(TRANS32_DEP_1) | instskip(NEXT) | instid1(VALU_DEP_1)
	v_fma_f32 v24, -v14, v23, 1.0
	v_fmac_f32_e32 v23, v24, v23
	s_delay_alu instid0(VALU_DEP_1) | instskip(NEXT) | instid1(VALU_DEP_1)
	v_mul_f32_e32 v24, v25, v23
	v_fma_f32 v32, -v14, v24, v25
	s_delay_alu instid0(VALU_DEP_1) | instskip(NEXT) | instid1(VALU_DEP_1)
	v_fmac_f32_e32 v24, v32, v23
	v_fma_f32 v14, -v14, v24, v25
	s_delay_alu instid0(VALU_DEP_1) | instskip(SKIP_1) | instid1(VALU_DEP_2)
	v_div_fmas_f32 v14, v14, v23, v24
	v_fma_f32 v23, v13, v10, v12
	v_div_fixup_f32 v11, v14, v11, 1.0
	s_delay_alu instid0(VALU_DEP_1) | instskip(NEXT) | instid1(VALU_DEP_1)
	v_dual_fma_f32 v14, -v12, v10, v13 :: v_dual_mul_f32 v10, v23, v11
	v_mul_f32_e32 v14, v14, v11
.LBB52_178:                             ;   in Loop: Header=BB52_114 Depth=1
	s_and_not1_saveexec_b32 s21, s1
	s_cbranch_execz .LBB52_180
; %bb.179:                              ;   in Loop: Header=BB52_114 Depth=1
	s_wait_loadcnt 0x1
	v_div_scale_f32 v10, null, v22, v22, v12
	v_div_scale_f32 v11, null, v15, v15, v13
	v_div_scale_f32 v32, vcc_lo, v12, v22, v12
	s_delay_alu instid0(VALU_DEP_3) | instskip(NEXT) | instid1(VALU_DEP_2)
	v_rcp_f32_e32 v14, v10
	v_rcp_f32_e32 v23, v11
	s_delay_alu instid0(TRANS32_DEP_2) | instskip(NEXT) | instid1(TRANS32_DEP_1)
	v_fma_f32 v24, -v10, v14, 1.0
	v_fma_f32 v25, -v11, v23, 1.0
	s_delay_alu instid0(VALU_DEP_1) | instskip(SKIP_1) | instid1(VALU_DEP_1)
	v_dual_fmac_f32 v14, v24, v14 :: v_dual_fmac_f32 v23, v25, v23
	v_div_scale_f32 v24, s1, v13, v15, v13
	v_mul_f32_e32 v33, v24, v23
	s_delay_alu instid0(VALU_DEP_1) | instskip(NEXT) | instid1(VALU_DEP_1)
	v_dual_mul_f32 v25, v32, v14 :: v_dual_fma_f32 v35, -v11, v33, v24
	v_dual_fma_f32 v34, -v10, v25, v32 :: v_dual_fmac_f32 v33, v35, v23
	s_delay_alu instid0(VALU_DEP_1) | instskip(NEXT) | instid1(VALU_DEP_1)
	v_dual_fmac_f32 v25, v34, v14 :: v_dual_fma_f32 v11, -v11, v33, v24
	v_fma_f32 v10, -v10, v25, v32
	s_delay_alu instid0(VALU_DEP_1) | instskip(SKIP_1) | instid1(VALU_DEP_3)
	v_div_fmas_f32 v10, v10, v14, v25
	s_mov_b32 vcc_lo, s1
	v_div_fmas_f32 v11, v11, v23, v33
	s_delay_alu instid0(VALU_DEP_2) | instskip(NEXT) | instid1(VALU_DEP_2)
	v_div_fixup_f32 v10, v10, v22, v12
	v_div_fixup_f32 v14, v11, v15, v13
.LBB52_180:                             ;   in Loop: Header=BB52_114 Depth=1
	s_or_b32 exec_lo, exec_lo, s21
.LBB52_181:                             ;   in Loop: Header=BB52_114 Depth=1
	s_and_not1_saveexec_b32 s1, s20
	s_cbranch_execz .LBB52_183
; %bb.182:                              ;   in Loop: Header=BB52_114 Depth=1
	s_wait_loadcnt 0x1
	v_div_scale_f32 v10, null, v17, v17, v16
	v_div_scale_f32 v23, vcc_lo, v16, v17, v16
	s_delay_alu instid0(VALU_DEP_2) | instskip(SKIP_1) | instid1(TRANS32_DEP_1)
	v_rcp_f32_e32 v11, v10
	v_nop
	v_fma_f32 v14, -v10, v11, 1.0
	s_delay_alu instid0(VALU_DEP_1) | instskip(NEXT) | instid1(VALU_DEP_1)
	v_fmac_f32_e32 v11, v14, v11
	v_mul_f32_e32 v14, v23, v11
	s_delay_alu instid0(VALU_DEP_1) | instskip(NEXT) | instid1(VALU_DEP_1)
	v_fma_f32 v24, -v10, v14, v23
	v_fmac_f32_e32 v14, v24, v11
	s_delay_alu instid0(VALU_DEP_1) | instskip(NEXT) | instid1(VALU_DEP_1)
	v_fma_f32 v10, -v10, v14, v23
	v_div_fmas_f32 v10, v10, v11, v14
	s_delay_alu instid0(VALU_DEP_1) | instskip(NEXT) | instid1(VALU_DEP_1)
	v_div_fixup_f32 v10, v10, v17, v16
	v_fma_f32 v11, v16, v10, v17
	s_delay_alu instid0(VALU_DEP_1) | instskip(SKIP_1) | instid1(VALU_DEP_2)
	v_div_scale_f32 v14, null, v11, v11, 1.0
	v_div_scale_f32 v25, vcc_lo, 1.0, v11, 1.0
	v_rcp_f32_e32 v23, v14
	v_nop
	s_delay_alu instid0(TRANS32_DEP_1) | instskip(NEXT) | instid1(VALU_DEP_1)
	v_fma_f32 v24, -v14, v23, 1.0
	v_fmac_f32_e32 v23, v24, v23
	s_delay_alu instid0(VALU_DEP_1) | instskip(NEXT) | instid1(VALU_DEP_1)
	v_mul_f32_e32 v24, v25, v23
	v_fma_f32 v32, -v14, v24, v25
	s_delay_alu instid0(VALU_DEP_1) | instskip(NEXT) | instid1(VALU_DEP_1)
	v_fmac_f32_e32 v24, v32, v23
	v_fma_f32 v14, -v14, v24, v25
	s_delay_alu instid0(VALU_DEP_1) | instskip(SKIP_1) | instid1(VALU_DEP_2)
	v_div_fmas_f32 v14, v14, v23, v24
	v_fma_f32 v23, v12, v10, v13
	v_div_fixup_f32 v11, v14, v11, 1.0
	s_delay_alu instid0(VALU_DEP_1) | instskip(NEXT) | instid1(VALU_DEP_1)
	v_dual_fma_f32 v14, v13, v10, -v12 :: v_dual_mul_f32 v10, v23, v11
	v_mul_f32_e32 v14, v14, v11
.LBB52_183:                             ;   in Loop: Header=BB52_114 Depth=1
	s_or_b32 exec_lo, exec_lo, s1
	v_mov_b64_e32 v[24:25], s[4:5]
	v_mov_b64_e32 v[32:33], s[12:13]
	s_mov_b32 s1, 0
	s_delay_alu instid0(VALU_DEP_2) | instskip(SKIP_1) | instid1(VALU_DEP_2)
	v_pk_mul_f32 v[24:25], v[14:15], v[24:25] op_sel_hi:[0,1]
	s_wait_loadcnt 0x1
	v_pk_mul_f32 v[34:35], v[10:11], v[32:33] op_sel_hi:[0,1]
	s_delay_alu instid0(VALU_DEP_2) | instskip(NEXT) | instid1(VALU_DEP_2)
	v_pk_fma_f32 v[10:11], v[10:11], v[32:33], v[24:25] op_sel_hi:[0,1,1]
	v_sub_f32_e32 v10, v34, v24
.LBB52_184:                             ;   in Loop: Header=BB52_114 Depth=1
	s_and_b32 vcc_lo, exec_lo, s1
	s_cbranch_vccz .LBB52_113
; %bb.185:                              ;   in Loop: Header=BB52_114 Depth=1
                                        ; implicit-def: $vgpr11
	s_and_saveexec_b32 s1, s0
	s_delay_alu instid0(SALU_CYCLE_1)
	s_xor_b32 s1, exec_lo, s1
	s_cbranch_execz .LBB52_191
; %bb.186:                              ;   in Loop: Header=BB52_114 Depth=1
	v_cmp_neq_f32_e32 vcc_lo, 0, v16
	v_cmp_neq_f32_e64 s0, 0, v17
                                        ; implicit-def: $vgpr11
	s_or_b32 s0, vcc_lo, s0
	s_delay_alu instid0(SALU_CYCLE_1) | instskip(NEXT) | instid1(SALU_CYCLE_1)
	s_and_saveexec_b32 s20, s0
	s_xor_b32 s0, exec_lo, s20
	s_cbranch_execz .LBB52_188
; %bb.187:                              ;   in Loop: Header=BB52_114 Depth=1
	s_wait_loadcnt 0x1
	v_div_scale_f32 v10, null, v16, v16, v17
	v_div_scale_f32 v15, vcc_lo, v17, v16, v17
	s_delay_alu instid0(VALU_DEP_2) | instskip(SKIP_1) | instid1(TRANS32_DEP_1)
	v_rcp_f32_e32 v11, v10
	v_nop
	v_fma_f32 v14, -v10, v11, 1.0
	s_delay_alu instid0(VALU_DEP_1) | instskip(NEXT) | instid1(VALU_DEP_1)
	v_fmac_f32_e32 v11, v14, v11
	v_mul_f32_e32 v14, v15, v11
	s_delay_alu instid0(VALU_DEP_1) | instskip(NEXT) | instid1(VALU_DEP_1)
	v_fma_f32 v22, -v10, v14, v15
	v_fmac_f32_e32 v14, v22, v11
	s_delay_alu instid0(VALU_DEP_1) | instskip(NEXT) | instid1(VALU_DEP_1)
	v_fma_f32 v10, -v10, v14, v15
	v_div_fmas_f32 v10, v10, v11, v14
	s_delay_alu instid0(VALU_DEP_1) | instskip(NEXT) | instid1(VALU_DEP_1)
	v_div_fixup_f32 v10, v10, v16, v17
	v_fmac_f32_e32 v16, v17, v10
	s_delay_alu instid0(VALU_DEP_1) | instskip(SKIP_1) | instid1(VALU_DEP_2)
	v_div_scale_f32 v11, null, v16, v16, 1.0
	v_div_scale_f32 v17, vcc_lo, 1.0, v16, 1.0
	v_rcp_f32_e32 v14, v11
	v_nop
	s_delay_alu instid0(TRANS32_DEP_1) | instskip(NEXT) | instid1(VALU_DEP_1)
	v_fma_f32 v15, -v11, v14, 1.0
	v_fmac_f32_e32 v14, v15, v14
	s_delay_alu instid0(VALU_DEP_1) | instskip(NEXT) | instid1(VALU_DEP_1)
	v_mul_f32_e32 v15, v17, v14
	v_fma_f32 v22, -v11, v15, v17
	s_delay_alu instid0(VALU_DEP_1) | instskip(NEXT) | instid1(VALU_DEP_1)
	v_fmac_f32_e32 v15, v22, v14
                                        ; implicit-def: $vgpr22
	v_fma_f32 v11, -v11, v15, v17
	s_delay_alu instid0(VALU_DEP_1) | instskip(SKIP_2) | instid1(VALU_DEP_3)
	v_div_fmas_f32 v17, v11, v14, v15
	v_pk_fma_f32 v[14:15], v[12:13], v[10:11], v[12:13] op_sel:[1,0,0] op_sel_hi:[0,0,1] neg_lo:[1,0,0] neg_hi:[1,0,0]
	v_pk_fma_f32 v[10:11], v[12:13], v[10:11], v[12:13] op_sel:[1,0,0] op_sel_hi:[0,0,1]
	v_div_fixup_f32 v12, v17, v16, 1.0
	s_delay_alu instid0(VALU_DEP_3) | instskip(NEXT) | instid1(VALU_DEP_1)
	v_mov_b32_e32 v11, v15
                                        ; implicit-def: $vgpr15
	v_pk_mul_f32 v[10:11], v[10:11], v[12:13] op_sel_hi:[1,0]
                                        ; implicit-def: $vgpr12_vgpr13
.LBB52_188:                             ;   in Loop: Header=BB52_114 Depth=1
	s_and_not1_saveexec_b32 s20, s0
	s_cbranch_execz .LBB52_190
; %bb.189:                              ;   in Loop: Header=BB52_114 Depth=1
	s_wait_loadcnt 0x1
	v_div_scale_f32 v10, null, v22, v22, v12
	v_div_scale_f32 v11, null, v15, v15, v13
	v_div_scale_f32 v24, vcc_lo, v12, v22, v12
	s_delay_alu instid0(VALU_DEP_3) | instskip(NEXT) | instid1(VALU_DEP_2)
	v_rcp_f32_e32 v14, v10
	v_rcp_f32_e32 v16, v11
	s_delay_alu instid0(TRANS32_DEP_2) | instskip(NEXT) | instid1(TRANS32_DEP_1)
	v_fma_f32 v17, -v10, v14, 1.0
	v_fma_f32 v23, -v11, v16, 1.0
	s_delay_alu instid0(VALU_DEP_1) | instskip(SKIP_1) | instid1(VALU_DEP_1)
	v_dual_fmac_f32 v14, v17, v14 :: v_dual_fmac_f32 v16, v23, v16
	v_div_scale_f32 v17, s0, v13, v15, v13
	v_dual_mul_f32 v23, v24, v14 :: v_dual_mul_f32 v25, v17, v16
	s_delay_alu instid0(VALU_DEP_1) | instskip(NEXT) | instid1(VALU_DEP_1)
	v_dual_fma_f32 v32, -v10, v23, v24 :: v_dual_fma_f32 v33, -v11, v25, v17
	v_dual_fmac_f32 v23, v32, v14 :: v_dual_fmac_f32 v25, v33, v16
	s_delay_alu instid0(VALU_DEP_1) | instskip(NEXT) | instid1(VALU_DEP_1)
	v_dual_fma_f32 v10, -v10, v23, v24 :: v_dual_fma_f32 v11, -v11, v25, v17
	v_div_fmas_f32 v10, v10, v14, v23
	s_mov_b32 vcc_lo, s0
	s_delay_alu instid0(VALU_DEP_2) | instskip(NEXT) | instid1(VALU_DEP_2)
	v_div_fmas_f32 v11, v11, v16, v25
	v_div_fixup_f32 v10, v10, v22, v12
	s_delay_alu instid0(VALU_DEP_2)
	v_div_fixup_f32 v11, v11, v15, v13
.LBB52_190:                             ;   in Loop: Header=BB52_114 Depth=1
	s_or_b32 exec_lo, exec_lo, s20
                                        ; implicit-def: $vgpr14_vgpr15_vgpr16_vgpr17
                                        ; implicit-def: $vgpr12_vgpr13
.LBB52_191:                             ;   in Loop: Header=BB52_114 Depth=1
	s_and_not1_saveexec_b32 s0, s1
	s_cbranch_execz .LBB52_112
; %bb.192:                              ;   in Loop: Header=BB52_114 Depth=1
	s_wait_loadcnt 0x1
	v_div_scale_f32 v10, null, v17, v17, v16
	v_div_scale_f32 v15, vcc_lo, v16, v17, v16
	s_delay_alu instid0(VALU_DEP_2) | instskip(SKIP_1) | instid1(TRANS32_DEP_1)
	v_rcp_f32_e32 v11, v10
	v_nop
	v_fma_f32 v14, -v10, v11, 1.0
	s_delay_alu instid0(VALU_DEP_1) | instskip(NEXT) | instid1(VALU_DEP_1)
	v_fmac_f32_e32 v11, v14, v11
	v_mul_f32_e32 v14, v15, v11
	s_delay_alu instid0(VALU_DEP_1) | instskip(NEXT) | instid1(VALU_DEP_1)
	v_fma_f32 v22, -v10, v14, v15
	v_fmac_f32_e32 v14, v22, v11
	s_delay_alu instid0(VALU_DEP_1) | instskip(NEXT) | instid1(VALU_DEP_1)
	v_fma_f32 v10, -v10, v14, v15
	v_div_fmas_f32 v10, v10, v11, v14
	s_delay_alu instid0(VALU_DEP_1) | instskip(NEXT) | instid1(VALU_DEP_1)
	v_div_fixup_f32 v10, v10, v17, v16
	v_fmac_f32_e32 v17, v16, v10
	s_delay_alu instid0(VALU_DEP_1) | instskip(SKIP_1) | instid1(VALU_DEP_2)
	v_div_scale_f32 v11, null, v17, v17, 1.0
	v_div_scale_f32 v16, vcc_lo, 1.0, v17, 1.0
	v_rcp_f32_e32 v14, v11
	v_nop
	s_delay_alu instid0(TRANS32_DEP_1) | instskip(NEXT) | instid1(VALU_DEP_1)
	v_fma_f32 v15, -v11, v14, 1.0
	v_fmac_f32_e32 v14, v15, v14
	s_delay_alu instid0(VALU_DEP_1) | instskip(NEXT) | instid1(VALU_DEP_1)
	v_mul_f32_e32 v15, v16, v14
	v_fma_f32 v22, -v11, v15, v16
	s_delay_alu instid0(VALU_DEP_1) | instskip(NEXT) | instid1(VALU_DEP_1)
	v_fmac_f32_e32 v15, v22, v14
	v_fma_f32 v11, -v11, v15, v16
	s_delay_alu instid0(VALU_DEP_1) | instskip(SKIP_2) | instid1(VALU_DEP_3)
	v_div_fmas_f32 v16, v11, v14, v15
	v_pk_fma_f32 v[14:15], v[12:13], v[10:11], v[12:13] op_sel:[0,0,1] op_sel_hi:[1,0,0] neg_lo:[0,0,1] neg_hi:[0,0,1]
	v_pk_fma_f32 v[10:11], v[12:13], v[10:11], v[12:13] op_sel:[0,0,1] op_sel_hi:[1,0,0]
	v_div_fixup_f32 v12, v16, v17, 1.0
	s_delay_alu instid0(VALU_DEP_3) | instskip(NEXT) | instid1(VALU_DEP_1)
	v_mov_b32_e32 v11, v15
	v_pk_mul_f32 v[10:11], v[10:11], v[12:13] op_sel_hi:[1,0]
	s_branch .LBB52_112
.LBB52_193:
	s_endpgm
	.section	.rodata,"a",@progbits
	.p2align	6, 0x0
	.amdhsa_kernel _ZN2at6native12_GLOBAL__N_125multi_tensor_apply_kernelINS1_18TensorListMetadataILi4EEENS1_24PointwiseOpScalarFunctorIN3c107complexIfEELi4ELi3ELi3EEEJSt7dividesIS8_ES8_EEEvT_T0_DpT1_
		.amdhsa_group_segment_fixed_size 0
		.amdhsa_private_segment_fixed_size 0
		.amdhsa_kernarg_size 3320
		.amdhsa_user_sgpr_count 2
		.amdhsa_user_sgpr_dispatch_ptr 0
		.amdhsa_user_sgpr_queue_ptr 0
		.amdhsa_user_sgpr_kernarg_segment_ptr 1
		.amdhsa_user_sgpr_dispatch_id 0
		.amdhsa_user_sgpr_kernarg_preload_length 0
		.amdhsa_user_sgpr_kernarg_preload_offset 0
		.amdhsa_user_sgpr_private_segment_size 0
		.amdhsa_wavefront_size32 1
		.amdhsa_uses_dynamic_stack 0
		.amdhsa_enable_private_segment 0
		.amdhsa_system_sgpr_workgroup_id_x 1
		.amdhsa_system_sgpr_workgroup_id_y 0
		.amdhsa_system_sgpr_workgroup_id_z 0
		.amdhsa_system_sgpr_workgroup_info 0
		.amdhsa_system_vgpr_workitem_id 0
		.amdhsa_next_free_vgpr 50
		.amdhsa_next_free_sgpr 36
		.amdhsa_named_barrier_count 0
		.amdhsa_reserve_vcc 1
		.amdhsa_float_round_mode_32 0
		.amdhsa_float_round_mode_16_64 0
		.amdhsa_float_denorm_mode_32 3
		.amdhsa_float_denorm_mode_16_64 3
		.amdhsa_fp16_overflow 0
		.amdhsa_memory_ordered 1
		.amdhsa_forward_progress 1
		.amdhsa_inst_pref_size 109
		.amdhsa_round_robin_scheduling 0
		.amdhsa_exception_fp_ieee_invalid_op 0
		.amdhsa_exception_fp_denorm_src 0
		.amdhsa_exception_fp_ieee_div_zero 0
		.amdhsa_exception_fp_ieee_overflow 0
		.amdhsa_exception_fp_ieee_underflow 0
		.amdhsa_exception_fp_ieee_inexact 0
		.amdhsa_exception_int_div_zero 0
	.end_amdhsa_kernel
	.section	.text._ZN2at6native12_GLOBAL__N_125multi_tensor_apply_kernelINS1_18TensorListMetadataILi4EEENS1_24PointwiseOpScalarFunctorIN3c107complexIfEELi4ELi3ELi3EEEJSt7dividesIS8_ES8_EEEvT_T0_DpT1_,"axG",@progbits,_ZN2at6native12_GLOBAL__N_125multi_tensor_apply_kernelINS1_18TensorListMetadataILi4EEENS1_24PointwiseOpScalarFunctorIN3c107complexIfEELi4ELi3ELi3EEEJSt7dividesIS8_ES8_EEEvT_T0_DpT1_,comdat
.Lfunc_end52:
	.size	_ZN2at6native12_GLOBAL__N_125multi_tensor_apply_kernelINS1_18TensorListMetadataILi4EEENS1_24PointwiseOpScalarFunctorIN3c107complexIfEELi4ELi3ELi3EEEJSt7dividesIS8_ES8_EEEvT_T0_DpT1_, .Lfunc_end52-_ZN2at6native12_GLOBAL__N_125multi_tensor_apply_kernelINS1_18TensorListMetadataILi4EEENS1_24PointwiseOpScalarFunctorIN3c107complexIfEELi4ELi3ELi3EEEJSt7dividesIS8_ES8_EEEvT_T0_DpT1_
                                        ; -- End function
	.set _ZN2at6native12_GLOBAL__N_125multi_tensor_apply_kernelINS1_18TensorListMetadataILi4EEENS1_24PointwiseOpScalarFunctorIN3c107complexIfEELi4ELi3ELi3EEEJSt7dividesIS8_ES8_EEEvT_T0_DpT1_.num_vgpr, 50
	.set _ZN2at6native12_GLOBAL__N_125multi_tensor_apply_kernelINS1_18TensorListMetadataILi4EEENS1_24PointwiseOpScalarFunctorIN3c107complexIfEELi4ELi3ELi3EEEJSt7dividesIS8_ES8_EEEvT_T0_DpT1_.num_agpr, 0
	.set _ZN2at6native12_GLOBAL__N_125multi_tensor_apply_kernelINS1_18TensorListMetadataILi4EEENS1_24PointwiseOpScalarFunctorIN3c107complexIfEELi4ELi3ELi3EEEJSt7dividesIS8_ES8_EEEvT_T0_DpT1_.numbered_sgpr, 36
	.set _ZN2at6native12_GLOBAL__N_125multi_tensor_apply_kernelINS1_18TensorListMetadataILi4EEENS1_24PointwiseOpScalarFunctorIN3c107complexIfEELi4ELi3ELi3EEEJSt7dividesIS8_ES8_EEEvT_T0_DpT1_.num_named_barrier, 0
	.set _ZN2at6native12_GLOBAL__N_125multi_tensor_apply_kernelINS1_18TensorListMetadataILi4EEENS1_24PointwiseOpScalarFunctorIN3c107complexIfEELi4ELi3ELi3EEEJSt7dividesIS8_ES8_EEEvT_T0_DpT1_.private_seg_size, 0
	.set _ZN2at6native12_GLOBAL__N_125multi_tensor_apply_kernelINS1_18TensorListMetadataILi4EEENS1_24PointwiseOpScalarFunctorIN3c107complexIfEELi4ELi3ELi3EEEJSt7dividesIS8_ES8_EEEvT_T0_DpT1_.uses_vcc, 1
	.set _ZN2at6native12_GLOBAL__N_125multi_tensor_apply_kernelINS1_18TensorListMetadataILi4EEENS1_24PointwiseOpScalarFunctorIN3c107complexIfEELi4ELi3ELi3EEEJSt7dividesIS8_ES8_EEEvT_T0_DpT1_.uses_flat_scratch, 0
	.set _ZN2at6native12_GLOBAL__N_125multi_tensor_apply_kernelINS1_18TensorListMetadataILi4EEENS1_24PointwiseOpScalarFunctorIN3c107complexIfEELi4ELi3ELi3EEEJSt7dividesIS8_ES8_EEEvT_T0_DpT1_.has_dyn_sized_stack, 0
	.set _ZN2at6native12_GLOBAL__N_125multi_tensor_apply_kernelINS1_18TensorListMetadataILi4EEENS1_24PointwiseOpScalarFunctorIN3c107complexIfEELi4ELi3ELi3EEEJSt7dividesIS8_ES8_EEEvT_T0_DpT1_.has_recursion, 0
	.set _ZN2at6native12_GLOBAL__N_125multi_tensor_apply_kernelINS1_18TensorListMetadataILi4EEENS1_24PointwiseOpScalarFunctorIN3c107complexIfEELi4ELi3ELi3EEEJSt7dividesIS8_ES8_EEEvT_T0_DpT1_.has_indirect_call, 0
	.section	.AMDGPU.csdata,"",@progbits
; Kernel info:
; codeLenInByte = 13900
; TotalNumSgprs: 38
; NumVgprs: 50
; ScratchSize: 0
; MemoryBound: 1
; FloatMode: 240
; IeeeMode: 1
; LDSByteSize: 0 bytes/workgroup (compile time only)
; SGPRBlocks: 0
; VGPRBlocks: 3
; NumSGPRsForWavesPerEU: 38
; NumVGPRsForWavesPerEU: 50
; NamedBarCnt: 0
; Occupancy: 16
; WaveLimiterHint : 0
; COMPUTE_PGM_RSRC2:SCRATCH_EN: 0
; COMPUTE_PGM_RSRC2:USER_SGPR: 2
; COMPUTE_PGM_RSRC2:TRAP_HANDLER: 0
; COMPUTE_PGM_RSRC2:TGID_X_EN: 1
; COMPUTE_PGM_RSRC2:TGID_Y_EN: 0
; COMPUTE_PGM_RSRC2:TGID_Z_EN: 0
; COMPUTE_PGM_RSRC2:TIDIG_COMP_CNT: 0
	.section	.text._ZN2at6native12_GLOBAL__N_125multi_tensor_apply_kernelINS1_18TensorListMetadataILi4EEENS1_24PointwiseOpScalarFunctorIN3c104HalfELi4ELi3ELi3EEEJSt7dividesIfEfEEEvT_T0_DpT1_,"axG",@progbits,_ZN2at6native12_GLOBAL__N_125multi_tensor_apply_kernelINS1_18TensorListMetadataILi4EEENS1_24PointwiseOpScalarFunctorIN3c104HalfELi4ELi3ELi3EEEJSt7dividesIfEfEEEvT_T0_DpT1_,comdat
	.globl	_ZN2at6native12_GLOBAL__N_125multi_tensor_apply_kernelINS1_18TensorListMetadataILi4EEENS1_24PointwiseOpScalarFunctorIN3c104HalfELi4ELi3ELi3EEEJSt7dividesIfEfEEEvT_T0_DpT1_ ; -- Begin function _ZN2at6native12_GLOBAL__N_125multi_tensor_apply_kernelINS1_18TensorListMetadataILi4EEENS1_24PointwiseOpScalarFunctorIN3c104HalfELi4ELi3ELi3EEEJSt7dividesIfEfEEEvT_T0_DpT1_
	.p2align	8
	.type	_ZN2at6native12_GLOBAL__N_125multi_tensor_apply_kernelINS1_18TensorListMetadataILi4EEENS1_24PointwiseOpScalarFunctorIN3c104HalfELi4ELi3ELi3EEEJSt7dividesIfEfEEEvT_T0_DpT1_,@function
_ZN2at6native12_GLOBAL__N_125multi_tensor_apply_kernelINS1_18TensorListMetadataILi4EEENS1_24PointwiseOpScalarFunctorIN3c104HalfELi4ELi3ELi3EEEJSt7dividesIfEfEEEvT_T0_DpT1_: ; @_ZN2at6native12_GLOBAL__N_125multi_tensor_apply_kernelINS1_18TensorListMetadataILi4EEENS1_24PointwiseOpScalarFunctorIN3c104HalfELi4ELi3ELi3EEEJSt7dividesIfEfEEEvT_T0_DpT1_
; %bb.0:
	s_bfe_u32 s2, ttmp6, 0x4000c
	s_and_b32 s3, ttmp6, 15
	s_add_co_i32 s2, s2, 1
	s_getreg_b32 s4, hwreg(HW_REG_IB_STS2, 6, 4)
	s_mul_i32 s2, ttmp9, s2
	s_delay_alu instid0(SALU_CYCLE_1)
	s_add_co_i32 s3, s3, s2
	s_cmp_eq_u32 s4, 0
	s_cselect_b32 s2, ttmp9, s3
	s_mov_b32 s3, 0
	s_load_u8 s14, s[0:1], s2 offset:0x5a0
	s_add_nc_u64 s[4:5], s[0:1], s[2:3]
	s_mul_u64 s[6:7], s[2:3], 3
	s_delay_alu instid0(SALU_CYCLE_1)
	s_add_nc_u64 s[4:5], s[4:5], s[6:7]
	s_load_b32 s18, s[4:5], 0x6e0
	s_wait_kmcnt 0x0
	s_clause 0x4
	s_load_b64 s[6:7], s[0:1], s14 offset:0x120 scale_offset
	s_load_b64 s[8:9], s[0:1], s14 offset:0x0 scale_offset
	;; [unrolled: 1-line block ×5, first 2 shown]
	s_ashr_i32 s19, s18, 31
	s_wait_xcnt 0x0
	s_lshl_b64 s[14:15], s[18:19], 17
	s_wait_kmcnt 0x0
	s_add_nc_u64 s[4:5], s[6:7], s[14:15]
	s_add_nc_u64 s[16:17], s[10:11], s[14:15]
	s_and_b32 s2, s4, 7
	s_and_b64 s[4:5], s[8:9], 7
	s_cmp_eq_u64 s[2:3], 0
	s_cselect_b32 s17, -1, 0
	s_or_b32 s2, s12, s16
	s_load_b32 s16, s[0:1], 0xbec
	s_and_b32 s2, s2, 7
	s_delay_alu instid0(SALU_CYCLE_1)
	s_cmp_eq_u32 s2, 0
	s_cselect_b32 s22, -1, 0
	s_and_b32 s2, s20, 3
	s_and_b32 s17, s22, s17
	s_or_b64 s[2:3], s[4:5], s[2:3]
	s_lshl_b64 s[4:5], s[18:19], 16
	s_cmp_eq_u64 s[2:3], 0
	s_sub_nc_u64 s[18:19], s[20:21], s[4:5]
	s_cselect_b32 s2, -1, 0
	s_delay_alu instid0(SALU_CYCLE_1) | instskip(NEXT) | instid1(SALU_CYCLE_1)
	s_and_b32 s2, s17, s2
	s_and_b32 vcc_lo, exec_lo, s2
	s_mov_b32 s2, -1
	s_cbranch_vccnz .LBB53_29
; %bb.1:
	v_cmp_lt_i64_e64 s2, s[18:19], 1
	s_and_b32 vcc_lo, exec_lo, s2
	s_cbranch_vccnz .LBB53_28
; %bb.2:
	s_load_b32 s2, s[0:1], 0xbfc
	v_min_i64 v[2:3], 0x10000, s[18:19]
	v_min_u64 v[4:5], 0x10000, s[18:19]
	v_dual_mov_b32 v1, 0 :: v_dual_lshlrev_b32 v20, 1, v0
	s_mov_b32 s23, 0
	s_mov_b64 s[24:25], 0
	s_mov_b32 s3, s23
	s_delay_alu instid0(VALU_DEP_1) | instskip(SKIP_2) | instid1(VALU_DEP_1)
	v_dual_mov_b32 v21, v1 :: v_dual_mov_b32 v43, v1
	s_mov_b32 s21, s23
	s_mov_b32 s5, s23
	v_add_nc_u64_e32 v[6:7], s[8:9], v[20:21]
	v_add_nc_u64_e32 v[8:9], s[6:7], v[20:21]
	v_add_nc_u64_e32 v[10:11], s[10:11], v[20:21]
	v_add_nc_u64_e32 v[14:15], s[12:13], v[20:21]
	s_wait_kmcnt 0x0
	s_and_b32 s22, s2, 0xffff
	s_delay_alu instid0(SALU_CYCLE_1)
	s_lshl_b32 s4, s22, 1
	s_cmp_eq_f32 s16, 1.0
	v_add_nc_u64_e32 v[12:13], s[22:23], v[0:1]
	v_mad_nc_u64_u32 v[26:27], s22, 6, v[20:21]
	s_mul_i32 s2, s22, 3
	v_add_nc_u64_e32 v[18:19], s[4:5], v[0:1]
	v_add_nc_u64_e32 v[16:17], s[2:3], v[0:1]
	s_cselect_b32 s2, -1, 0
	s_lshl_b32 s20, s22, 2
	v_lshlrev_b32_e32 v42, 1, v12
	v_add_nc_u64_e32 v[38:39], s[20:21], v[20:21]
	s_lshl_b32 s22, s22, 3
	v_add_nc_u64_e32 v[20:21], s[8:9], v[26:27]
	v_add_nc_u64_e32 v[22:23], s[6:7], v[26:27]
	;; [unrolled: 1-line block ×12, first 2 shown]
	s_branch .LBB53_4
.LBB53_3:                               ;   in Loop: Header=BB53_4 Depth=1
	s_wait_xcnt 0x0
	s_or_b32 exec_lo, exec_lo, s3
	s_add_nc_u64 s[24:25], s[24:25], s[20:21]
	v_add_nc_u64_e32 v[6:7], s[22:23], v[6:7]
	v_cmp_lt_i64_e32 vcc_lo, s[24:25], v[2:3]
	v_add_nc_u64_e32 v[8:9], s[22:23], v[8:9]
	v_add_nc_u64_e32 v[10:11], s[22:23], v[10:11]
	;; [unrolled: 1-line block ×15, first 2 shown]
	s_cbranch_vccz .LBB53_28
.LBB53_4:                               ; =>This Inner Loop Header: Depth=1
	v_add_nc_u64_e32 v[44:45], s[24:25], v[0:1]
	v_mov_b32_e32 v46, 0
	s_delay_alu instid0(VALU_DEP_2)
	v_cmp_lt_u64_e32 vcc_lo, v[44:45], v[4:5]
	v_mov_b32_e32 v45, 0
	s_and_saveexec_b32 s3, vcc_lo
	s_cbranch_execz .LBB53_6
; %bb.5:                                ;   in Loop: Header=BB53_4 Depth=1
	v_add_nc_u64_e32 v[44:45], s[14:15], v[6:7]
	v_add_nc_u64_e32 v[46:47], s[14:15], v[8:9]
	global_load_u16 v48, v[44:45], off
	global_load_u16 v49, v[46:47], off
	s_wait_loadcnt 0x1
	s_wait_xcnt 0x1
	v_cvt_f32_f16_e32 v45, v48
	s_wait_loadcnt 0x0
	s_wait_xcnt 0x0
	v_cvt_f32_f16_e32 v46, v49
.LBB53_6:                               ;   in Loop: Header=BB53_4 Depth=1
	s_or_b32 exec_lo, exec_lo, s3
	v_dual_mov_b32 v44, 0 :: v_dual_mov_b32 v51, 0
	s_and_saveexec_b32 s3, vcc_lo
	s_cbranch_execz .LBB53_8
; %bb.7:                                ;   in Loop: Header=BB53_4 Depth=1
	v_add_nc_u64_e32 v[48:49], s[14:15], v[10:11]
	global_load_u16 v47, v[48:49], off
	s_wait_loadcnt 0x0
	v_cvt_f32_f16_e32 v51, v47
.LBB53_8:                               ;   in Loop: Header=BB53_4 Depth=1
	s_wait_xcnt 0x0
	s_or_b32 exec_lo, exec_lo, s3
	v_add_nc_u64_e32 v[48:49], s[24:25], v[12:13]
	s_delay_alu instid0(VALU_DEP_1)
	v_cmp_lt_u64_e64 s3, v[48:49], v[4:5]
	v_mov_b32_e32 v48, 0
	s_and_saveexec_b32 s4, s3
	s_cbranch_execz .LBB53_10
; %bb.9:                                ;   in Loop: Header=BB53_4 Depth=1
	v_add_nc_u64_e32 v[48:49], s[14:15], v[28:29]
	v_add_nc_u64_e32 v[52:53], s[14:15], v[30:31]
	global_load_u16 v44, v[48:49], off
	global_load_u16 v47, v[52:53], off
	s_wait_loadcnt 0x1
	s_wait_xcnt 0x1
	v_cvt_f32_f16_e32 v48, v44
	s_wait_loadcnt 0x0
	v_cvt_f32_f16_e32 v44, v47
.LBB53_10:                              ;   in Loop: Header=BB53_4 Depth=1
	s_wait_xcnt 0x0
	s_or_b32 exec_lo, exec_lo, s4
	v_dual_mov_b32 v47, 0 :: v_dual_mov_b32 v53, 0
	s_and_saveexec_b32 s4, s3
	s_cbranch_execz .LBB53_12
; %bb.11:                               ;   in Loop: Header=BB53_4 Depth=1
	v_add_nc_u64_e32 v[52:53], s[14:15], v[40:41]
	global_load_u16 v49, v[52:53], off
	s_wait_loadcnt 0x0
	s_wait_xcnt 0x0
	v_cvt_f32_f16_e32 v53, v49
.LBB53_12:                              ;   in Loop: Header=BB53_4 Depth=1
	s_or_b32 exec_lo, exec_lo, s4
	v_add_nc_u64_e32 v[54:55], s[24:25], v[18:19]
	v_mov_b32_e32 v50, 0
	s_delay_alu instid0(VALU_DEP_2)
	v_cmp_lt_u64_e64 s4, v[54:55], v[4:5]
	s_and_saveexec_b32 s5, s4
	s_cbranch_execz .LBB53_14
; %bb.13:                               ;   in Loop: Header=BB53_4 Depth=1
	v_add_nc_u64_e32 v[54:55], s[14:15], v[32:33]
	v_add_nc_u64_e32 v[56:57], s[14:15], v[34:35]
	global_load_u16 v47, v[54:55], off
	global_load_u16 v49, v[56:57], off
	s_wait_loadcnt 0x1
	v_cvt_f32_f16_e32 v50, v47
	s_wait_loadcnt 0x0
	v_cvt_f32_f16_e32 v47, v49
.LBB53_14:                              ;   in Loop: Header=BB53_4 Depth=1
	s_wait_xcnt 0x0
	s_or_b32 exec_lo, exec_lo, s5
	v_dual_mov_b32 v49, 0 :: v_dual_mov_b32 v54, 0
	s_and_saveexec_b32 s5, s4
	s_cbranch_execz .LBB53_16
; %bb.15:                               ;   in Loop: Header=BB53_4 Depth=1
	v_add_nc_u64_e32 v[54:55], s[14:15], v[36:37]
	global_load_u16 v52, v[54:55], off
	s_wait_loadcnt 0x0
	s_wait_xcnt 0x0
	v_cvt_f32_f16_e32 v54, v52
.LBB53_16:                              ;   in Loop: Header=BB53_4 Depth=1
	s_or_b32 exec_lo, exec_lo, s5
	v_add_nc_u64_e32 v[56:57], s[24:25], v[16:17]
	v_mov_b32_e32 v52, 0
	s_delay_alu instid0(VALU_DEP_2)
	v_cmp_lt_u64_e64 s5, v[56:57], v[4:5]
	s_and_saveexec_b32 s17, s5
	s_cbranch_execnz .LBB53_22
; %bb.17:                               ;   in Loop: Header=BB53_4 Depth=1
	s_or_b32 exec_lo, exec_lo, s17
	v_mov_b32_e32 v55, 0
	s_and_saveexec_b32 s17, s5
	s_cbranch_execnz .LBB53_23
.LBB53_18:                              ;   in Loop: Header=BB53_4 Depth=1
	s_or_b32 exec_lo, exec_lo, s17
	s_and_saveexec_b32 s17, vcc_lo
	s_cbranch_execnz .LBB53_24
.LBB53_19:                              ;   in Loop: Header=BB53_4 Depth=1
	s_or_b32 exec_lo, exec_lo, s17
	s_and_saveexec_b32 s17, s3
	s_cbranch_execnz .LBB53_25
.LBB53_20:                              ;   in Loop: Header=BB53_4 Depth=1
	s_or_b32 exec_lo, exec_lo, s17
	s_and_saveexec_b32 s3, s4
	s_cbranch_execnz .LBB53_26
.LBB53_21:                              ;   in Loop: Header=BB53_4 Depth=1
	s_or_b32 exec_lo, exec_lo, s3
	s_and_saveexec_b32 s3, s5
	s_cbranch_execz .LBB53_3
	s_branch .LBB53_27
.LBB53_22:                              ;   in Loop: Header=BB53_4 Depth=1
	v_add_nc_u64_e32 v[56:57], s[14:15], v[20:21]
	v_add_nc_u64_e32 v[58:59], s[14:15], v[22:23]
	global_load_u16 v49, v[56:57], off
	global_load_u16 v55, v[58:59], off
	s_wait_loadcnt 0x1
	v_cvt_f32_f16_e32 v52, v49
	s_wait_loadcnt 0x0
	v_cvt_f32_f16_e32 v49, v55
	s_wait_xcnt 0x0
	s_or_b32 exec_lo, exec_lo, s17
	v_mov_b32_e32 v55, 0
	s_and_saveexec_b32 s17, s5
	s_cbranch_execz .LBB53_18
.LBB53_23:                              ;   in Loop: Header=BB53_4 Depth=1
	v_add_nc_u64_e32 v[56:57], s[14:15], v[24:25]
	global_load_u16 v55, v[56:57], off
	s_wait_loadcnt 0x0
	v_cvt_f32_f16_e32 v55, v55
	s_wait_xcnt 0x0
	s_or_b32 exec_lo, exec_lo, s17
	s_and_saveexec_b32 s17, vcc_lo
	s_cbranch_execz .LBB53_19
.LBB53_24:                              ;   in Loop: Header=BB53_4 Depth=1
	v_div_scale_f32 v56, null, v51, v51, v46
	v_div_scale_f32 v59, vcc_lo, v46, v51, v46
	s_delay_alu instid0(VALU_DEP_2) | instskip(SKIP_1) | instid1(TRANS32_DEP_1)
	v_rcp_f32_e32 v57, v56
	v_nop
	v_fma_f32 v58, -v56, v57, 1.0
	s_delay_alu instid0(VALU_DEP_1) | instskip(NEXT) | instid1(VALU_DEP_1)
	v_fmac_f32_e32 v57, v58, v57
	v_mul_f32_e32 v58, v59, v57
	s_delay_alu instid0(VALU_DEP_1) | instskip(NEXT) | instid1(VALU_DEP_1)
	v_fma_f32 v60, -v56, v58, v59
	v_fmac_f32_e32 v58, v60, v57
	s_delay_alu instid0(VALU_DEP_1) | instskip(NEXT) | instid1(VALU_DEP_1)
	v_fma_f32 v56, -v56, v58, v59
	v_div_fmas_f32 v56, v56, v57, v58
	s_delay_alu instid0(VALU_DEP_1) | instskip(SKIP_1) | instid1(VALU_DEP_2)
	v_div_fixup_f32 v46, v56, v51, v46
	v_add_nc_u64_e32 v[56:57], s[14:15], v[14:15]
	v_dual_add_f32 v51, v45, v46 :: v_dual_fmac_f32 v45, s16, v46
	s_delay_alu instid0(VALU_DEP_1) | instskip(NEXT) | instid1(VALU_DEP_1)
	v_cndmask_b32_e64 v45, v45, v51, s2
	v_cvt_f16_f32_e32 v45, v45
	global_store_b16 v[56:57], v45, off
	s_wait_xcnt 0x0
	s_or_b32 exec_lo, exec_lo, s17
	s_and_saveexec_b32 s17, s3
	s_cbranch_execz .LBB53_20
.LBB53_25:                              ;   in Loop: Header=BB53_4 Depth=1
	v_div_scale_f32 v45, null, v53, v53, v44
	v_div_scale_f32 v56, vcc_lo, v44, v53, v44
	s_delay_alu instid0(VALU_DEP_2) | instskip(SKIP_1) | instid1(TRANS32_DEP_1)
	v_rcp_f32_e32 v46, v45
	v_nop
	v_fma_f32 v51, -v45, v46, 1.0
	s_delay_alu instid0(VALU_DEP_1) | instskip(NEXT) | instid1(VALU_DEP_1)
	v_fmac_f32_e32 v46, v51, v46
	v_mul_f32_e32 v51, v56, v46
	s_delay_alu instid0(VALU_DEP_1) | instskip(NEXT) | instid1(VALU_DEP_1)
	v_fma_f32 v57, -v45, v51, v56
	v_fmac_f32_e32 v51, v57, v46
	s_delay_alu instid0(VALU_DEP_1) | instskip(NEXT) | instid1(VALU_DEP_1)
	v_fma_f32 v45, -v45, v51, v56
	v_div_fmas_f32 v45, v45, v46, v51
	s_delay_alu instid0(VALU_DEP_1) | instskip(NEXT) | instid1(VALU_DEP_1)
	v_div_fixup_f32 v44, v45, v53, v44
	v_dual_add_f32 v45, v48, v44 :: v_dual_fmac_f32 v48, s16, v44
	s_delay_alu instid0(VALU_DEP_1) | instskip(SKIP_1) | instid1(VALU_DEP_2)
	v_cndmask_b32_e64 v46, v48, v45, s2
	v_add_nc_u64_e32 v[44:45], s[14:15], v[42:43]
	v_cvt_f16_f32_e32 v46, v46
	global_store_b16 v[44:45], v46, off
	s_wait_xcnt 0x0
	s_or_b32 exec_lo, exec_lo, s17
	s_and_saveexec_b32 s3, s4
	s_cbranch_execz .LBB53_21
.LBB53_26:                              ;   in Loop: Header=BB53_4 Depth=1
	v_div_scale_f32 v44, null, v54, v54, v47
	v_div_scale_f32 v48, vcc_lo, v47, v54, v47
	s_delay_alu instid0(VALU_DEP_2) | instskip(SKIP_1) | instid1(TRANS32_DEP_1)
	v_rcp_f32_e32 v45, v44
	v_nop
	v_fma_f32 v46, -v44, v45, 1.0
	s_delay_alu instid0(VALU_DEP_1) | instskip(NEXT) | instid1(VALU_DEP_1)
	v_fmac_f32_e32 v45, v46, v45
	v_mul_f32_e32 v46, v48, v45
	s_delay_alu instid0(VALU_DEP_1) | instskip(NEXT) | instid1(VALU_DEP_1)
	v_fma_f32 v51, -v44, v46, v48
	v_fmac_f32_e32 v46, v51, v45
	s_delay_alu instid0(VALU_DEP_1) | instskip(NEXT) | instid1(VALU_DEP_1)
	v_fma_f32 v44, -v44, v46, v48
	v_div_fmas_f32 v44, v44, v45, v46
	s_delay_alu instid0(VALU_DEP_1) | instskip(NEXT) | instid1(VALU_DEP_1)
	v_div_fixup_f32 v44, v44, v54, v47
	v_dual_add_f32 v45, v50, v44 :: v_dual_fmac_f32 v50, s16, v44
	s_delay_alu instid0(VALU_DEP_1) | instskip(SKIP_1) | instid1(VALU_DEP_2)
	v_cndmask_b32_e64 v46, v50, v45, s2
	v_add_nc_u64_e32 v[44:45], s[14:15], v[38:39]
	v_cvt_f16_f32_e32 v46, v46
	global_store_b16 v[44:45], v46, off
	s_wait_xcnt 0x0
	s_or_b32 exec_lo, exec_lo, s3
	s_and_saveexec_b32 s3, s5
	s_cbranch_execz .LBB53_3
.LBB53_27:                              ;   in Loop: Header=BB53_4 Depth=1
	v_div_scale_f32 v44, null, v55, v55, v49
	v_div_scale_f32 v47, vcc_lo, v49, v55, v49
	s_delay_alu instid0(VALU_DEP_2) | instskip(SKIP_1) | instid1(TRANS32_DEP_1)
	v_rcp_f32_e32 v45, v44
	v_nop
	v_fma_f32 v46, -v44, v45, 1.0
	s_delay_alu instid0(VALU_DEP_1) | instskip(NEXT) | instid1(VALU_DEP_1)
	v_fmac_f32_e32 v45, v46, v45
	v_mul_f32_e32 v46, v47, v45
	s_delay_alu instid0(VALU_DEP_1) | instskip(NEXT) | instid1(VALU_DEP_1)
	v_fma_f32 v48, -v44, v46, v47
	v_fmac_f32_e32 v46, v48, v45
	s_delay_alu instid0(VALU_DEP_1) | instskip(NEXT) | instid1(VALU_DEP_1)
	v_fma_f32 v44, -v44, v46, v47
	v_div_fmas_f32 v44, v44, v45, v46
	s_delay_alu instid0(VALU_DEP_1) | instskip(NEXT) | instid1(VALU_DEP_1)
	v_div_fixup_f32 v44, v44, v55, v49
	v_dual_add_f32 v45, v52, v44 :: v_dual_fmac_f32 v52, s16, v44
	s_delay_alu instid0(VALU_DEP_1) | instskip(SKIP_1) | instid1(VALU_DEP_2)
	v_cndmask_b32_e64 v46, v52, v45, s2
	v_add_nc_u64_e32 v[44:45], s[14:15], v[26:27]
	v_cvt_f16_f32_e32 v46, v46
	global_store_b16 v[44:45], v46, off
	s_branch .LBB53_3
.LBB53_28:
	s_mov_b32 s2, 0
.LBB53_29:
	s_delay_alu instid0(SALU_CYCLE_1)
	s_and_not1_b32 vcc_lo, exec_lo, s2
	s_cbranch_vccnz .LBB53_33
; %bb.30:
	v_min_i64 v[2:3], 0x10000, s[18:19]
	v_dual_mov_b32 v9, 0 :: v_dual_lshlrev_b32 v8, 2, v0
	s_mov_b32 s2, exec_lo
	s_delay_alu instid0(VALU_DEP_1)
	v_cmpx_lt_i64_e64 v[8:9], v[2:3]
	s_cbranch_execz .LBB53_33
; %bb.31:
	s_wait_xcnt 0x0
	s_load_b32 s1, s[0:1], 0xbfc
	v_dual_mov_b32 v1, v9 :: v_dual_lshlrev_b32 v8, 3, v0
	s_wait_kmcnt 0x0
	s_mov_b32 s17, s16
	s_cmp_eq_f32 s16, 1.0
	v_mov_b64_e32 v[6:7], s[16:17]
	v_dual_mov_b32 v4, s16 :: v_dual_mov_b32 v5, s16
	v_add_nc_u64_e32 v[8:9], s[14:15], v[8:9]
	s_mov_b32 s5, 0
	s_cselect_b32 s0, -1, 0
	s_mov_b32 s15, s5
	s_mov_b32 s16, s5
	s_and_b32 s4, s1, 0xffff
	s_delay_alu instid0(SALU_CYCLE_1)
	s_lshl_b32 s14, s4, 3
.LBB53_32:                              ; =>This Inner Loop Header: Depth=1
	v_add_nc_u64_e32 v[10:11], s[6:7], v[8:9]
	v_add_nc_u64_e32 v[12:13], s[10:11], v[8:9]
	;; [unrolled: 1-line block ×4, first 2 shown]
	global_load_b64 v[16:17], v[10:11], off
	global_load_b64 v[18:19], v[12:13], off
	;; [unrolled: 1-line block ×3, first 2 shown]
	s_wait_xcnt 0x2
	v_lshlrev_b64_e32 v[10:11], 2, v[0:1]
	s_wait_loadcnt 0x1
	v_dual_lshrrev_b32 v22, 16, v19 :: v_dual_lshrrev_b32 v23, 16, v18
	s_wait_loadcnt 0x0
	s_wait_xcnt 0x1
	v_cvt_f32_f16_e32 v12, v20
	s_wait_xcnt 0x0
	v_dual_lshrrev_b32 v13, 16, v20 :: v_dual_lshrrev_b32 v15, 16, v21
	v_cvt_f32_f16_e32 v14, v21
	v_lshrrev_b32_e32 v20, 16, v17
	v_cvt_f32_f16_e32 v21, v17
	v_lshrrev_b32_e32 v17, 16, v16
	v_cvt_f32_f16_e32 v16, v16
	v_cvt_f32_f16_e32 v18, v18
	;; [unrolled: 1-line block ×6, first 2 shown]
	v_div_scale_f32 v24, null, v18, v18, v16
	v_cvt_f32_f16_e32 v22, v22
	v_div_scale_f32 v26, null, v19, v19, v21
	s_delay_alu instid0(VALU_DEP_3) | instskip(SKIP_1) | instid1(VALU_DEP_3)
	v_rcp_f32_e32 v28, v24
	v_div_scale_f32 v29, null, v23, v23, v17
	v_div_scale_f32 v31, null, v22, v22, v20
	s_delay_alu instid0(VALU_DEP_3) | instskip(NEXT) | instid1(VALU_DEP_2)
	v_rcp_f32_e32 v32, v26
	v_rcp_f32_e32 v34, v29
	s_delay_alu instid0(TRANS32_DEP_3) | instskip(NEXT) | instid1(VALU_DEP_2)
	v_fma_f32 v36, -v24, v28, 1.0
	v_rcp_f32_e32 v35, v31
	v_div_scale_f32 v25, vcc_lo, v16, v18, v16
	v_div_scale_f32 v27, s1, v21, v19, v21
	s_delay_alu instid0(TRANS32_DEP_3) | instskip(SKIP_3) | instid1(VALU_DEP_4)
	v_fma_f32 v37, -v26, v32, 1.0
	v_fmac_f32_e32 v28, v36, v28
	v_fma_f32 v36, -v29, v34, 1.0
	v_div_scale_f32 v30, s2, v17, v23, v17
	v_fmac_f32_e32 v32, v37, v32
	v_fma_f32 v37, -v31, v35, 1.0
	s_delay_alu instid0(VALU_DEP_4) | instskip(SKIP_1) | instid1(VALU_DEP_2)
	v_dual_fmac_f32 v34, v36, v34 :: v_dual_mul_f32 v38, v25, v28
	v_div_scale_f32 v33, s3, v20, v22, v20
	v_dual_fmac_f32 v35, v37, v35 :: v_dual_mul_f32 v39, v30, v34
	s_delay_alu instid0(VALU_DEP_3) | instskip(SKIP_1) | instid1(VALU_DEP_3)
	v_dual_mul_f32 v36, v27, v32 :: v_dual_fma_f32 v37, -v24, v38, v25
	v_cvt_f32_f16_e32 v13, v13
	v_mul_f32_e32 v41, v33, v35
	v_cvt_f32_f16_e32 v15, v15
	s_delay_alu instid0(VALU_DEP_4) | instskip(SKIP_1) | instid1(VALU_DEP_2)
	v_fma_f32 v40, -v26, v36, v27
	v_fmac_f32_e32 v38, v37, v28
	v_dual_fma_f32 v37, -v29, v39, v30 :: v_dual_fmac_f32 v36, v40, v32
	v_fma_f32 v40, -v31, v41, v33
	s_delay_alu instid0(VALU_DEP_3) | instskip(NEXT) | instid1(VALU_DEP_3)
	v_fma_f32 v24, -v24, v38, v25
	v_fmac_f32_e32 v39, v37, v34
	s_delay_alu instid0(VALU_DEP_3) | instskip(NEXT) | instid1(VALU_DEP_3)
	v_dual_fma_f32 v25, -v26, v36, v27 :: v_dual_fmac_f32 v41, v40, v35
	v_div_fmas_f32 v24, v24, v28, v38
	s_delay_alu instid0(VALU_DEP_3) | instskip(SKIP_1) | instid1(VALU_DEP_3)
	v_fma_f32 v26, -v29, v39, v30
	s_mov_b32 vcc_lo, s2
	v_fma_f32 v27, -v31, v41, v33
	s_delay_alu instid0(VALU_DEP_3) | instskip(NEXT) | instid1(VALU_DEP_3)
	v_div_fixup_f32 v16, v24, v18, v16
	v_div_fmas_f32 v18, v26, v34, v39
	s_mov_b32 vcc_lo, s1
	v_div_fmas_f32 v24, v25, v32, v36
	s_mov_b32 vcc_lo, s3
	s_delay_alu instid0(VALU_DEP_2)
	v_div_fixup_f32 v17, v18, v23, v17
	v_div_fmas_f32 v25, v27, v35, v41
	v_cmp_ge_i64_e32 vcc_lo, v[10:11], v[2:3]
	v_div_fixup_f32 v18, v24, v19, v21
	v_add_nc_u64_e32 v[10:11], s[12:13], v[8:9]
	v_add_nc_u64_e32 v[8:9], s[14:15], v[8:9]
	v_div_fixup_f32 v19, v25, v22, v20
	v_pk_add_f32 v[20:21], v[16:17], v[12:13]
	v_pk_fma_f32 v[12:13], v[6:7], v[16:17], v[12:13]
	s_or_b32 s16, vcc_lo, s16
	s_delay_alu instid0(VALU_DEP_3) | instskip(SKIP_1) | instid1(VALU_DEP_3)
	v_pk_add_f32 v[16:17], v[18:19], v[14:15]
	v_pk_fma_f32 v[14:15], v[4:5], v[18:19], v[14:15]
	v_dual_cndmask_b32 v13, v13, v21, s0 :: v_dual_cndmask_b32 v12, v12, v20, s0
	s_delay_alu instid0(VALU_DEP_2) | instskip(NEXT) | instid1(VALU_DEP_2)
	v_dual_cndmask_b32 v15, v15, v17, s0 :: v_dual_cndmask_b32 v14, v14, v16, s0
	v_cvt_pk_f16_f32 v12, v12, v13
	s_delay_alu instid0(VALU_DEP_2)
	v_cvt_pk_f16_f32 v13, v14, v15
	global_store_b64 v[10:11], v[12:13], off
	s_wait_xcnt 0x0
	s_and_not1_b32 exec_lo, exec_lo, s16
	s_cbranch_execnz .LBB53_32
.LBB53_33:
	s_endpgm
	.section	.rodata,"a",@progbits
	.p2align	6, 0x0
	.amdhsa_kernel _ZN2at6native12_GLOBAL__N_125multi_tensor_apply_kernelINS1_18TensorListMetadataILi4EEENS1_24PointwiseOpScalarFunctorIN3c104HalfELi4ELi3ELi3EEEJSt7dividesIfEfEEEvT_T0_DpT1_
		.amdhsa_group_segment_fixed_size 0
		.amdhsa_private_segment_fixed_size 0
		.amdhsa_kernarg_size 3312
		.amdhsa_user_sgpr_count 2
		.amdhsa_user_sgpr_dispatch_ptr 0
		.amdhsa_user_sgpr_queue_ptr 0
		.amdhsa_user_sgpr_kernarg_segment_ptr 1
		.amdhsa_user_sgpr_dispatch_id 0
		.amdhsa_user_sgpr_kernarg_preload_length 0
		.amdhsa_user_sgpr_kernarg_preload_offset 0
		.amdhsa_user_sgpr_private_segment_size 0
		.amdhsa_wavefront_size32 1
		.amdhsa_uses_dynamic_stack 0
		.amdhsa_enable_private_segment 0
		.amdhsa_system_sgpr_workgroup_id_x 1
		.amdhsa_system_sgpr_workgroup_id_y 0
		.amdhsa_system_sgpr_workgroup_id_z 0
		.amdhsa_system_sgpr_workgroup_info 0
		.amdhsa_system_vgpr_workitem_id 0
		.amdhsa_next_free_vgpr 61
		.amdhsa_next_free_sgpr 26
		.amdhsa_named_barrier_count 0
		.amdhsa_reserve_vcc 1
		.amdhsa_float_round_mode_32 0
		.amdhsa_float_round_mode_16_64 0
		.amdhsa_float_denorm_mode_32 3
		.amdhsa_float_denorm_mode_16_64 3
		.amdhsa_fp16_overflow 0
		.amdhsa_memory_ordered 1
		.amdhsa_forward_progress 1
		.amdhsa_inst_pref_size 20
		.amdhsa_round_robin_scheduling 0
		.amdhsa_exception_fp_ieee_invalid_op 0
		.amdhsa_exception_fp_denorm_src 0
		.amdhsa_exception_fp_ieee_div_zero 0
		.amdhsa_exception_fp_ieee_overflow 0
		.amdhsa_exception_fp_ieee_underflow 0
		.amdhsa_exception_fp_ieee_inexact 0
		.amdhsa_exception_int_div_zero 0
	.end_amdhsa_kernel
	.section	.text._ZN2at6native12_GLOBAL__N_125multi_tensor_apply_kernelINS1_18TensorListMetadataILi4EEENS1_24PointwiseOpScalarFunctorIN3c104HalfELi4ELi3ELi3EEEJSt7dividesIfEfEEEvT_T0_DpT1_,"axG",@progbits,_ZN2at6native12_GLOBAL__N_125multi_tensor_apply_kernelINS1_18TensorListMetadataILi4EEENS1_24PointwiseOpScalarFunctorIN3c104HalfELi4ELi3ELi3EEEJSt7dividesIfEfEEEvT_T0_DpT1_,comdat
.Lfunc_end53:
	.size	_ZN2at6native12_GLOBAL__N_125multi_tensor_apply_kernelINS1_18TensorListMetadataILi4EEENS1_24PointwiseOpScalarFunctorIN3c104HalfELi4ELi3ELi3EEEJSt7dividesIfEfEEEvT_T0_DpT1_, .Lfunc_end53-_ZN2at6native12_GLOBAL__N_125multi_tensor_apply_kernelINS1_18TensorListMetadataILi4EEENS1_24PointwiseOpScalarFunctorIN3c104HalfELi4ELi3ELi3EEEJSt7dividesIfEfEEEvT_T0_DpT1_
                                        ; -- End function
	.set _ZN2at6native12_GLOBAL__N_125multi_tensor_apply_kernelINS1_18TensorListMetadataILi4EEENS1_24PointwiseOpScalarFunctorIN3c104HalfELi4ELi3ELi3EEEJSt7dividesIfEfEEEvT_T0_DpT1_.num_vgpr, 61
	.set _ZN2at6native12_GLOBAL__N_125multi_tensor_apply_kernelINS1_18TensorListMetadataILi4EEENS1_24PointwiseOpScalarFunctorIN3c104HalfELi4ELi3ELi3EEEJSt7dividesIfEfEEEvT_T0_DpT1_.num_agpr, 0
	.set _ZN2at6native12_GLOBAL__N_125multi_tensor_apply_kernelINS1_18TensorListMetadataILi4EEENS1_24PointwiseOpScalarFunctorIN3c104HalfELi4ELi3ELi3EEEJSt7dividesIfEfEEEvT_T0_DpT1_.numbered_sgpr, 26
	.set _ZN2at6native12_GLOBAL__N_125multi_tensor_apply_kernelINS1_18TensorListMetadataILi4EEENS1_24PointwiseOpScalarFunctorIN3c104HalfELi4ELi3ELi3EEEJSt7dividesIfEfEEEvT_T0_DpT1_.num_named_barrier, 0
	.set _ZN2at6native12_GLOBAL__N_125multi_tensor_apply_kernelINS1_18TensorListMetadataILi4EEENS1_24PointwiseOpScalarFunctorIN3c104HalfELi4ELi3ELi3EEEJSt7dividesIfEfEEEvT_T0_DpT1_.private_seg_size, 0
	.set _ZN2at6native12_GLOBAL__N_125multi_tensor_apply_kernelINS1_18TensorListMetadataILi4EEENS1_24PointwiseOpScalarFunctorIN3c104HalfELi4ELi3ELi3EEEJSt7dividesIfEfEEEvT_T0_DpT1_.uses_vcc, 1
	.set _ZN2at6native12_GLOBAL__N_125multi_tensor_apply_kernelINS1_18TensorListMetadataILi4EEENS1_24PointwiseOpScalarFunctorIN3c104HalfELi4ELi3ELi3EEEJSt7dividesIfEfEEEvT_T0_DpT1_.uses_flat_scratch, 0
	.set _ZN2at6native12_GLOBAL__N_125multi_tensor_apply_kernelINS1_18TensorListMetadataILi4EEENS1_24PointwiseOpScalarFunctorIN3c104HalfELi4ELi3ELi3EEEJSt7dividesIfEfEEEvT_T0_DpT1_.has_dyn_sized_stack, 0
	.set _ZN2at6native12_GLOBAL__N_125multi_tensor_apply_kernelINS1_18TensorListMetadataILi4EEENS1_24PointwiseOpScalarFunctorIN3c104HalfELi4ELi3ELi3EEEJSt7dividesIfEfEEEvT_T0_DpT1_.has_recursion, 0
	.set _ZN2at6native12_GLOBAL__N_125multi_tensor_apply_kernelINS1_18TensorListMetadataILi4EEENS1_24PointwiseOpScalarFunctorIN3c104HalfELi4ELi3ELi3EEEJSt7dividesIfEfEEEvT_T0_DpT1_.has_indirect_call, 0
	.section	.AMDGPU.csdata,"",@progbits
; Kernel info:
; codeLenInByte = 2540
; TotalNumSgprs: 28
; NumVgprs: 61
; ScratchSize: 0
; MemoryBound: 0
; FloatMode: 240
; IeeeMode: 1
; LDSByteSize: 0 bytes/workgroup (compile time only)
; SGPRBlocks: 0
; VGPRBlocks: 3
; NumSGPRsForWavesPerEU: 28
; NumVGPRsForWavesPerEU: 61
; NamedBarCnt: 0
; Occupancy: 16
; WaveLimiterHint : 0
; COMPUTE_PGM_RSRC2:SCRATCH_EN: 0
; COMPUTE_PGM_RSRC2:USER_SGPR: 2
; COMPUTE_PGM_RSRC2:TRAP_HANDLER: 0
; COMPUTE_PGM_RSRC2:TGID_X_EN: 1
; COMPUTE_PGM_RSRC2:TGID_Y_EN: 0
; COMPUTE_PGM_RSRC2:TGID_Z_EN: 0
; COMPUTE_PGM_RSRC2:TIDIG_COMP_CNT: 0
	.section	.text._ZN2at6native12_GLOBAL__N_125multi_tensor_apply_kernelINS1_18TensorListMetadataILi4EEENS1_24PointwiseOpScalarFunctorIN3c108BFloat16ELi4ELi3ELi3EEEJSt7dividesIfEfEEEvT_T0_DpT1_,"axG",@progbits,_ZN2at6native12_GLOBAL__N_125multi_tensor_apply_kernelINS1_18TensorListMetadataILi4EEENS1_24PointwiseOpScalarFunctorIN3c108BFloat16ELi4ELi3ELi3EEEJSt7dividesIfEfEEEvT_T0_DpT1_,comdat
	.globl	_ZN2at6native12_GLOBAL__N_125multi_tensor_apply_kernelINS1_18TensorListMetadataILi4EEENS1_24PointwiseOpScalarFunctorIN3c108BFloat16ELi4ELi3ELi3EEEJSt7dividesIfEfEEEvT_T0_DpT1_ ; -- Begin function _ZN2at6native12_GLOBAL__N_125multi_tensor_apply_kernelINS1_18TensorListMetadataILi4EEENS1_24PointwiseOpScalarFunctorIN3c108BFloat16ELi4ELi3ELi3EEEJSt7dividesIfEfEEEvT_T0_DpT1_
	.p2align	8
	.type	_ZN2at6native12_GLOBAL__N_125multi_tensor_apply_kernelINS1_18TensorListMetadataILi4EEENS1_24PointwiseOpScalarFunctorIN3c108BFloat16ELi4ELi3ELi3EEEJSt7dividesIfEfEEEvT_T0_DpT1_,@function
_ZN2at6native12_GLOBAL__N_125multi_tensor_apply_kernelINS1_18TensorListMetadataILi4EEENS1_24PointwiseOpScalarFunctorIN3c108BFloat16ELi4ELi3ELi3EEEJSt7dividesIfEfEEEvT_T0_DpT1_: ; @_ZN2at6native12_GLOBAL__N_125multi_tensor_apply_kernelINS1_18TensorListMetadataILi4EEENS1_24PointwiseOpScalarFunctorIN3c108BFloat16ELi4ELi3ELi3EEEJSt7dividesIfEfEEEvT_T0_DpT1_
; %bb.0:
	s_bfe_u32 s2, ttmp6, 0x4000c
	s_and_b32 s3, ttmp6, 15
	s_add_co_i32 s2, s2, 1
	s_getreg_b32 s4, hwreg(HW_REG_IB_STS2, 6, 4)
	s_mul_i32 s2, ttmp9, s2
	s_delay_alu instid0(SALU_CYCLE_1)
	s_add_co_i32 s3, s3, s2
	s_cmp_eq_u32 s4, 0
	s_cselect_b32 s2, ttmp9, s3
	s_mov_b32 s3, 0
	s_load_u8 s14, s[0:1], s2 offset:0x5a0
	s_add_nc_u64 s[4:5], s[0:1], s[2:3]
	s_mul_u64 s[6:7], s[2:3], 3
	s_delay_alu instid0(SALU_CYCLE_1)
	s_add_nc_u64 s[4:5], s[4:5], s[6:7]
	s_load_b32 s18, s[4:5], 0x6e0
	s_wait_kmcnt 0x0
	s_clause 0x4
	s_load_b64 s[6:7], s[0:1], s14 offset:0x120 scale_offset
	s_load_b64 s[8:9], s[0:1], s14 offset:0x0 scale_offset
	;; [unrolled: 1-line block ×5, first 2 shown]
	s_ashr_i32 s19, s18, 31
	s_wait_xcnt 0x0
	s_lshl_b64 s[14:15], s[18:19], 17
	s_wait_kmcnt 0x0
	s_add_nc_u64 s[4:5], s[6:7], s[14:15]
	s_add_nc_u64 s[16:17], s[10:11], s[14:15]
	s_and_b32 s2, s4, 7
	s_and_b64 s[4:5], s[8:9], 7
	s_cmp_eq_u64 s[2:3], 0
	s_cselect_b32 s17, -1, 0
	s_or_b32 s2, s12, s16
	s_load_b32 s16, s[0:1], 0xbec
	s_and_b32 s2, s2, 7
	s_delay_alu instid0(SALU_CYCLE_1)
	s_cmp_eq_u32 s2, 0
	s_cselect_b32 s22, -1, 0
	s_and_b32 s2, s20, 3
	s_and_b32 s17, s22, s17
	s_or_b64 s[2:3], s[4:5], s[2:3]
	s_lshl_b64 s[4:5], s[18:19], 16
	s_cmp_eq_u64 s[2:3], 0
	s_sub_nc_u64 s[18:19], s[20:21], s[4:5]
	s_cselect_b32 s2, -1, 0
	s_delay_alu instid0(SALU_CYCLE_1) | instskip(NEXT) | instid1(SALU_CYCLE_1)
	s_and_b32 s2, s17, s2
	s_and_b32 vcc_lo, exec_lo, s2
	s_mov_b32 s2, -1
	s_cbranch_vccnz .LBB54_29
; %bb.1:
	v_cmp_lt_i64_e64 s2, s[18:19], 1
	s_and_b32 vcc_lo, exec_lo, s2
	s_cbranch_vccnz .LBB54_28
; %bb.2:
	s_load_b32 s2, s[0:1], 0xbfc
	v_min_i64 v[2:3], 0x10000, s[18:19]
	v_min_u64 v[4:5], 0x10000, s[18:19]
	v_dual_mov_b32 v1, 0 :: v_dual_lshlrev_b32 v20, 1, v0
	s_mov_b32 s23, 0
	s_mov_b64 s[24:25], 0
	s_mov_b32 s3, s23
	s_delay_alu instid0(VALU_DEP_1) | instskip(SKIP_2) | instid1(VALU_DEP_1)
	v_dual_mov_b32 v21, v1 :: v_dual_mov_b32 v43, v1
	s_mov_b32 s21, s23
	s_mov_b32 s5, s23
	v_add_nc_u64_e32 v[6:7], s[8:9], v[20:21]
	v_add_nc_u64_e32 v[8:9], s[6:7], v[20:21]
	;; [unrolled: 1-line block ×4, first 2 shown]
	s_wait_kmcnt 0x0
	s_and_b32 s22, s2, 0xffff
	s_delay_alu instid0(SALU_CYCLE_1)
	s_lshl_b32 s4, s22, 1
	s_cmp_eq_f32 s16, 1.0
	v_add_nc_u64_e32 v[12:13], s[22:23], v[0:1]
	v_mad_nc_u64_u32 v[26:27], s22, 6, v[20:21]
	s_mul_i32 s2, s22, 3
	v_add_nc_u64_e32 v[18:19], s[4:5], v[0:1]
	v_add_nc_u64_e32 v[16:17], s[2:3], v[0:1]
	s_cselect_b32 s2, -1, 0
	s_lshl_b32 s20, s22, 2
	v_lshlrev_b32_e32 v42, 1, v12
	v_add_nc_u64_e32 v[38:39], s[20:21], v[20:21]
	s_lshl_b32 s22, s22, 3
	v_add_nc_u64_e32 v[20:21], s[8:9], v[26:27]
	v_add_nc_u64_e32 v[22:23], s[6:7], v[26:27]
	;; [unrolled: 1-line block ×12, first 2 shown]
	s_branch .LBB54_4
.LBB54_3:                               ;   in Loop: Header=BB54_4 Depth=1
	s_wait_xcnt 0x0
	s_or_b32 exec_lo, exec_lo, s3
	s_add_nc_u64 s[24:25], s[24:25], s[20:21]
	v_add_nc_u64_e32 v[6:7], s[22:23], v[6:7]
	v_cmp_lt_i64_e32 vcc_lo, s[24:25], v[2:3]
	v_add_nc_u64_e32 v[8:9], s[22:23], v[8:9]
	v_add_nc_u64_e32 v[10:11], s[22:23], v[10:11]
	;; [unrolled: 1-line block ×15, first 2 shown]
	s_cbranch_vccz .LBB54_28
.LBB54_4:                               ; =>This Inner Loop Header: Depth=1
	v_add_nc_u64_e32 v[44:45], s[24:25], v[0:1]
	v_dual_mov_b32 v47, 0 :: v_dual_mov_b32 v46, 0
	s_delay_alu instid0(VALU_DEP_2)
	v_cmp_lt_u64_e32 vcc_lo, v[44:45], v[4:5]
	s_and_saveexec_b32 s3, vcc_lo
	s_cbranch_execz .LBB54_6
; %bb.5:                                ;   in Loop: Header=BB54_4 Depth=1
	v_add_nc_u64_e32 v[44:45], s[14:15], v[8:9]
	v_add_nc_u64_e32 v[46:47], s[14:15], v[6:7]
	global_load_u16 v48, v[44:45], off
	global_load_u16 v49, v[46:47], off
	s_wait_loadcnt 0x0
	s_wait_xcnt 0x0
	v_dual_lshlrev_b32 v47, 16, v48 :: v_dual_lshlrev_b32 v46, 16, v49
.LBB54_6:                               ;   in Loop: Header=BB54_4 Depth=1
	s_or_b32 exec_lo, exec_lo, s3
	v_dual_mov_b32 v44, 0 :: v_dual_mov_b32 v52, 0
	s_and_saveexec_b32 s3, vcc_lo
	s_cbranch_execz .LBB54_8
; %bb.7:                                ;   in Loop: Header=BB54_4 Depth=1
	v_add_nc_u64_e32 v[48:49], s[14:15], v[10:11]
	global_load_u16 v45, v[48:49], off
	s_wait_loadcnt 0x0
	v_lshlrev_b32_e32 v52, 16, v45
.LBB54_8:                               ;   in Loop: Header=BB54_4 Depth=1
	s_wait_xcnt 0x0
	s_or_b32 exec_lo, exec_lo, s3
	v_add_nc_u64_e32 v[48:49], s[24:25], v[12:13]
	s_delay_alu instid0(VALU_DEP_1)
	v_cmp_lt_u64_e64 s3, v[48:49], v[4:5]
	v_mov_b32_e32 v49, 0
	s_and_saveexec_b32 s4, s3
	s_cbranch_execz .LBB54_10
; %bb.9:                                ;   in Loop: Header=BB54_4 Depth=1
	v_add_nc_u64_e32 v[44:45], s[14:15], v[30:31]
	v_add_nc_u64_e32 v[48:49], s[14:15], v[28:29]
	global_load_u16 v50, v[44:45], off
	global_load_u16 v51, v[48:49], off
	s_wait_loadcnt 0x0
	s_wait_xcnt 0x0
	v_dual_lshlrev_b32 v44, 16, v50 :: v_dual_lshlrev_b32 v49, 16, v51
.LBB54_10:                              ;   in Loop: Header=BB54_4 Depth=1
	s_or_b32 exec_lo, exec_lo, s4
	v_dual_mov_b32 v45, 0 :: v_dual_mov_b32 v53, 0
	s_and_saveexec_b32 s4, s3
	s_cbranch_execz .LBB54_12
; %bb.11:                               ;   in Loop: Header=BB54_4 Depth=1
	v_add_nc_u64_e32 v[50:51], s[14:15], v[40:41]
	global_load_u16 v48, v[50:51], off
	s_wait_loadcnt 0x0
	v_lshlrev_b32_e32 v53, 16, v48
.LBB54_12:                              ;   in Loop: Header=BB54_4 Depth=1
	s_wait_xcnt 0x0
	s_or_b32 exec_lo, exec_lo, s4
	v_add_nc_u64_e32 v[50:51], s[24:25], v[18:19]
	s_delay_alu instid0(VALU_DEP_1)
	v_cmp_lt_u64_e64 s4, v[50:51], v[4:5]
	v_mov_b32_e32 v50, 0
	s_and_saveexec_b32 s5, s4
	s_cbranch_execz .LBB54_14
; %bb.13:                               ;   in Loop: Header=BB54_4 Depth=1
	v_add_nc_u64_e32 v[50:51], s[14:15], v[34:35]
	v_add_nc_u64_e32 v[54:55], s[14:15], v[32:33]
	global_load_u16 v45, v[50:51], off
	global_load_u16 v48, v[54:55], off
	s_wait_loadcnt 0x0
	s_wait_xcnt 0x1
	v_dual_lshlrev_b32 v45, 16, v45 :: v_dual_lshlrev_b32 v50, 16, v48
.LBB54_14:                              ;   in Loop: Header=BB54_4 Depth=1
	s_wait_xcnt 0x0
	s_or_b32 exec_lo, exec_lo, s5
	v_dual_mov_b32 v48, 0 :: v_dual_mov_b32 v54, 0
	s_and_saveexec_b32 s5, s4
	s_cbranch_execz .LBB54_16
; %bb.15:                               ;   in Loop: Header=BB54_4 Depth=1
	v_add_nc_u64_e32 v[54:55], s[14:15], v[36:37]
	global_load_u16 v51, v[54:55], off
	s_wait_loadcnt 0x0
	s_wait_xcnt 0x0
	v_lshlrev_b32_e32 v54, 16, v51
.LBB54_16:                              ;   in Loop: Header=BB54_4 Depth=1
	s_or_b32 exec_lo, exec_lo, s5
	v_add_nc_u64_e32 v[56:57], s[24:25], v[16:17]
	v_mov_b32_e32 v51, 0
	s_delay_alu instid0(VALU_DEP_2)
	v_cmp_lt_u64_e64 s5, v[56:57], v[4:5]
	s_and_saveexec_b32 s17, s5
	s_cbranch_execnz .LBB54_22
; %bb.17:                               ;   in Loop: Header=BB54_4 Depth=1
	s_or_b32 exec_lo, exec_lo, s17
	v_mov_b32_e32 v55, 0
	s_and_saveexec_b32 s17, s5
	s_cbranch_execnz .LBB54_23
.LBB54_18:                              ;   in Loop: Header=BB54_4 Depth=1
	s_or_b32 exec_lo, exec_lo, s17
	s_and_saveexec_b32 s17, vcc_lo
	s_cbranch_execnz .LBB54_24
.LBB54_19:                              ;   in Loop: Header=BB54_4 Depth=1
	s_or_b32 exec_lo, exec_lo, s17
	s_and_saveexec_b32 s17, s3
	s_cbranch_execnz .LBB54_25
.LBB54_20:                              ;   in Loop: Header=BB54_4 Depth=1
	s_or_b32 exec_lo, exec_lo, s17
	s_and_saveexec_b32 s3, s4
	s_cbranch_execnz .LBB54_26
.LBB54_21:                              ;   in Loop: Header=BB54_4 Depth=1
	s_or_b32 exec_lo, exec_lo, s3
	s_and_saveexec_b32 s3, s5
	s_cbranch_execz .LBB54_3
	s_branch .LBB54_27
.LBB54_22:                              ;   in Loop: Header=BB54_4 Depth=1
	v_add_nc_u64_e32 v[56:57], s[14:15], v[22:23]
	v_add_nc_u64_e32 v[58:59], s[14:15], v[20:21]
	global_load_u16 v48, v[56:57], off
	global_load_u16 v51, v[58:59], off
	s_wait_loadcnt 0x0
	v_dual_lshlrev_b32 v48, 16, v48 :: v_dual_lshlrev_b32 v51, 16, v51
	s_wait_xcnt 0x0
	s_or_b32 exec_lo, exec_lo, s17
	v_mov_b32_e32 v55, 0
	s_and_saveexec_b32 s17, s5
	s_cbranch_execz .LBB54_18
.LBB54_23:                              ;   in Loop: Header=BB54_4 Depth=1
	v_add_nc_u64_e32 v[56:57], s[14:15], v[24:25]
	global_load_u16 v55, v[56:57], off
	s_wait_loadcnt 0x0
	v_lshlrev_b32_e32 v55, 16, v55
	s_wait_xcnt 0x0
	s_or_b32 exec_lo, exec_lo, s17
	s_and_saveexec_b32 s17, vcc_lo
	s_cbranch_execz .LBB54_19
.LBB54_24:                              ;   in Loop: Header=BB54_4 Depth=1
	v_div_scale_f32 v56, null, v52, v52, v47
	v_div_scale_f32 v59, vcc_lo, v47, v52, v47
	s_delay_alu instid0(VALU_DEP_2) | instskip(SKIP_1) | instid1(TRANS32_DEP_1)
	v_rcp_f32_e32 v57, v56
	v_nop
	v_fma_f32 v58, -v56, v57, 1.0
	s_delay_alu instid0(VALU_DEP_1) | instskip(NEXT) | instid1(VALU_DEP_1)
	v_fmac_f32_e32 v57, v58, v57
	v_mul_f32_e32 v58, v59, v57
	s_delay_alu instid0(VALU_DEP_1) | instskip(NEXT) | instid1(VALU_DEP_1)
	v_fma_f32 v60, -v56, v58, v59
	v_fmac_f32_e32 v58, v60, v57
	s_delay_alu instid0(VALU_DEP_1) | instskip(NEXT) | instid1(VALU_DEP_1)
	v_fma_f32 v56, -v56, v58, v59
	v_div_fmas_f32 v56, v56, v57, v58
	s_delay_alu instid0(VALU_DEP_1) | instskip(NEXT) | instid1(VALU_DEP_1)
	v_div_fixup_f32 v47, v56, v52, v47
	v_dual_add_f32 v52, v46, v47 :: v_dual_fmac_f32 v46, s16, v47
	s_delay_alu instid0(VALU_DEP_1) | instskip(NEXT) | instid1(VALU_DEP_1)
	v_cndmask_b32_e64 v52, v46, v52, s2
	v_bfe_u32 v46, v52, 16, 1
	v_cmp_o_f32_e32 vcc_lo, v52, v52
	s_delay_alu instid0(VALU_DEP_2) | instskip(NEXT) | instid1(VALU_DEP_1)
	v_add3_u32 v46, v52, v46, 0x7fff
	v_lshrrev_b32_e32 v56, 16, v46
	v_add_nc_u64_e32 v[46:47], s[14:15], v[14:15]
	s_delay_alu instid0(VALU_DEP_2)
	v_cndmask_b32_e32 v52, 0x7fc0, v56, vcc_lo
	global_store_b16 v[46:47], v52, off
	s_wait_xcnt 0x0
	s_or_b32 exec_lo, exec_lo, s17
	s_and_saveexec_b32 s17, s3
	s_cbranch_execz .LBB54_20
.LBB54_25:                              ;   in Loop: Header=BB54_4 Depth=1
	v_div_scale_f32 v46, null, v53, v53, v44
	v_div_scale_f32 v56, vcc_lo, v44, v53, v44
	s_delay_alu instid0(VALU_DEP_2) | instskip(SKIP_1) | instid1(TRANS32_DEP_1)
	v_rcp_f32_e32 v47, v46
	v_nop
	v_fma_f32 v52, -v46, v47, 1.0
	s_delay_alu instid0(VALU_DEP_1) | instskip(NEXT) | instid1(VALU_DEP_1)
	v_fmac_f32_e32 v47, v52, v47
	v_mul_f32_e32 v52, v56, v47
	s_delay_alu instid0(VALU_DEP_1) | instskip(NEXT) | instid1(VALU_DEP_1)
	v_fma_f32 v57, -v46, v52, v56
	v_fmac_f32_e32 v52, v57, v47
	s_delay_alu instid0(VALU_DEP_1) | instskip(NEXT) | instid1(VALU_DEP_1)
	v_fma_f32 v46, -v46, v52, v56
	v_div_fmas_f32 v46, v46, v47, v52
	s_delay_alu instid0(VALU_DEP_1) | instskip(NEXT) | instid1(VALU_DEP_1)
	v_div_fixup_f32 v44, v46, v53, v44
	v_dual_add_f32 v46, v49, v44 :: v_dual_fmac_f32 v49, s16, v44
	s_delay_alu instid0(VALU_DEP_1) | instskip(NEXT) | instid1(VALU_DEP_1)
	v_cndmask_b32_e64 v44, v49, v46, s2
	v_bfe_u32 v46, v44, 16, 1
	s_delay_alu instid0(VALU_DEP_1) | instskip(NEXT) | instid1(VALU_DEP_1)
	v_add3_u32 v46, v44, v46, 0x7fff
	v_lshrrev_b32_e32 v49, 16, v46
	v_cmp_o_f32_e32 vcc_lo, v44, v44
	v_add_nc_u64_e32 v[46:47], s[14:15], v[42:43]
	s_delay_alu instid0(VALU_DEP_3)
	v_cndmask_b32_e32 v44, 0x7fc0, v49, vcc_lo
	global_store_b16 v[46:47], v44, off
	s_wait_xcnt 0x0
	s_or_b32 exec_lo, exec_lo, s17
	s_and_saveexec_b32 s3, s4
	s_cbranch_execz .LBB54_21
.LBB54_26:                              ;   in Loop: Header=BB54_4 Depth=1
	v_div_scale_f32 v44, null, v54, v54, v45
	v_div_scale_f32 v49, vcc_lo, v45, v54, v45
	s_delay_alu instid0(VALU_DEP_2) | instskip(SKIP_1) | instid1(TRANS32_DEP_1)
	v_rcp_f32_e32 v46, v44
	v_nop
	v_fma_f32 v47, -v44, v46, 1.0
	s_delay_alu instid0(VALU_DEP_1) | instskip(NEXT) | instid1(VALU_DEP_1)
	v_fmac_f32_e32 v46, v47, v46
	v_mul_f32_e32 v47, v49, v46
	s_delay_alu instid0(VALU_DEP_1) | instskip(NEXT) | instid1(VALU_DEP_1)
	v_fma_f32 v52, -v44, v47, v49
	v_fmac_f32_e32 v47, v52, v46
	s_delay_alu instid0(VALU_DEP_1) | instskip(NEXT) | instid1(VALU_DEP_1)
	v_fma_f32 v44, -v44, v47, v49
	v_div_fmas_f32 v44, v44, v46, v47
	s_delay_alu instid0(VALU_DEP_1) | instskip(NEXT) | instid1(VALU_DEP_1)
	v_div_fixup_f32 v44, v44, v54, v45
	v_dual_add_f32 v45, v50, v44 :: v_dual_fmac_f32 v50, s16, v44
	s_delay_alu instid0(VALU_DEP_1) | instskip(NEXT) | instid1(VALU_DEP_1)
	v_cndmask_b32_e64 v46, v50, v45, s2
	v_bfe_u32 v44, v46, 16, 1
	v_cmp_o_f32_e32 vcc_lo, v46, v46
	s_delay_alu instid0(VALU_DEP_2) | instskip(NEXT) | instid1(VALU_DEP_1)
	v_add3_u32 v44, v46, v44, 0x7fff
	v_lshrrev_b32_e32 v47, 16, v44
	v_add_nc_u64_e32 v[44:45], s[14:15], v[38:39]
	s_delay_alu instid0(VALU_DEP_2)
	v_cndmask_b32_e32 v46, 0x7fc0, v47, vcc_lo
	global_store_b16 v[44:45], v46, off
	s_wait_xcnt 0x0
	s_or_b32 exec_lo, exec_lo, s3
	s_and_saveexec_b32 s3, s5
	s_cbranch_execz .LBB54_3
.LBB54_27:                              ;   in Loop: Header=BB54_4 Depth=1
	v_div_scale_f32 v44, null, v55, v55, v48
	v_div_scale_f32 v47, vcc_lo, v48, v55, v48
	s_delay_alu instid0(VALU_DEP_2) | instskip(SKIP_1) | instid1(TRANS32_DEP_1)
	v_rcp_f32_e32 v45, v44
	v_nop
	v_fma_f32 v46, -v44, v45, 1.0
	s_delay_alu instid0(VALU_DEP_1) | instskip(NEXT) | instid1(VALU_DEP_1)
	v_fmac_f32_e32 v45, v46, v45
	v_mul_f32_e32 v46, v47, v45
	s_delay_alu instid0(VALU_DEP_1) | instskip(NEXT) | instid1(VALU_DEP_1)
	v_fma_f32 v49, -v44, v46, v47
	v_fmac_f32_e32 v46, v49, v45
	s_delay_alu instid0(VALU_DEP_1) | instskip(NEXT) | instid1(VALU_DEP_1)
	v_fma_f32 v44, -v44, v46, v47
	v_div_fmas_f32 v44, v44, v45, v46
	s_delay_alu instid0(VALU_DEP_1) | instskip(NEXT) | instid1(VALU_DEP_1)
	v_div_fixup_f32 v44, v44, v55, v48
	v_dual_add_f32 v45, v51, v44 :: v_dual_fmac_f32 v51, s16, v44
	s_delay_alu instid0(VALU_DEP_1) | instskip(NEXT) | instid1(VALU_DEP_1)
	v_cndmask_b32_e64 v46, v51, v45, s2
	v_bfe_u32 v44, v46, 16, 1
	v_cmp_o_f32_e32 vcc_lo, v46, v46
	s_delay_alu instid0(VALU_DEP_2) | instskip(NEXT) | instid1(VALU_DEP_1)
	v_add3_u32 v44, v46, v44, 0x7fff
	v_lshrrev_b32_e32 v47, 16, v44
	v_add_nc_u64_e32 v[44:45], s[14:15], v[26:27]
	s_delay_alu instid0(VALU_DEP_2)
	v_cndmask_b32_e32 v46, 0x7fc0, v47, vcc_lo
	global_store_b16 v[44:45], v46, off
	s_branch .LBB54_3
.LBB54_28:
	s_mov_b32 s2, 0
.LBB54_29:
	s_delay_alu instid0(SALU_CYCLE_1)
	s_and_not1_b32 vcc_lo, exec_lo, s2
	s_cbranch_vccnz .LBB54_33
; %bb.30:
	v_min_i64 v[2:3], 0x10000, s[18:19]
	v_dual_mov_b32 v7, 0 :: v_dual_lshlrev_b32 v6, 2, v0
	s_mov_b32 s2, exec_lo
	s_delay_alu instid0(VALU_DEP_1)
	v_cmpx_lt_i64_e64 v[6:7], v[2:3]
	s_cbranch_execz .LBB54_33
; %bb.31:
	s_wait_xcnt 0x0
	s_load_b32 s1, s[0:1], 0xbfc
	v_dual_mov_b32 v1, v7 :: v_dual_lshlrev_b32 v6, 3, v0
	s_wait_kmcnt 0x0
	s_mov_b32 s17, s16
	s_cmp_eq_f32 s16, 1.0
	v_mov_b64_e32 v[4:5], s[16:17]
	s_mov_b32 s5, 0
	v_add_nc_u64_e32 v[6:7], s[14:15], v[6:7]
	s_cselect_b32 s0, -1, 0
	s_mov_b32 s15, s5
	s_mov_b32 s16, s5
	s_and_b32 s4, s1, 0xffff
	s_delay_alu instid0(SALU_CYCLE_1)
	s_lshl_b32 s14, s4, 3
.LBB54_32:                              ; =>This Inner Loop Header: Depth=1
	s_delay_alu instid0(VALU_DEP_1)
	v_add_nc_u64_e32 v[8:9], s[6:7], v[6:7]
	v_add_nc_u64_e32 v[10:11], s[10:11], v[6:7]
	;; [unrolled: 1-line block ×4, first 2 shown]
	global_load_b64 v[14:15], v[8:9], off
	global_load_b64 v[16:17], v[10:11], off
	;; [unrolled: 1-line block ×3, first 2 shown]
	s_wait_xcnt 0x2
	v_lshlrev_b64_e32 v[8:9], 2, v[0:1]
	s_wait_loadcnt 0x2
	v_lshlrev_b32_e32 v20, 16, v14
	v_and_b32_e32 v22, 0xffff0000, v14
	s_wait_loadcnt 0x0
	s_wait_xcnt 0x1
	v_dual_lshlrev_b32 v11, 16, v18 :: v_dual_lshlrev_b32 v21, 16, v16
	v_and_b32_e32 v23, 0xffff0000, v16
	s_wait_xcnt 0x0
	v_alignbit_b32 v13, v19, v18, 16
	v_and_b32_e32 v12, 0xffff0000, v19
	v_alignbit_b32 v14, v15, v14, 16
	v_and_b32_e32 v24, 0xffff0000, v15
	;; [unrolled: 2-line block ×3, first 2 shown]
	v_div_scale_f32 v17, null, v21, v21, v20
	v_div_scale_f32 v19, null, v23, v23, v22
	v_and_b32_e32 v26, 0xffff0000, v14
	v_and_b32_e32 v27, 0xffff0000, v15
	v_div_scale_f32 v14, null, v16, v16, v24
	v_rcp_f32_e32 v28, v17
	v_rcp_f32_e32 v29, v19
	s_delay_alu instid0(VALU_DEP_2) | instskip(NEXT) | instid1(VALU_DEP_2)
	v_div_scale_f32 v30, null, v27, v27, v26
	v_rcp_f32_e32 v31, v14
	v_and_b32_e32 v10, 0xffff0000, v18
	v_div_scale_f32 v25, s1, v22, v23, v22
	s_delay_alu instid0(TRANS32_DEP_3) | instskip(NEXT) | instid1(TRANS32_DEP_2)
	v_fma_f32 v34, -v17, v28, 1.0
	v_fma_f32 v35, -v19, v29, 1.0
	v_rcp_f32_e32 v33, v30
	s_delay_alu instid0(TRANS32_DEP_2) | instskip(SKIP_3) | instid1(VALU_DEP_4)
	v_fma_f32 v36, -v14, v31, 1.0
	v_div_scale_f32 v15, s2, v24, v16, v24
	v_fmac_f32_e32 v28, v34, v28
	v_div_scale_f32 v18, vcc_lo, v20, v21, v20
	v_dual_fmac_f32 v29, v35, v29 :: v_dual_fmac_f32 v31, v36, v31
	s_delay_alu instid0(TRANS32_DEP_1) | instskip(NEXT) | instid1(VALU_DEP_3)
	v_fma_f32 v34, -v30, v33, 1.0
	v_mul_f32_e32 v35, v18, v28
	v_div_scale_f32 v32, s3, v26, v27, v26
	s_delay_alu instid0(VALU_DEP_4) | instskip(NEXT) | instid1(VALU_DEP_4)
	v_mul_f32_e32 v36, v25, v29
	v_dual_fmac_f32 v33, v34, v33 :: v_dual_mul_f32 v34, v15, v31
	s_delay_alu instid0(VALU_DEP_4) | instskip(SKIP_1) | instid1(VALU_DEP_3)
	v_fma_f32 v37, -v17, v35, v18
	v_and_b32_e32 v13, 0xffff0000, v13
	v_dual_fma_f32 v38, -v19, v36, v25 :: v_dual_mul_f32 v39, v32, v33
	s_delay_alu instid0(VALU_DEP_4) | instskip(NEXT) | instid1(VALU_DEP_2)
	v_fma_f32 v40, -v14, v34, v15
	v_dual_fmac_f32 v35, v37, v28 :: v_dual_fmac_f32 v36, v38, v29
	s_delay_alu instid0(VALU_DEP_3) | instskip(NEXT) | instid1(VALU_DEP_2)
	v_fma_f32 v37, -v30, v39, v32
	v_dual_fma_f32 v17, -v17, v35, v18 :: v_dual_fma_f32 v18, -v19, v36, v25
	s_delay_alu instid0(VALU_DEP_2) | instskip(NEXT) | instid1(VALU_DEP_1)
	v_dual_fmac_f32 v34, v40, v31 :: v_dual_fmac_f32 v39, v37, v33
	v_fma_f32 v19, -v14, v34, v15
	s_delay_alu instid0(VALU_DEP_3) | instskip(SKIP_1) | instid1(VALU_DEP_3)
	v_div_fmas_f32 v14, v17, v28, v35
	s_mov_b32 vcc_lo, s1
	v_fma_f32 v17, -v30, v39, v32
	v_div_fmas_f32 v18, v18, v29, v36
	s_mov_b32 vcc_lo, s3
	v_div_fixup_f32 v15, v14, v21, v20
	s_delay_alu instid0(VALU_DEP_3) | instskip(NEXT) | instid1(VALU_DEP_3)
	v_div_fmas_f32 v17, v17, v33, v39
	v_div_fixup_f32 v14, v18, v23, v22
	s_mov_b32 vcc_lo, s2
	v_div_fmas_f32 v20, v19, v31, v34
	s_delay_alu instid0(VALU_DEP_3) | instskip(NEXT) | instid1(VALU_DEP_3)
	v_div_fixup_f32 v17, v17, v27, v26
	v_pk_add_f32 v[18:19], v[14:15], v[10:11]
	v_pk_fma_f32 v[10:11], v[4:5], v[14:15], v[10:11]
	s_delay_alu instid0(VALU_DEP_4) | instskip(NEXT) | instid1(VALU_DEP_2)
	v_div_fixup_f32 v16, v20, v16, v24
	v_dual_cndmask_b32 v14, v10, v18, s0 :: v_dual_cndmask_b32 v15, v11, v19, s0
	s_delay_alu instid0(VALU_DEP_2) | instskip(SKIP_1) | instid1(VALU_DEP_3)
	v_pk_add_f32 v[10:11], v[16:17], v[12:13]
	v_pk_fma_f32 v[12:13], v[4:5], v[16:17], v[12:13]
	v_bfe_u32 v17, v14, 16, 1
	s_delay_alu instid0(VALU_DEP_4) | instskip(SKIP_1) | instid1(VALU_DEP_4)
	v_bfe_u32 v16, v15, 16, 1
	v_cmp_o_f32_e32 vcc_lo, v14, v14
	v_cndmask_b32_e64 v10, v12, v10, s0
	v_cmp_o_f32_e64 s1, v15, v15
	s_delay_alu instid0(VALU_DEP_4) | instskip(SKIP_3) | instid1(VALU_DEP_4)
	v_add3_u32 v12, v15, v16, 0x7fff
	v_cndmask_b32_e64 v11, v13, v11, s0
	v_add3_u32 v13, v14, v17, 0x7fff
	v_bfe_u32 v17, v10, 16, 1
	v_lshrrev_b32_e32 v12, 16, v12
	s_delay_alu instid0(VALU_DEP_4) | instskip(NEXT) | instid1(VALU_DEP_4)
	v_bfe_u32 v16, v11, 16, 1
	v_and_b32_e32 v13, 0xffff0000, v13
	s_delay_alu instid0(VALU_DEP_4) | instskip(NEXT) | instid1(VALU_DEP_4)
	v_add3_u32 v17, v10, v17, 0x7fff
	v_cndmask_b32_e64 v12, 0x7fc0, v12, s1
	s_delay_alu instid0(VALU_DEP_4) | instskip(NEXT) | instid1(VALU_DEP_4)
	v_add3_u32 v16, v11, v16, 0x7fff
	v_cndmask_b32_e32 v13, 0x7fc00000, v13, vcc_lo
	s_delay_alu instid0(VALU_DEP_4) | instskip(SKIP_2) | instid1(VALU_DEP_4)
	v_and_b32_e32 v15, 0xffff0000, v17
	v_cmp_o_f32_e32 vcc_lo, v10, v10
	v_cmp_o_f32_e64 s1, v11, v11
	v_dual_lshrrev_b32 v14, 16, v16 :: v_dual_bitop2_b32 v12, v12, v13 bitop3:0x54
	s_delay_alu instid0(VALU_DEP_4) | instskip(SKIP_1) | instid1(VALU_DEP_3)
	v_cndmask_b32_e32 v11, 0x7fc00000, v15, vcc_lo
	v_cmp_ge_i64_e32 vcc_lo, v[8:9], v[2:3]
	v_cndmask_b32_e64 v10, 0x7fc0, v14, s1
	v_add_nc_u64_e32 v[8:9], s[12:13], v[6:7]
	v_add_nc_u64_e32 v[6:7], s[14:15], v[6:7]
	s_delay_alu instid0(VALU_DEP_3)
	v_or3_b32 v11, 0, v10, v11
	v_or3_b32 v10, v12, 0, 0
	s_or_b32 s16, vcc_lo, s16
	global_store_b64 v[8:9], v[10:11], off
	s_wait_xcnt 0x0
	s_and_not1_b32 exec_lo, exec_lo, s16
	s_cbranch_execnz .LBB54_32
.LBB54_33:
	s_endpgm
	.section	.rodata,"a",@progbits
	.p2align	6, 0x0
	.amdhsa_kernel _ZN2at6native12_GLOBAL__N_125multi_tensor_apply_kernelINS1_18TensorListMetadataILi4EEENS1_24PointwiseOpScalarFunctorIN3c108BFloat16ELi4ELi3ELi3EEEJSt7dividesIfEfEEEvT_T0_DpT1_
		.amdhsa_group_segment_fixed_size 0
		.amdhsa_private_segment_fixed_size 0
		.amdhsa_kernarg_size 3312
		.amdhsa_user_sgpr_count 2
		.amdhsa_user_sgpr_dispatch_ptr 0
		.amdhsa_user_sgpr_queue_ptr 0
		.amdhsa_user_sgpr_kernarg_segment_ptr 1
		.amdhsa_user_sgpr_dispatch_id 0
		.amdhsa_user_sgpr_kernarg_preload_length 0
		.amdhsa_user_sgpr_kernarg_preload_offset 0
		.amdhsa_user_sgpr_private_segment_size 0
		.amdhsa_wavefront_size32 1
		.amdhsa_uses_dynamic_stack 0
		.amdhsa_enable_private_segment 0
		.amdhsa_system_sgpr_workgroup_id_x 1
		.amdhsa_system_sgpr_workgroup_id_y 0
		.amdhsa_system_sgpr_workgroup_id_z 0
		.amdhsa_system_sgpr_workgroup_info 0
		.amdhsa_system_vgpr_workitem_id 0
		.amdhsa_next_free_vgpr 61
		.amdhsa_next_free_sgpr 26
		.amdhsa_named_barrier_count 0
		.amdhsa_reserve_vcc 1
		.amdhsa_float_round_mode_32 0
		.amdhsa_float_round_mode_16_64 0
		.amdhsa_float_denorm_mode_32 3
		.amdhsa_float_denorm_mode_16_64 3
		.amdhsa_fp16_overflow 0
		.amdhsa_memory_ordered 1
		.amdhsa_forward_progress 1
		.amdhsa_inst_pref_size 23
		.amdhsa_round_robin_scheduling 0
		.amdhsa_exception_fp_ieee_invalid_op 0
		.amdhsa_exception_fp_denorm_src 0
		.amdhsa_exception_fp_ieee_div_zero 0
		.amdhsa_exception_fp_ieee_overflow 0
		.amdhsa_exception_fp_ieee_underflow 0
		.amdhsa_exception_fp_ieee_inexact 0
		.amdhsa_exception_int_div_zero 0
	.end_amdhsa_kernel
	.section	.text._ZN2at6native12_GLOBAL__N_125multi_tensor_apply_kernelINS1_18TensorListMetadataILi4EEENS1_24PointwiseOpScalarFunctorIN3c108BFloat16ELi4ELi3ELi3EEEJSt7dividesIfEfEEEvT_T0_DpT1_,"axG",@progbits,_ZN2at6native12_GLOBAL__N_125multi_tensor_apply_kernelINS1_18TensorListMetadataILi4EEENS1_24PointwiseOpScalarFunctorIN3c108BFloat16ELi4ELi3ELi3EEEJSt7dividesIfEfEEEvT_T0_DpT1_,comdat
.Lfunc_end54:
	.size	_ZN2at6native12_GLOBAL__N_125multi_tensor_apply_kernelINS1_18TensorListMetadataILi4EEENS1_24PointwiseOpScalarFunctorIN3c108BFloat16ELi4ELi3ELi3EEEJSt7dividesIfEfEEEvT_T0_DpT1_, .Lfunc_end54-_ZN2at6native12_GLOBAL__N_125multi_tensor_apply_kernelINS1_18TensorListMetadataILi4EEENS1_24PointwiseOpScalarFunctorIN3c108BFloat16ELi4ELi3ELi3EEEJSt7dividesIfEfEEEvT_T0_DpT1_
                                        ; -- End function
	.set _ZN2at6native12_GLOBAL__N_125multi_tensor_apply_kernelINS1_18TensorListMetadataILi4EEENS1_24PointwiseOpScalarFunctorIN3c108BFloat16ELi4ELi3ELi3EEEJSt7dividesIfEfEEEvT_T0_DpT1_.num_vgpr, 61
	.set _ZN2at6native12_GLOBAL__N_125multi_tensor_apply_kernelINS1_18TensorListMetadataILi4EEENS1_24PointwiseOpScalarFunctorIN3c108BFloat16ELi4ELi3ELi3EEEJSt7dividesIfEfEEEvT_T0_DpT1_.num_agpr, 0
	.set _ZN2at6native12_GLOBAL__N_125multi_tensor_apply_kernelINS1_18TensorListMetadataILi4EEENS1_24PointwiseOpScalarFunctorIN3c108BFloat16ELi4ELi3ELi3EEEJSt7dividesIfEfEEEvT_T0_DpT1_.numbered_sgpr, 26
	.set _ZN2at6native12_GLOBAL__N_125multi_tensor_apply_kernelINS1_18TensorListMetadataILi4EEENS1_24PointwiseOpScalarFunctorIN3c108BFloat16ELi4ELi3ELi3EEEJSt7dividesIfEfEEEvT_T0_DpT1_.num_named_barrier, 0
	.set _ZN2at6native12_GLOBAL__N_125multi_tensor_apply_kernelINS1_18TensorListMetadataILi4EEENS1_24PointwiseOpScalarFunctorIN3c108BFloat16ELi4ELi3ELi3EEEJSt7dividesIfEfEEEvT_T0_DpT1_.private_seg_size, 0
	.set _ZN2at6native12_GLOBAL__N_125multi_tensor_apply_kernelINS1_18TensorListMetadataILi4EEENS1_24PointwiseOpScalarFunctorIN3c108BFloat16ELi4ELi3ELi3EEEJSt7dividesIfEfEEEvT_T0_DpT1_.uses_vcc, 1
	.set _ZN2at6native12_GLOBAL__N_125multi_tensor_apply_kernelINS1_18TensorListMetadataILi4EEENS1_24PointwiseOpScalarFunctorIN3c108BFloat16ELi4ELi3ELi3EEEJSt7dividesIfEfEEEvT_T0_DpT1_.uses_flat_scratch, 0
	.set _ZN2at6native12_GLOBAL__N_125multi_tensor_apply_kernelINS1_18TensorListMetadataILi4EEENS1_24PointwiseOpScalarFunctorIN3c108BFloat16ELi4ELi3ELi3EEEJSt7dividesIfEfEEEvT_T0_DpT1_.has_dyn_sized_stack, 0
	.set _ZN2at6native12_GLOBAL__N_125multi_tensor_apply_kernelINS1_18TensorListMetadataILi4EEENS1_24PointwiseOpScalarFunctorIN3c108BFloat16ELi4ELi3ELi3EEEJSt7dividesIfEfEEEvT_T0_DpT1_.has_recursion, 0
	.set _ZN2at6native12_GLOBAL__N_125multi_tensor_apply_kernelINS1_18TensorListMetadataILi4EEENS1_24PointwiseOpScalarFunctorIN3c108BFloat16ELi4ELi3ELi3EEEJSt7dividesIfEfEEEvT_T0_DpT1_.has_indirect_call, 0
	.section	.AMDGPU.csdata,"",@progbits
; Kernel info:
; codeLenInByte = 2936
; TotalNumSgprs: 28
; NumVgprs: 61
; ScratchSize: 0
; MemoryBound: 0
; FloatMode: 240
; IeeeMode: 1
; LDSByteSize: 0 bytes/workgroup (compile time only)
; SGPRBlocks: 0
; VGPRBlocks: 3
; NumSGPRsForWavesPerEU: 28
; NumVGPRsForWavesPerEU: 61
; NamedBarCnt: 0
; Occupancy: 16
; WaveLimiterHint : 0
; COMPUTE_PGM_RSRC2:SCRATCH_EN: 0
; COMPUTE_PGM_RSRC2:USER_SGPR: 2
; COMPUTE_PGM_RSRC2:TRAP_HANDLER: 0
; COMPUTE_PGM_RSRC2:TGID_X_EN: 1
; COMPUTE_PGM_RSRC2:TGID_Y_EN: 0
; COMPUTE_PGM_RSRC2:TGID_Z_EN: 0
; COMPUTE_PGM_RSRC2:TIDIG_COMP_CNT: 0
	.section	.text._ZN2at6native12_GLOBAL__N_125multi_tensor_apply_kernelINS1_18TensorListMetadataILi4EEENS1_32PointwiseOpScalar0dTensorFunctorIhLi4ELi2ELi3EEEJSt7dividesIhEhEEEvT_T0_DpT1_,"axG",@progbits,_ZN2at6native12_GLOBAL__N_125multi_tensor_apply_kernelINS1_18TensorListMetadataILi4EEENS1_32PointwiseOpScalar0dTensorFunctorIhLi4ELi2ELi3EEEJSt7dividesIhEhEEEvT_T0_DpT1_,comdat
	.globl	_ZN2at6native12_GLOBAL__N_125multi_tensor_apply_kernelINS1_18TensorListMetadataILi4EEENS1_32PointwiseOpScalar0dTensorFunctorIhLi4ELi2ELi3EEEJSt7dividesIhEhEEEvT_T0_DpT1_ ; -- Begin function _ZN2at6native12_GLOBAL__N_125multi_tensor_apply_kernelINS1_18TensorListMetadataILi4EEENS1_32PointwiseOpScalar0dTensorFunctorIhLi4ELi2ELi3EEEJSt7dividesIhEhEEEvT_T0_DpT1_
	.p2align	8
	.type	_ZN2at6native12_GLOBAL__N_125multi_tensor_apply_kernelINS1_18TensorListMetadataILi4EEENS1_32PointwiseOpScalar0dTensorFunctorIhLi4ELi2ELi3EEEJSt7dividesIhEhEEEvT_T0_DpT1_,@function
_ZN2at6native12_GLOBAL__N_125multi_tensor_apply_kernelINS1_18TensorListMetadataILi4EEENS1_32PointwiseOpScalar0dTensorFunctorIhLi4ELi2ELi3EEEJSt7dividesIhEhEEEvT_T0_DpT1_: ; @_ZN2at6native12_GLOBAL__N_125multi_tensor_apply_kernelINS1_18TensorListMetadataILi4EEENS1_32PointwiseOpScalar0dTensorFunctorIhLi4ELi2ELi3EEEJSt7dividesIhEhEEEvT_T0_DpT1_
; %bb.0:
	s_bfe_u32 s2, ttmp6, 0x4000c
	s_and_b32 s3, ttmp6, 15
	s_add_co_i32 s2, s2, 1
	s_getreg_b32 s4, hwreg(HW_REG_IB_STS2, 6, 4)
	s_mul_i32 s2, ttmp9, s2
	s_mov_b32 s11, 0
	s_add_co_i32 s3, s3, s2
	s_cmp_eq_u32 s4, 0
	v_mov_b32_e32 v5, 0
	s_cselect_b32 s10, ttmp9, s3
	s_clause 0x1
	s_load_b32 s16, s[0:1], 0xbe8
	s_load_u8 s9, s[0:1], s10 offset:0x5a0
	s_add_nc_u64 s[2:3], s[0:1], s[10:11]
	s_mul_u64 s[4:5], s[10:11], 3
	s_delay_alu instid0(SALU_CYCLE_1)
	s_add_nc_u64 s[2:3], s[2:3], s[4:5]
	s_load_b32 s8, s[2:3], 0x6e0
	s_wait_kmcnt 0x0
	s_clause 0x2
	s_load_b64 s[12:13], s[0:1], s9 offset:0x120 scale_offset
	s_load_b64 s[2:3], s[0:1], s9 offset:0x240 scale_offset
	;; [unrolled: 1-line block ×3, first 2 shown]
	s_wait_kmcnt 0x0
	global_load_u8 v36, v5, s[12:13]
	s_clause 0x1
	s_load_b64 s[6:7], s[0:1], s9 offset:0x0 scale_offset
	s_load_b64 s[14:15], s[0:1], s9 offset:0x480 scale_offset
	s_wait_xcnt 0x0
	s_ashr_i32 s9, s8, 31
	s_delay_alu instid0(SALU_CYCLE_1) | instskip(NEXT) | instid1(SALU_CYCLE_1)
	s_lshl_b64 s[8:9], s[8:9], 16
	s_add_nc_u64 s[12:13], s[12:13], s[8:9]
	s_delay_alu instid0(SALU_CYCLE_1) | instskip(SKIP_4) | instid1(SALU_CYCLE_1)
	s_and_b32 s10, s12, 3
	s_add_nc_u64 s[12:13], s[2:3], s[8:9]
	s_cmp_lg_u64 s[10:11], 0
	s_cselect_b32 s17, -1, 0
	s_or_b32 s10, s4, s12
	s_and_b32 s10, s10, 3
	s_delay_alu instid0(SALU_CYCLE_1) | instskip(SKIP_3) | instid1(SALU_CYCLE_1)
	s_cmp_lg_u32 s10, 0
	s_cselect_b32 s18, -1, 0
	s_wait_kmcnt 0x0
	s_add_nc_u64 s[12:13], s[6:7], s[8:9]
	s_or_b64 s[12:13], s[14:15], s[12:13]
	s_delay_alu instid0(SALU_CYCLE_1) | instskip(SKIP_3) | instid1(SALU_CYCLE_1)
	s_and_b32 s10, s12, 3
	s_or_b32 s12, s18, s17
	s_cmp_lg_u64 s[10:11], 0
	s_cselect_b32 s10, -1, 0
	s_or_b32 s12, s12, s10
	s_sub_nc_u64 s[10:11], s[14:15], s[8:9]
	s_and_not1_b32 vcc_lo, exec_lo, s12
	s_mov_b32 s12, -1
	s_cbranch_vccz .LBB55_5
; %bb.1:
	v_min_i64 v[2:3], 0x10000, s[10:11]
	v_lshlrev_b32_e32 v4, 2, v0
	s_mov_b32 s17, exec_lo
	s_delay_alu instid0(VALU_DEP_1)
	v_cmpx_lt_i64_e64 v[4:5], v[2:3]
	s_cbranch_execz .LBB55_4
; %bb.2:
	s_load_b32 s12, s[0:1], 0xbfc
	v_mov_b32_e32 v1, v5
	v_add_nc_u64_e32 v[4:5], s[8:9], v[4:5]
	s_wait_loadcnt 0x0
	v_cvt_f32_ubyte0_e32 v8, v36
	s_mov_b32 s13, 0
	s_lshr_b32 s18, s16, 16
	v_mov_b64_e32 v[6:7], v[0:1]
	s_mov_b32 s15, s13
	s_mov_b32 s19, s13
	s_wait_kmcnt 0x0
	s_and_b32 s12, s12, 0xffff
	s_delay_alu instid0(SALU_CYCLE_1)
	s_lshl_b32 s14, s12, 2
.LBB55_3:                               ; =>This Inner Loop Header: Depth=1
	v_add_nc_u64_e32 v[10:11], s[2:3], v[4:5]
	v_add_nc_u64_e32 v[12:13], s[6:7], v[4:5]
	;; [unrolled: 1-line block ×3, first 2 shown]
	global_load_b32 v1, v[10:11], off
	global_load_b32 v9, v[12:13], off
	s_wait_loadcnt 0x1
	s_wait_xcnt 0x1
	v_cvt_f32_ubyte0_e32 v10, v1
	s_wait_xcnt 0x0
	v_cvt_f32_ubyte1_e32 v12, v1
	v_cvt_f32_ubyte2_e32 v14, v1
	v_cvt_f32_ubyte3_e32 v1, v1
	s_wait_loadcnt 0x0
	v_dual_lshrrev_b32 v11, 8, v9 :: v_dual_lshrrev_b32 v13, 16, v9
	v_rcp_iflag_f32_e32 v16, v10
	v_rcp_iflag_f32_e32 v17, v12
	;; [unrolled: 1-line block ×4, first 2 shown]
	v_dual_mul_f32 v16, v8, v16 :: v_dual_lshrrev_b32 v15, 24, v9
	s_delay_alu instid0(TRANS32_DEP_2) | instskip(NEXT) | instid1(VALU_DEP_2)
	v_dual_mul_f32 v17, v8, v17 :: v_dual_mul_f32 v18, v8, v18
	v_trunc_f32_e32 v16, v16
	s_delay_alu instid0(VALU_DEP_2) | instskip(NEXT) | instid1(TRANS32_DEP_1)
	v_trunc_f32_e32 v17, v17
	v_mul_f32_e32 v19, v8, v19
	s_delay_alu instid0(VALU_DEP_4) | instskip(NEXT) | instid1(VALU_DEP_3)
	v_trunc_f32_e32 v18, v18
	v_fma_f32 v21, -v17, v12, v8
	s_delay_alu instid0(VALU_DEP_3) | instskip(SKIP_3) | instid1(VALU_DEP_4)
	v_trunc_f32_e32 v19, v19
	v_fma_f32 v20, -v16, v10, v8
	v_cvt_u32_f32_e32 v16, v16
	v_cvt_u32_f32_e32 v17, v17
	v_dual_fma_f32 v22, -v18, v14, v8 :: v_dual_fma_f32 v23, -v19, v1, v8
	s_delay_alu instid0(VALU_DEP_4) | instskip(SKIP_2) | instid1(VALU_DEP_3)
	v_cmp_ge_f32_e64 vcc_lo, |v20|, v10
	v_cvt_u32_f32_e32 v18, v18
	v_cvt_u32_f32_e32 v19, v19
	v_add_co_ci_u32_e64 v16, null, 0, v16, vcc_lo
	v_cmp_ge_f32_e64 vcc_lo, |v21|, v12
	s_delay_alu instid0(VALU_DEP_2) | instskip(NEXT) | instid1(VALU_DEP_2)
	v_mad_u16 v9, v16, s18, v9
	v_add_co_ci_u32_e64 v10, null, 0, v17, vcc_lo
	v_cmp_ge_f32_e64 vcc_lo, |v22|, v14
	s_delay_alu instid0(VALU_DEP_2) | instskip(SKIP_1) | instid1(VALU_DEP_3)
	v_mad_u16 v14, v10, s18, v11
	v_lshlrev_b64_e32 v[10:11], 2, v[6:7]
	v_add_co_ci_u32_e64 v12, null, 0, v18, vcc_lo
	v_cmp_ge_f32_e64 vcc_lo, |v23|, v1
	s_delay_alu instid0(VALU_DEP_2) | instskip(SKIP_1) | instid1(VALU_DEP_3)
	v_mad_u16 v12, v12, s18, v13
	v_and_b32_e32 v13, 0xff, v14
	v_add_co_ci_u32_e64 v1, null, 0, v19, vcc_lo
	v_cmp_ge_i64_e32 vcc_lo, v[10:11], v[2:3]
	s_delay_alu instid0(VALU_DEP_4) | instskip(NEXT) | instid1(VALU_DEP_4)
	v_and_b32_e32 v12, 0xff, v12
	v_perm_b32 v9, v13, v9, 0x6050400
	s_delay_alu instid0(VALU_DEP_4)
	v_mad_u16 v1, v1, s18, v15
	v_add_nc_u64_e32 v[10:11], s[4:5], v[4:5]
	v_add_nc_u64_e32 v[4:5], s[14:15], v[4:5]
	v_lshlrev_b32_e32 v12, 16, v12
	s_or_b32 s19, vcc_lo, s19
	v_lshlrev_b32_e32 v1, 24, v1
	s_delay_alu instid0(VALU_DEP_1)
	v_or3_b32 v1, v9, v12, v1
	global_store_b32 v[10:11], v1, off
	s_wait_xcnt 0x0
	s_and_not1_b32 exec_lo, exec_lo, s19
	s_cbranch_execnz .LBB55_3
.LBB55_4:
	s_or_b32 exec_lo, exec_lo, s17
	s_mov_b32 s12, 0
.LBB55_5:
	s_delay_alu instid0(SALU_CYCLE_1)
	s_and_not1_b32 vcc_lo, exec_lo, s12
	s_cbranch_vccnz .LBB55_25
; %bb.6:
	v_cmp_lt_i64_e64 s12, s[10:11], 1
	s_and_b32 vcc_lo, exec_lo, s12
	s_cbranch_vccnz .LBB55_25
; %bb.7:
	s_load_b32 s0, s[0:1], 0xbfc
	v_min_i64 v[2:3], 0x10000, s[10:11]
	v_min_u64 v[4:5], 0x10000, s[10:11]
	v_mov_b32_e32 v1, 0
	s_wait_xcnt 0x0
	s_mov_b32 s1, 0
	s_wait_loadcnt 0x0
	v_cvt_f32_ubyte0_e32 v44, v36
	s_mov_b32 s11, s1
	s_mov_b32 s13, s1
	v_add_nc_u64_e32 v[12:13], s[8:9], v[0:1]
	s_delay_alu instid0(VALU_DEP_1) | instskip(SKIP_4) | instid1(SALU_CYCLE_1)
	v_add_nc_u64_e32 v[6:7], s[6:7], v[12:13]
	v_add_nc_u64_e32 v[8:9], s[2:3], v[12:13]
	;; [unrolled: 1-line block ×3, first 2 shown]
	s_wait_kmcnt 0x0
	s_and_b32 s0, s0, 0xffff
	s_lshl_b32 s10, s0, 1
	s_mul_i32 s12, s0, 3
	v_add_nc_u64_e32 v[20:21], s[0:1], v[12:13]
	s_add_nc_u64 s[14:15], s[8:9], s[12:13]
	s_add_nc_u64 s[8:9], s[8:9], s[10:11]
	v_add_nc_u64_e32 v[26:27], s[14:15], v[0:1]
	v_add_nc_u64_e32 v[32:33], s[8:9], v[0:1]
	;; [unrolled: 1-line block ×14, first 2 shown]
	s_lshl_b32 s0, s0, 2
	s_mov_b64 s[2:3], 0
	s_lshr_b32 s4, s16, 16
	s_branch .LBB55_9
.LBB55_8:                               ;   in Loop: Header=BB55_9 Depth=1
	s_wait_xcnt 0x0
	s_or_b32 exec_lo, exec_lo, s5
	s_add_nc_u64 s[2:3], s[2:3], s[0:1]
	s_delay_alu instid0(SALU_CYCLE_1)
	v_cmp_ge_i64_e32 vcc_lo, s[2:3], v[2:3]
	s_cbranch_vccnz .LBB55_25
.LBB55_9:                               ; =>This Inner Loop Header: Depth=1
	v_add_nc_u64_e32 v[36:37], s[2:3], v[0:1]
	s_wait_loadcnt 0x0
	v_dual_mov_b32 v46, 0 :: v_dual_mov_b32 v45, 0
	s_mov_b32 s5, exec_lo
	s_delay_alu instid0(VALU_DEP_2)
	v_cmpx_lt_i64_e64 v[36:37], v[2:3]
	s_cbranch_execz .LBB55_11
; %bb.10:                               ;   in Loop: Header=BB55_9 Depth=1
	v_add_nc_u64_e32 v[38:39], s[2:3], v[6:7]
	v_add_nc_u64_e32 v[40:41], s[2:3], v[8:9]
	global_load_u8 v45, v[38:39], off
	global_load_u8 v46, v[40:41], off
.LBB55_11:                              ;   in Loop: Header=BB55_9 Depth=1
	s_wait_xcnt 0x0
	s_or_b32 exec_lo, exec_lo, s5
	v_add_nc_u64_e32 v[38:39], s[2:3], v[34:35]
	s_mov_b32 s5, exec_lo
	s_delay_alu instid0(VALU_DEP_1)
	v_cmpx_lt_i64_e64 v[38:39], v[2:3]
	s_cbranch_execz .LBB55_13
; %bb.12:                               ;   in Loop: Header=BB55_9 Depth=1
	v_add_nc_u64_e32 v[40:41], s[2:3], v[16:17]
	v_add_nc_u64_e32 v[42:43], s[2:3], v[18:19]
	global_load_u8 v47, v[40:41], off
	global_load_u8 v48, v[42:43], off
	s_wait_loadcnt 0x1
	v_lshl_or_b32 v45, v47, 8, v45
	s_wait_loadcnt 0x0
	v_lshl_or_b32 v46, v48, 8, v46
.LBB55_13:                              ;   in Loop: Header=BB55_9 Depth=1
	s_wait_xcnt 0x0
	s_or_b32 exec_lo, exec_lo, s5
	v_add_nc_u64_e32 v[40:41], s[2:3], v[14:15]
	s_mov_b32 s5, exec_lo
	s_delay_alu instid0(VALU_DEP_1)
	v_cmpx_lt_i64_e64 v[40:41], v[2:3]
	s_cbranch_execz .LBB55_15
; %bb.14:                               ;   in Loop: Header=BB55_9 Depth=1
	v_add_nc_u64_e32 v[42:43], s[2:3], v[28:29]
	v_add_nc_u64_e32 v[48:49], s[2:3], v[30:31]
	global_load_u8 v47, v[42:43], off
	global_load_u8 v50, v[48:49], off
	s_wait_loadcnt 0x1
	v_lshl_or_b32 v45, v47, 16, v45
	s_wait_loadcnt 0x0
	v_lshl_or_b32 v46, v50, 16, v46
.LBB55_15:                              ;   in Loop: Header=BB55_9 Depth=1
	s_wait_xcnt 0x0
	s_or_b32 exec_lo, exec_lo, s5
	v_add_nc_u64_e32 v[42:43], s[2:3], v[12:13]
	s_mov_b32 s5, exec_lo
	s_delay_alu instid0(VALU_DEP_1)
	v_cmpx_lt_i64_e64 v[42:43], v[2:3]
	s_cbranch_execnz .LBB55_20
; %bb.16:                               ;   in Loop: Header=BB55_9 Depth=1
	s_or_b32 exec_lo, exec_lo, s5
	s_delay_alu instid0(SALU_CYCLE_1)
	s_mov_b32 s5, exec_lo
	v_cmpx_lt_u64_e64 v[36:37], v[4:5]
	s_cbranch_execnz .LBB55_21
.LBB55_17:                              ;   in Loop: Header=BB55_9 Depth=1
	s_or_b32 exec_lo, exec_lo, s5
	s_delay_alu instid0(SALU_CYCLE_1)
	s_mov_b32 s5, exec_lo
	v_cmpx_lt_u64_e64 v[38:39], v[4:5]
	s_cbranch_execnz .LBB55_22
.LBB55_18:                              ;   in Loop: Header=BB55_9 Depth=1
	s_or_b32 exec_lo, exec_lo, s5
	s_delay_alu instid0(SALU_CYCLE_1)
	s_mov_b32 s5, exec_lo
	v_cmpx_lt_u64_e64 v[40:41], v[4:5]
	s_cbranch_execnz .LBB55_23
.LBB55_19:                              ;   in Loop: Header=BB55_9 Depth=1
	s_or_b32 exec_lo, exec_lo, s5
	s_delay_alu instid0(SALU_CYCLE_1)
	s_mov_b32 s5, exec_lo
	v_cmpx_lt_u64_e64 v[42:43], v[4:5]
	s_cbranch_execz .LBB55_8
	s_branch .LBB55_24
.LBB55_20:                              ;   in Loop: Header=BB55_9 Depth=1
	v_add_nc_u64_e32 v[48:49], s[2:3], v[22:23]
	v_add_nc_u64_e32 v[50:51], s[2:3], v[24:25]
	global_load_u8 v47, v[48:49], off
	global_load_u8 v52, v[50:51], off
	s_wait_loadcnt 0x1
	v_lshl_or_b32 v45, v47, 24, v45
	s_wait_loadcnt 0x0
	v_lshl_or_b32 v46, v52, 24, v46
	s_wait_xcnt 0x0
	s_or_b32 exec_lo, exec_lo, s5
	s_delay_alu instid0(SALU_CYCLE_1)
	s_mov_b32 s5, exec_lo
	v_cmpx_lt_u64_e64 v[36:37], v[4:5]
	s_cbranch_execz .LBB55_17
.LBB55_21:                              ;   in Loop: Header=BB55_9 Depth=1
	s_wait_loadcnt 0x0
	v_cvt_f32_ubyte0_e32 v36, v46
	s_delay_alu instid0(VALU_DEP_1) | instskip(SKIP_1) | instid1(TRANS32_DEP_1)
	v_rcp_iflag_f32_e32 v37, v36
	v_nop
	v_mul_f32_e32 v37, v44, v37
	s_delay_alu instid0(VALU_DEP_1) | instskip(NEXT) | instid1(VALU_DEP_1)
	v_trunc_f32_e32 v37, v37
	v_fma_f32 v47, -v37, v36, v44
	v_cvt_u32_f32_e32 v37, v37
	s_delay_alu instid0(VALU_DEP_2) | instskip(NEXT) | instid1(VALU_DEP_1)
	v_cmp_ge_f32_e64 vcc_lo, |v47|, v36
	v_add_co_ci_u32_e64 v47, null, 0, v37, vcc_lo
	v_add_nc_u64_e32 v[36:37], s[2:3], v[10:11]
	s_delay_alu instid0(VALU_DEP_2) | instskip(SKIP_3) | instid1(SALU_CYCLE_1)
	v_mad_u16 v47, v47, s4, v45
	global_store_b8 v[36:37], v47, off
	s_wait_xcnt 0x0
	s_or_b32 exec_lo, exec_lo, s5
	s_mov_b32 s5, exec_lo
	v_cmpx_lt_u64_e64 v[38:39], v[4:5]
	s_cbranch_execz .LBB55_18
.LBB55_22:                              ;   in Loop: Header=BB55_9 Depth=1
	s_wait_loadcnt 0x0
	v_cvt_f32_ubyte1_e32 v36, v46
	v_lshrrev_b32_e32 v39, 8, v45
	s_delay_alu instid0(VALU_DEP_2) | instskip(SKIP_1) | instid1(TRANS32_DEP_1)
	v_rcp_iflag_f32_e32 v37, v36
	v_nop
	v_mul_f32_e32 v37, v44, v37
	s_delay_alu instid0(VALU_DEP_1) | instskip(NEXT) | instid1(VALU_DEP_1)
	v_trunc_f32_e32 v37, v37
	v_fma_f32 v38, -v37, v36, v44
	v_cvt_u32_f32_e32 v37, v37
	s_delay_alu instid0(VALU_DEP_2) | instskip(NEXT) | instid1(VALU_DEP_1)
	v_cmp_ge_f32_e64 vcc_lo, |v38|, v36
	v_add_co_ci_u32_e64 v38, null, 0, v37, vcc_lo
	v_add_nc_u64_e32 v[36:37], s[2:3], v[20:21]
	s_delay_alu instid0(VALU_DEP_2) | instskip(SKIP_3) | instid1(SALU_CYCLE_1)
	v_mad_u16 v38, v38, s4, v39
	global_store_b8 v[36:37], v38, off
	s_wait_xcnt 0x0
	s_or_b32 exec_lo, exec_lo, s5
	s_mov_b32 s5, exec_lo
	v_cmpx_lt_u64_e64 v[40:41], v[4:5]
	s_cbranch_execz .LBB55_19
.LBB55_23:                              ;   in Loop: Header=BB55_9 Depth=1
	s_wait_loadcnt 0x0
	v_cvt_f32_ubyte2_e32 v36, v46
	v_lshrrev_b32_e32 v39, 16, v45
	s_delay_alu instid0(VALU_DEP_2) | instskip(SKIP_1) | instid1(TRANS32_DEP_1)
	v_rcp_iflag_f32_e32 v37, v36
	v_nop
	v_mul_f32_e32 v37, v44, v37
	s_delay_alu instid0(VALU_DEP_1) | instskip(NEXT) | instid1(VALU_DEP_1)
	v_trunc_f32_e32 v37, v37
	v_fma_f32 v38, -v37, v36, v44
	v_cvt_u32_f32_e32 v37, v37
	s_delay_alu instid0(VALU_DEP_2) | instskip(NEXT) | instid1(VALU_DEP_1)
	v_cmp_ge_f32_e64 vcc_lo, |v38|, v36
	v_add_co_ci_u32_e64 v38, null, 0, v37, vcc_lo
	v_add_nc_u64_e32 v[36:37], s[2:3], v[32:33]
	s_delay_alu instid0(VALU_DEP_2) | instskip(SKIP_3) | instid1(SALU_CYCLE_1)
	v_mad_u16 v38, v38, s4, v39
	global_store_b8 v[36:37], v38, off
	s_wait_xcnt 0x0
	s_or_b32 exec_lo, exec_lo, s5
	s_mov_b32 s5, exec_lo
	v_cmpx_lt_u64_e64 v[42:43], v[4:5]
	s_cbranch_execz .LBB55_8
.LBB55_24:                              ;   in Loop: Header=BB55_9 Depth=1
	s_wait_loadcnt 0x0
	v_cvt_f32_ubyte3_e32 v36, v46
	v_lshrrev_b32_e32 v39, 24, v45
	s_delay_alu instid0(VALU_DEP_2) | instskip(SKIP_1) | instid1(TRANS32_DEP_1)
	v_rcp_iflag_f32_e32 v37, v36
	v_nop
	v_mul_f32_e32 v37, v44, v37
	s_delay_alu instid0(VALU_DEP_1) | instskip(NEXT) | instid1(VALU_DEP_1)
	v_trunc_f32_e32 v37, v37
	v_fma_f32 v38, -v37, v36, v44
	v_cvt_u32_f32_e32 v37, v37
	s_delay_alu instid0(VALU_DEP_2) | instskip(NEXT) | instid1(VALU_DEP_1)
	v_cmp_ge_f32_e64 vcc_lo, |v38|, v36
	v_add_co_ci_u32_e64 v38, null, 0, v37, vcc_lo
	v_add_nc_u64_e32 v[36:37], s[2:3], v[26:27]
	s_delay_alu instid0(VALU_DEP_2)
	v_mad_u16 v38, v38, s4, v39
	global_store_b8 v[36:37], v38, off
	s_branch .LBB55_8
.LBB55_25:
	s_endpgm
	.section	.rodata,"a",@progbits
	.p2align	6, 0x0
	.amdhsa_kernel _ZN2at6native12_GLOBAL__N_125multi_tensor_apply_kernelINS1_18TensorListMetadataILi4EEENS1_32PointwiseOpScalar0dTensorFunctorIhLi4ELi2ELi3EEEJSt7dividesIhEhEEEvT_T0_DpT1_
		.amdhsa_group_segment_fixed_size 0
		.amdhsa_private_segment_fixed_size 0
		.amdhsa_kernarg_size 3312
		.amdhsa_user_sgpr_count 2
		.amdhsa_user_sgpr_dispatch_ptr 0
		.amdhsa_user_sgpr_queue_ptr 0
		.amdhsa_user_sgpr_kernarg_segment_ptr 1
		.amdhsa_user_sgpr_dispatch_id 0
		.amdhsa_user_sgpr_kernarg_preload_length 0
		.amdhsa_user_sgpr_kernarg_preload_offset 0
		.amdhsa_user_sgpr_private_segment_size 0
		.amdhsa_wavefront_size32 1
		.amdhsa_uses_dynamic_stack 0
		.amdhsa_enable_private_segment 0
		.amdhsa_system_sgpr_workgroup_id_x 1
		.amdhsa_system_sgpr_workgroup_id_y 0
		.amdhsa_system_sgpr_workgroup_id_z 0
		.amdhsa_system_sgpr_workgroup_info 0
		.amdhsa_system_vgpr_workitem_id 0
		.amdhsa_next_free_vgpr 53
		.amdhsa_next_free_sgpr 20
		.amdhsa_named_barrier_count 0
		.amdhsa_reserve_vcc 1
		.amdhsa_float_round_mode_32 0
		.amdhsa_float_round_mode_16_64 0
		.amdhsa_float_denorm_mode_32 3
		.amdhsa_float_denorm_mode_16_64 3
		.amdhsa_fp16_overflow 0
		.amdhsa_memory_ordered 1
		.amdhsa_forward_progress 1
		.amdhsa_inst_pref_size 16
		.amdhsa_round_robin_scheduling 0
		.amdhsa_exception_fp_ieee_invalid_op 0
		.amdhsa_exception_fp_denorm_src 0
		.amdhsa_exception_fp_ieee_div_zero 0
		.amdhsa_exception_fp_ieee_overflow 0
		.amdhsa_exception_fp_ieee_underflow 0
		.amdhsa_exception_fp_ieee_inexact 0
		.amdhsa_exception_int_div_zero 0
	.end_amdhsa_kernel
	.section	.text._ZN2at6native12_GLOBAL__N_125multi_tensor_apply_kernelINS1_18TensorListMetadataILi4EEENS1_32PointwiseOpScalar0dTensorFunctorIhLi4ELi2ELi3EEEJSt7dividesIhEhEEEvT_T0_DpT1_,"axG",@progbits,_ZN2at6native12_GLOBAL__N_125multi_tensor_apply_kernelINS1_18TensorListMetadataILi4EEENS1_32PointwiseOpScalar0dTensorFunctorIhLi4ELi2ELi3EEEJSt7dividesIhEhEEEvT_T0_DpT1_,comdat
.Lfunc_end55:
	.size	_ZN2at6native12_GLOBAL__N_125multi_tensor_apply_kernelINS1_18TensorListMetadataILi4EEENS1_32PointwiseOpScalar0dTensorFunctorIhLi4ELi2ELi3EEEJSt7dividesIhEhEEEvT_T0_DpT1_, .Lfunc_end55-_ZN2at6native12_GLOBAL__N_125multi_tensor_apply_kernelINS1_18TensorListMetadataILi4EEENS1_32PointwiseOpScalar0dTensorFunctorIhLi4ELi2ELi3EEEJSt7dividesIhEhEEEvT_T0_DpT1_
                                        ; -- End function
	.set _ZN2at6native12_GLOBAL__N_125multi_tensor_apply_kernelINS1_18TensorListMetadataILi4EEENS1_32PointwiseOpScalar0dTensorFunctorIhLi4ELi2ELi3EEEJSt7dividesIhEhEEEvT_T0_DpT1_.num_vgpr, 53
	.set _ZN2at6native12_GLOBAL__N_125multi_tensor_apply_kernelINS1_18TensorListMetadataILi4EEENS1_32PointwiseOpScalar0dTensorFunctorIhLi4ELi2ELi3EEEJSt7dividesIhEhEEEvT_T0_DpT1_.num_agpr, 0
	.set _ZN2at6native12_GLOBAL__N_125multi_tensor_apply_kernelINS1_18TensorListMetadataILi4EEENS1_32PointwiseOpScalar0dTensorFunctorIhLi4ELi2ELi3EEEJSt7dividesIhEhEEEvT_T0_DpT1_.numbered_sgpr, 20
	.set _ZN2at6native12_GLOBAL__N_125multi_tensor_apply_kernelINS1_18TensorListMetadataILi4EEENS1_32PointwiseOpScalar0dTensorFunctorIhLi4ELi2ELi3EEEJSt7dividesIhEhEEEvT_T0_DpT1_.num_named_barrier, 0
	.set _ZN2at6native12_GLOBAL__N_125multi_tensor_apply_kernelINS1_18TensorListMetadataILi4EEENS1_32PointwiseOpScalar0dTensorFunctorIhLi4ELi2ELi3EEEJSt7dividesIhEhEEEvT_T0_DpT1_.private_seg_size, 0
	.set _ZN2at6native12_GLOBAL__N_125multi_tensor_apply_kernelINS1_18TensorListMetadataILi4EEENS1_32PointwiseOpScalar0dTensorFunctorIhLi4ELi2ELi3EEEJSt7dividesIhEhEEEvT_T0_DpT1_.uses_vcc, 1
	.set _ZN2at6native12_GLOBAL__N_125multi_tensor_apply_kernelINS1_18TensorListMetadataILi4EEENS1_32PointwiseOpScalar0dTensorFunctorIhLi4ELi2ELi3EEEJSt7dividesIhEhEEEvT_T0_DpT1_.uses_flat_scratch, 0
	.set _ZN2at6native12_GLOBAL__N_125multi_tensor_apply_kernelINS1_18TensorListMetadataILi4EEENS1_32PointwiseOpScalar0dTensorFunctorIhLi4ELi2ELi3EEEJSt7dividesIhEhEEEvT_T0_DpT1_.has_dyn_sized_stack, 0
	.set _ZN2at6native12_GLOBAL__N_125multi_tensor_apply_kernelINS1_18TensorListMetadataILi4EEENS1_32PointwiseOpScalar0dTensorFunctorIhLi4ELi2ELi3EEEJSt7dividesIhEhEEEvT_T0_DpT1_.has_recursion, 0
	.set _ZN2at6native12_GLOBAL__N_125multi_tensor_apply_kernelINS1_18TensorListMetadataILi4EEENS1_32PointwiseOpScalar0dTensorFunctorIhLi4ELi2ELi3EEEJSt7dividesIhEhEEEvT_T0_DpT1_.has_indirect_call, 0
	.section	.AMDGPU.csdata,"",@progbits
; Kernel info:
; codeLenInByte = 1936
; TotalNumSgprs: 22
; NumVgprs: 53
; ScratchSize: 0
; MemoryBound: 0
; FloatMode: 240
; IeeeMode: 1
; LDSByteSize: 0 bytes/workgroup (compile time only)
; SGPRBlocks: 0
; VGPRBlocks: 3
; NumSGPRsForWavesPerEU: 22
; NumVGPRsForWavesPerEU: 53
; NamedBarCnt: 0
; Occupancy: 16
; WaveLimiterHint : 0
; COMPUTE_PGM_RSRC2:SCRATCH_EN: 0
; COMPUTE_PGM_RSRC2:USER_SGPR: 2
; COMPUTE_PGM_RSRC2:TRAP_HANDLER: 0
; COMPUTE_PGM_RSRC2:TGID_X_EN: 1
; COMPUTE_PGM_RSRC2:TGID_Y_EN: 0
; COMPUTE_PGM_RSRC2:TGID_Z_EN: 0
; COMPUTE_PGM_RSRC2:TIDIG_COMP_CNT: 0
	.section	.text._ZN2at6native12_GLOBAL__N_125multi_tensor_apply_kernelINS1_18TensorListMetadataILi4EEENS1_32PointwiseOpScalar0dTensorFunctorIaLi4ELi2ELi3EEEJSt7dividesIaEaEEEvT_T0_DpT1_,"axG",@progbits,_ZN2at6native12_GLOBAL__N_125multi_tensor_apply_kernelINS1_18TensorListMetadataILi4EEENS1_32PointwiseOpScalar0dTensorFunctorIaLi4ELi2ELi3EEEJSt7dividesIaEaEEEvT_T0_DpT1_,comdat
	.globl	_ZN2at6native12_GLOBAL__N_125multi_tensor_apply_kernelINS1_18TensorListMetadataILi4EEENS1_32PointwiseOpScalar0dTensorFunctorIaLi4ELi2ELi3EEEJSt7dividesIaEaEEEvT_T0_DpT1_ ; -- Begin function _ZN2at6native12_GLOBAL__N_125multi_tensor_apply_kernelINS1_18TensorListMetadataILi4EEENS1_32PointwiseOpScalar0dTensorFunctorIaLi4ELi2ELi3EEEJSt7dividesIaEaEEEvT_T0_DpT1_
	.p2align	8
	.type	_ZN2at6native12_GLOBAL__N_125multi_tensor_apply_kernelINS1_18TensorListMetadataILi4EEENS1_32PointwiseOpScalar0dTensorFunctorIaLi4ELi2ELi3EEEJSt7dividesIaEaEEEvT_T0_DpT1_,@function
_ZN2at6native12_GLOBAL__N_125multi_tensor_apply_kernelINS1_18TensorListMetadataILi4EEENS1_32PointwiseOpScalar0dTensorFunctorIaLi4ELi2ELi3EEEJSt7dividesIaEaEEEvT_T0_DpT1_: ; @_ZN2at6native12_GLOBAL__N_125multi_tensor_apply_kernelINS1_18TensorListMetadataILi4EEENS1_32PointwiseOpScalar0dTensorFunctorIaLi4ELi2ELi3EEEJSt7dividesIaEaEEEvT_T0_DpT1_
; %bb.0:
	s_bfe_u32 s2, ttmp6, 0x4000c
	s_and_b32 s3, ttmp6, 15
	s_add_co_i32 s2, s2, 1
	s_getreg_b32 s4, hwreg(HW_REG_IB_STS2, 6, 4)
	s_mul_i32 s2, ttmp9, s2
	s_mov_b32 s11, 0
	s_add_co_i32 s3, s3, s2
	s_cmp_eq_u32 s4, 0
	v_mov_b32_e32 v5, 0
	s_cselect_b32 s10, ttmp9, s3
	s_clause 0x1
	s_load_b32 s16, s[0:1], 0xbe8
	s_load_u8 s9, s[0:1], s10 offset:0x5a0
	s_add_nc_u64 s[2:3], s[0:1], s[10:11]
	s_mul_u64 s[4:5], s[10:11], 3
	s_delay_alu instid0(SALU_CYCLE_1)
	s_add_nc_u64 s[2:3], s[2:3], s[4:5]
	s_load_b32 s8, s[2:3], 0x6e0
	s_wait_kmcnt 0x0
	s_clause 0x2
	s_load_b64 s[12:13], s[0:1], s9 offset:0x120 scale_offset
	s_load_b64 s[2:3], s[0:1], s9 offset:0x240 scale_offset
	;; [unrolled: 1-line block ×3, first 2 shown]
	s_wait_kmcnt 0x0
	global_load_u8 v1, v5, s[12:13]
	s_clause 0x1
	s_load_b64 s[6:7], s[0:1], s9 offset:0x0 scale_offset
	s_load_b64 s[14:15], s[0:1], s9 offset:0x480 scale_offset
	s_wait_xcnt 0x0
	s_ashr_i32 s9, s8, 31
	s_delay_alu instid0(SALU_CYCLE_1) | instskip(NEXT) | instid1(SALU_CYCLE_1)
	s_lshl_b64 s[8:9], s[8:9], 16
	s_add_nc_u64 s[12:13], s[12:13], s[8:9]
	s_delay_alu instid0(SALU_CYCLE_1) | instskip(SKIP_4) | instid1(SALU_CYCLE_1)
	s_and_b32 s10, s12, 3
	s_add_nc_u64 s[12:13], s[2:3], s[8:9]
	s_cmp_lg_u64 s[10:11], 0
	s_cselect_b32 s17, -1, 0
	s_or_b32 s10, s4, s12
	s_and_b32 s10, s10, 3
	s_delay_alu instid0(SALU_CYCLE_1) | instskip(SKIP_3) | instid1(SALU_CYCLE_1)
	s_cmp_lg_u32 s10, 0
	s_cselect_b32 s18, -1, 0
	s_wait_kmcnt 0x0
	s_add_nc_u64 s[12:13], s[6:7], s[8:9]
	s_or_b64 s[12:13], s[14:15], s[12:13]
	s_delay_alu instid0(SALU_CYCLE_1) | instskip(SKIP_3) | instid1(SALU_CYCLE_1)
	s_and_b32 s10, s12, 3
	s_or_b32 s12, s18, s17
	s_cmp_lg_u64 s[10:11], 0
	s_cselect_b32 s10, -1, 0
	s_or_b32 s12, s12, s10
	s_sub_nc_u64 s[10:11], s[14:15], s[8:9]
	s_and_not1_b32 vcc_lo, exec_lo, s12
	s_mov_b32 s12, -1
	s_wait_loadcnt 0x0
	v_readfirstlane_b32 s17, v1
	s_cbranch_vccz .LBB56_5
; %bb.1:
	v_min_i64 v[2:3], 0x10000, s[10:11]
	v_lshlrev_b32_e32 v4, 2, v0
	s_mov_b32 s18, exec_lo
	s_delay_alu instid0(VALU_DEP_1)
	v_cmpx_lt_i64_e64 v[4:5], v[2:3]
	s_cbranch_execz .LBB56_4
; %bb.2:
	s_load_b32 s12, s[0:1], 0xbfc
	v_mov_b32_e32 v1, v5
	v_add_nc_u64_e32 v[4:5], s[8:9], v[4:5]
	s_sext_i32_i8 s19, s17
	s_mov_b32 s13, 0
	s_cvt_f32_i32 s21, s19
	v_mov_b64_e32 v[6:7], v[0:1]
	s_lshr_b32 s20, s16, 16
	s_mov_b32 s15, s13
	s_mov_b32 s22, s13
	s_wait_kmcnt 0x0
	s_and_b32 s12, s12, 0xffff
	s_delay_alu instid0(SALU_CYCLE_1)
	s_lshl_b32 s14, s12, 2
.LBB56_3:                               ; =>This Inner Loop Header: Depth=1
	v_add_nc_u64_e32 v[8:9], s[2:3], v[4:5]
	v_add_nc_u64_e32 v[10:11], s[6:7], v[4:5]
	v_add_nc_u64_e32 v[6:7], s[12:13], v[6:7]
	global_load_b32 v1, v[8:9], off
	global_load_b32 v12, v[10:11], off
	s_wait_loadcnt 0x1
	s_wait_xcnt 0x1
	v_bfe_i32 v8, v1, 0, 8
	s_wait_xcnt 0x0
	v_bfe_i32 v10, v1, 8, 8
	v_bfe_i32 v13, v1, 16, 8
	s_wait_loadcnt 0x0
	v_dual_ashrrev_i32 v1, 24, v1 :: v_dual_lshrrev_b32 v9, 8, v12
	v_lshrrev_b32_e32 v11, 16, v12
	v_xor_b32_e32 v14, s19, v8
	v_xor_b32_e32 v16, s19, v13
	v_cvt_f32_i32_e32 v8, v8
	v_cvt_f32_i32_e32 v13, v13
	s_delay_alu instid0(VALU_DEP_4) | instskip(NEXT) | instid1(VALU_DEP_4)
	v_ashrrev_i32_e32 v14, 30, v14
	v_dual_ashrrev_i32 v16, 30, v16 :: v_dual_bitop2_b32 v15, s19, v10 bitop3:0x14
	v_cvt_f32_i32_e32 v10, v10
	v_rcp_iflag_f32_e32 v18, v8
	s_delay_alu instid0(VALU_DEP_2) | instskip(SKIP_1) | instid1(VALU_DEP_2)
	v_dual_ashrrev_i32 v15, 30, v15 :: v_dual_bitop2_b32 v17, s19, v1 bitop3:0x14
	v_rcp_iflag_f32_e32 v20, v13
	v_rcp_iflag_f32_e32 v19, v10
	s_delay_alu instid0(VALU_DEP_1) | instskip(SKIP_1) | instid1(TRANS32_DEP_3)
	v_dual_ashrrev_i32 v17, 30, v17 :: v_dual_bitop2_b32 v16, 1, v16 bitop3:0x54
	v_or_b32_e32 v14, 1, v14
	v_dual_mul_f32 v18, s21, v18 :: v_dual_bitop2_b32 v15, 1, v15 bitop3:0x54
	v_cvt_f32_i32_e32 v1, v1
	s_delay_alu instid0(TRANS32_DEP_1) | instid1(VALU_DEP_4)
	v_dual_mul_f32 v19, s21, v19 :: v_dual_bitop2_b32 v17, 1, v17 bitop3:0x54
	v_mul_f32_e32 v20, s21, v20
	s_delay_alu instid0(VALU_DEP_4) | instskip(NEXT) | instid1(VALU_DEP_4)
	v_trunc_f32_e32 v18, v18
	v_rcp_iflag_f32_e32 v21, v1
	s_delay_alu instid0(VALU_DEP_3) | instskip(NEXT) | instid1(VALU_DEP_3)
	v_trunc_f32_e32 v19, v19
	v_trunc_f32_e32 v20, v20
	s_delay_alu instid0(VALU_DEP_3) | instskip(SKIP_1) | instid1(VALU_DEP_4)
	v_fma_f32 v22, -v18, v8, s21
	v_cvt_i32_f32_e32 v18, v18
	v_fma_f32 v23, -v19, v10, s21
	v_cvt_i32_f32_e32 v19, v19
	v_fma_f32 v24, -v20, v13, s21
	v_cvt_i32_f32_e32 v20, v20
	s_delay_alu instid0(VALU_DEP_4) | instskip(SKIP_2) | instid1(VALU_DEP_2)
	v_cmp_ge_f32_e64 vcc_lo, |v23|, |v10|
	v_dual_mul_f32 v21, s21, v21 :: v_dual_cndmask_b32 v10, 0, v15
	v_cmp_ge_f32_e64 vcc_lo, |v22|, |v8|
	v_trunc_f32_e32 v21, v21
	v_cndmask_b32_e32 v8, 0, v14, vcc_lo
	v_cmp_ge_f32_e64 vcc_lo, |v24|, |v13|
	s_delay_alu instid0(VALU_DEP_3) | instskip(SKIP_3) | instid1(VALU_DEP_4)
	v_fma_f32 v14, -v21, v1, s21
	v_cvt_i32_f32_e32 v15, v21
	v_dual_cndmask_b32 v13, 0, v16 :: v_dual_add_nc_u32 v10, v19, v10
	v_add_nc_u32_e32 v8, v18, v8
	v_cmp_ge_f32_e64 vcc_lo, |v14|, |v1|
	s_delay_alu instid0(VALU_DEP_3) | instskip(NEXT) | instid1(VALU_DEP_4)
	v_add_nc_u32_e32 v13, v20, v13
	v_mad_u16 v9, s20, v10, v9
	s_delay_alu instid0(VALU_DEP_4) | instskip(SKIP_1) | instid1(VALU_DEP_4)
	v_mad_u16 v10, s20, v8, v12
	v_dual_cndmask_b32 v1, 0, v17 :: v_dual_lshrrev_b32 v12, 24, v12
	v_mad_u16 v11, s20, v13, v11
	s_delay_alu instid0(VALU_DEP_4) | instskip(SKIP_1) | instid1(VALU_DEP_4)
	v_and_b32_e32 v13, 0xff, v9
	v_lshlrev_b64_e32 v[8:9], 2, v[6:7]
	v_add_nc_u32_e32 v1, v15, v1
	s_delay_alu instid0(VALU_DEP_4) | instskip(NEXT) | instid1(VALU_DEP_4)
	v_and_b32_e32 v11, 0xff, v11
	v_perm_b32 v10, v13, v10, 0x6050400
	s_delay_alu instid0(VALU_DEP_3) | instskip(SKIP_2) | instid1(VALU_DEP_4)
	v_mad_u16 v1, s20, v1, v12
	v_cmp_ge_i64_e32 vcc_lo, v[8:9], v[2:3]
	v_add_nc_u64_e32 v[8:9], s[4:5], v[4:5]
	v_lshl_or_b32 v10, v11, 16, v10
	v_add_nc_u64_e32 v[4:5], s[14:15], v[4:5]
	s_delay_alu instid0(VALU_DEP_2)
	v_lshl_or_b32 v1, v1, 24, v10
	s_or_b32 s22, vcc_lo, s22
	global_store_b32 v[8:9], v1, off
	s_wait_xcnt 0x0
	s_and_not1_b32 exec_lo, exec_lo, s22
	s_cbranch_execnz .LBB56_3
.LBB56_4:
	s_or_b32 exec_lo, exec_lo, s18
	s_mov_b32 s12, 0
.LBB56_5:
	s_delay_alu instid0(SALU_CYCLE_1)
	s_and_not1_b32 vcc_lo, exec_lo, s12
	s_cbranch_vccnz .LBB56_25
; %bb.6:
	v_cmp_lt_i64_e64 s12, s[10:11], 1
	s_and_b32 vcc_lo, exec_lo, s12
	s_cbranch_vccnz .LBB56_25
; %bb.7:
	s_load_b32 s0, s[0:1], 0xbfc
	v_min_i64 v[2:3], 0x10000, s[10:11]
	v_min_u64 v[4:5], 0x10000, s[10:11]
	v_mov_b32_e32 v1, 0
	s_mov_b32 s13, 0
	s_delay_alu instid0(SALU_CYCLE_1) | instskip(SKIP_1) | instid1(VALU_DEP_1)
	s_mov_b32 s11, s13
	s_mov_b32 s15, s13
	v_add_nc_u64_e32 v[12:13], s[8:9], v[0:1]
	s_wait_xcnt 0x0
	s_mov_b32 s1, s13
	s_delay_alu instid0(VALU_DEP_1) | instskip(SKIP_4) | instid1(SALU_CYCLE_1)
	v_add_nc_u64_e32 v[6:7], s[6:7], v[12:13]
	v_add_nc_u64_e32 v[8:9], s[2:3], v[12:13]
	;; [unrolled: 1-line block ×3, first 2 shown]
	s_wait_kmcnt 0x0
	s_and_b32 s12, s0, 0xffff
	s_lshl_b32 s10, s12, 1
	s_mul_i32 s14, s12, 3
	v_add_nc_u64_e32 v[20:21], s[12:13], v[12:13]
	s_add_nc_u64 s[18:19], s[8:9], s[14:15]
	s_add_nc_u64 s[8:9], s[8:9], s[10:11]
	v_add_nc_u64_e32 v[26:27], s[18:19], v[0:1]
	v_add_nc_u64_e32 v[32:33], s[8:9], v[0:1]
	;; [unrolled: 1-line block ×14, first 2 shown]
	s_sext_i32_i8 s4, s17
	s_lshl_b32 s0, s12, 2
	s_cvt_f32_i32 s5, s4
	s_mov_b64 s[2:3], 0
	s_lshr_b32 s6, s16, 16
	s_branch .LBB56_9
.LBB56_8:                               ;   in Loop: Header=BB56_9 Depth=1
	s_wait_xcnt 0x0
	s_or_b32 exec_lo, exec_lo, s7
	s_add_nc_u64 s[2:3], s[2:3], s[0:1]
	s_delay_alu instid0(SALU_CYCLE_1)
	v_cmp_ge_i64_e32 vcc_lo, s[2:3], v[2:3]
	s_cbranch_vccnz .LBB56_25
.LBB56_9:                               ; =>This Inner Loop Header: Depth=1
	v_add_nc_u64_e32 v[42:43], s[2:3], v[0:1]
	s_wait_loadcnt 0x0
	v_dual_mov_b32 v45, 0 :: v_dual_mov_b32 v44, 0
	s_mov_b32 s7, exec_lo
	s_delay_alu instid0(VALU_DEP_2)
	v_cmpx_lt_i64_e64 v[42:43], v[2:3]
	s_cbranch_execz .LBB56_11
; %bb.10:                               ;   in Loop: Header=BB56_9 Depth=1
	v_add_nc_u64_e32 v[36:37], s[2:3], v[6:7]
	v_add_nc_u64_e32 v[38:39], s[2:3], v[8:9]
	global_load_u8 v44, v[36:37], off
	global_load_u8 v45, v[38:39], off
.LBB56_11:                              ;   in Loop: Header=BB56_9 Depth=1
	s_wait_xcnt 0x0
	s_or_b32 exec_lo, exec_lo, s7
	v_add_nc_u64_e32 v[40:41], s[2:3], v[34:35]
	s_mov_b32 s7, exec_lo
	s_delay_alu instid0(VALU_DEP_1)
	v_cmpx_lt_i64_e64 v[40:41], v[2:3]
	s_cbranch_execz .LBB56_13
; %bb.12:                               ;   in Loop: Header=BB56_9 Depth=1
	v_add_nc_u64_e32 v[36:37], s[2:3], v[16:17]
	v_add_nc_u64_e32 v[38:39], s[2:3], v[18:19]
	global_load_u8 v46, v[36:37], off
	global_load_u8 v47, v[38:39], off
	s_wait_loadcnt 0x1
	v_lshl_or_b32 v44, v46, 8, v44
	s_wait_loadcnt 0x0
	v_lshl_or_b32 v45, v47, 8, v45
.LBB56_13:                              ;   in Loop: Header=BB56_9 Depth=1
	s_wait_xcnt 0x0
	s_or_b32 exec_lo, exec_lo, s7
	v_add_nc_u64_e32 v[38:39], s[2:3], v[14:15]
	s_mov_b32 s7, exec_lo
	s_delay_alu instid0(VALU_DEP_1)
	v_cmpx_lt_i64_e64 v[38:39], v[2:3]
	s_cbranch_execz .LBB56_15
; %bb.14:                               ;   in Loop: Header=BB56_9 Depth=1
	v_add_nc_u64_e32 v[36:37], s[2:3], v[28:29]
	v_add_nc_u64_e32 v[46:47], s[2:3], v[30:31]
	global_load_u8 v48, v[36:37], off
	global_load_u8 v49, v[46:47], off
	s_wait_loadcnt 0x1
	v_lshl_or_b32 v44, v48, 16, v44
	s_wait_loadcnt 0x0
	v_lshl_or_b32 v45, v49, 16, v45
.LBB56_15:                              ;   in Loop: Header=BB56_9 Depth=1
	s_wait_xcnt 0x0
	s_or_b32 exec_lo, exec_lo, s7
	v_add_nc_u64_e32 v[36:37], s[2:3], v[12:13]
	s_mov_b32 s7, exec_lo
	s_delay_alu instid0(VALU_DEP_1)
	v_cmpx_lt_i64_e64 v[36:37], v[2:3]
	s_cbranch_execnz .LBB56_20
; %bb.16:                               ;   in Loop: Header=BB56_9 Depth=1
	s_or_b32 exec_lo, exec_lo, s7
	s_delay_alu instid0(SALU_CYCLE_1)
	s_mov_b32 s7, exec_lo
	v_cmpx_lt_u64_e64 v[42:43], v[4:5]
	s_cbranch_execnz .LBB56_21
.LBB56_17:                              ;   in Loop: Header=BB56_9 Depth=1
	s_or_b32 exec_lo, exec_lo, s7
	s_delay_alu instid0(SALU_CYCLE_1)
	s_mov_b32 s7, exec_lo
	v_cmpx_lt_u64_e64 v[40:41], v[4:5]
	s_cbranch_execnz .LBB56_22
.LBB56_18:                              ;   in Loop: Header=BB56_9 Depth=1
	s_or_b32 exec_lo, exec_lo, s7
	s_delay_alu instid0(SALU_CYCLE_1)
	s_mov_b32 s7, exec_lo
	v_cmpx_lt_u64_e64 v[38:39], v[4:5]
	s_cbranch_execnz .LBB56_23
.LBB56_19:                              ;   in Loop: Header=BB56_9 Depth=1
	s_or_b32 exec_lo, exec_lo, s7
	s_delay_alu instid0(SALU_CYCLE_1)
	s_mov_b32 s7, exec_lo
	v_cmpx_lt_u64_e64 v[36:37], v[4:5]
	s_cbranch_execz .LBB56_8
	s_branch .LBB56_24
.LBB56_20:                              ;   in Loop: Header=BB56_9 Depth=1
	v_add_nc_u64_e32 v[46:47], s[2:3], v[22:23]
	v_add_nc_u64_e32 v[48:49], s[2:3], v[24:25]
	global_load_u8 v50, v[46:47], off
	global_load_u8 v51, v[48:49], off
	s_wait_loadcnt 0x1
	v_lshl_or_b32 v44, v50, 24, v44
	s_wait_loadcnt 0x0
	v_lshl_or_b32 v45, v51, 24, v45
	s_wait_xcnt 0x0
	s_or_b32 exec_lo, exec_lo, s7
	s_delay_alu instid0(SALU_CYCLE_1)
	s_mov_b32 s7, exec_lo
	v_cmpx_lt_u64_e64 v[42:43], v[4:5]
	s_cbranch_execz .LBB56_17
.LBB56_21:                              ;   in Loop: Header=BB56_9 Depth=1
	s_wait_loadcnt 0x0
	v_bfe_i32 v42, v45, 0, 8
	s_delay_alu instid0(VALU_DEP_1) | instskip(SKIP_1) | instid1(VALU_DEP_2)
	v_cvt_f32_i32_e32 v43, v42
	v_xor_b32_e32 v42, s4, v42
	v_rcp_iflag_f32_e32 v46, v43
	s_delay_alu instid0(VALU_DEP_1) | instskip(NEXT) | instid1(VALU_DEP_1)
	v_ashrrev_i32_e32 v42, 30, v42
	v_or_b32_e32 v42, 1, v42
	s_delay_alu instid0(TRANS32_DEP_1) | instskip(NEXT) | instid1(VALU_DEP_1)
	v_mul_f32_e32 v46, s5, v46
	v_trunc_f32_e32 v46, v46
	s_delay_alu instid0(VALU_DEP_1) | instskip(SKIP_1) | instid1(VALU_DEP_2)
	v_fma_f32 v47, -v46, v43, s5
	v_cvt_i32_f32_e32 v46, v46
	v_cmp_ge_f32_e64 vcc_lo, |v47|, |v43|
	v_cndmask_b32_e32 v42, 0, v42, vcc_lo
	s_delay_alu instid0(VALU_DEP_1) | instskip(SKIP_1) | instid1(VALU_DEP_2)
	v_add_nc_u32_e32 v46, v46, v42
	v_add_nc_u64_e32 v[42:43], s[2:3], v[10:11]
	v_mad_u16 v46, s6, v46, v44
	global_store_b8 v[42:43], v46, off
	s_wait_xcnt 0x0
	s_or_b32 exec_lo, exec_lo, s7
	s_delay_alu instid0(SALU_CYCLE_1)
	s_mov_b32 s7, exec_lo
	v_cmpx_lt_u64_e64 v[40:41], v[4:5]
	s_cbranch_execz .LBB56_18
.LBB56_22:                              ;   in Loop: Header=BB56_9 Depth=1
	s_wait_loadcnt 0x0
	v_bfe_i32 v40, v45, 8, 8
	s_delay_alu instid0(VALU_DEP_1) | instskip(SKIP_1) | instid1(VALU_DEP_2)
	v_cvt_f32_i32_e32 v41, v40
	v_xor_b32_e32 v40, s4, v40
	v_rcp_iflag_f32_e32 v42, v41
	s_delay_alu instid0(VALU_DEP_1)
	v_ashrrev_i32_e32 v40, 30, v40
	s_delay_alu instid0(TRANS32_DEP_1) | instid1(VALU_DEP_1)
	v_dual_mul_f32 v42, s5, v42 :: v_dual_bitop2_b32 v40, 1, v40 bitop3:0x54
	s_delay_alu instid0(VALU_DEP_1) | instskip(NEXT) | instid1(VALU_DEP_1)
	v_trunc_f32_e32 v42, v42
	v_fma_f32 v43, -v42, v41, s5
	v_cvt_i32_f32_e32 v42, v42
	s_delay_alu instid0(VALU_DEP_2) | instskip(SKIP_2) | instid1(VALU_DEP_1)
	v_cmp_ge_f32_e64 vcc_lo, |v43|, |v41|
	v_lshrrev_b32_e32 v43, 8, v44
	v_cndmask_b32_e32 v40, 0, v40, vcc_lo
	v_add_nc_u32_e32 v42, v42, v40
	v_add_nc_u64_e32 v[40:41], s[2:3], v[20:21]
	s_delay_alu instid0(VALU_DEP_2) | instskip(SKIP_3) | instid1(SALU_CYCLE_1)
	v_mad_u16 v42, s6, v42, v43
	global_store_b8 v[40:41], v42, off
	s_wait_xcnt 0x0
	s_or_b32 exec_lo, exec_lo, s7
	s_mov_b32 s7, exec_lo
	v_cmpx_lt_u64_e64 v[38:39], v[4:5]
	s_cbranch_execz .LBB56_19
.LBB56_23:                              ;   in Loop: Header=BB56_9 Depth=1
	s_wait_loadcnt 0x0
	v_bfe_i32 v38, v45, 16, 8
	s_delay_alu instid0(VALU_DEP_1) | instskip(SKIP_1) | instid1(VALU_DEP_2)
	v_cvt_f32_i32_e32 v39, v38
	v_xor_b32_e32 v38, s4, v38
	v_rcp_iflag_f32_e32 v40, v39
	v_nop
	s_delay_alu instid0(TRANS32_DEP_1) | instskip(NEXT) | instid1(VALU_DEP_1)
	v_dual_ashrrev_i32 v38, 30, v38 :: v_dual_mul_f32 v40, s5, v40
	v_trunc_f32_e32 v40, v40
	s_delay_alu instid0(VALU_DEP_1) | instskip(SKIP_1) | instid1(VALU_DEP_2)
	v_fma_f32 v41, -v40, v39, s5
	v_cvt_i32_f32_e32 v40, v40
	v_cmp_ge_f32_e64 vcc_lo, |v41|, |v39|
	v_dual_lshrrev_b32 v41, 16, v44 :: v_dual_bitop2_b32 v38, 1, v38 bitop3:0x54
	s_delay_alu instid0(VALU_DEP_1) | instskip(NEXT) | instid1(VALU_DEP_1)
	v_cndmask_b32_e32 v38, 0, v38, vcc_lo
	v_add_nc_u32_e32 v40, v40, v38
	v_add_nc_u64_e32 v[38:39], s[2:3], v[32:33]
	s_delay_alu instid0(VALU_DEP_2) | instskip(SKIP_3) | instid1(SALU_CYCLE_1)
	v_mad_u16 v40, s6, v40, v41
	global_store_b8 v[38:39], v40, off
	s_wait_xcnt 0x0
	s_or_b32 exec_lo, exec_lo, s7
	s_mov_b32 s7, exec_lo
	v_cmpx_lt_u64_e64 v[36:37], v[4:5]
	s_cbranch_execz .LBB56_8
.LBB56_24:                              ;   in Loop: Header=BB56_9 Depth=1
	s_wait_loadcnt 0x0
	v_ashrrev_i32_e32 v36, 24, v45
	s_delay_alu instid0(VALU_DEP_1) | instskip(NEXT) | instid1(VALU_DEP_1)
	v_cvt_f32_i32_e32 v37, v36
	v_rcp_iflag_f32_e32 v38, v37
	v_nop
	s_delay_alu instid0(TRANS32_DEP_1) | instskip(NEXT) | instid1(VALU_DEP_1)
	v_dual_mul_f32 v38, s5, v38 :: v_dual_bitop2_b32 v36, s4, v36 bitop3:0x14
	v_trunc_f32_e32 v38, v38
	s_delay_alu instid0(VALU_DEP_2) | instskip(NEXT) | instid1(VALU_DEP_2)
	v_ashrrev_i32_e32 v36, 30, v36
	v_fma_f32 v39, -v38, v37, s5
	s_delay_alu instid0(VALU_DEP_2) | instskip(SKIP_1) | instid1(VALU_DEP_3)
	v_or_b32_e32 v36, 1, v36
	v_cvt_i32_f32_e32 v38, v38
	v_cmp_ge_f32_e64 vcc_lo, |v39|, |v37|
	v_lshrrev_b32_e32 v39, 24, v44
	s_delay_alu instid0(VALU_DEP_4) | instskip(NEXT) | instid1(VALU_DEP_1)
	v_cndmask_b32_e32 v36, 0, v36, vcc_lo
	v_add_nc_u32_e32 v38, v38, v36
	v_add_nc_u64_e32 v[36:37], s[2:3], v[26:27]
	s_delay_alu instid0(VALU_DEP_2)
	v_mad_u16 v38, s6, v38, v39
	global_store_b8 v[36:37], v38, off
	s_branch .LBB56_8
.LBB56_25:
	s_endpgm
	.section	.rodata,"a",@progbits
	.p2align	6, 0x0
	.amdhsa_kernel _ZN2at6native12_GLOBAL__N_125multi_tensor_apply_kernelINS1_18TensorListMetadataILi4EEENS1_32PointwiseOpScalar0dTensorFunctorIaLi4ELi2ELi3EEEJSt7dividesIaEaEEEvT_T0_DpT1_
		.amdhsa_group_segment_fixed_size 0
		.amdhsa_private_segment_fixed_size 0
		.amdhsa_kernarg_size 3312
		.amdhsa_user_sgpr_count 2
		.amdhsa_user_sgpr_dispatch_ptr 0
		.amdhsa_user_sgpr_queue_ptr 0
		.amdhsa_user_sgpr_kernarg_segment_ptr 1
		.amdhsa_user_sgpr_dispatch_id 0
		.amdhsa_user_sgpr_kernarg_preload_length 0
		.amdhsa_user_sgpr_kernarg_preload_offset 0
		.amdhsa_user_sgpr_private_segment_size 0
		.amdhsa_wavefront_size32 1
		.amdhsa_uses_dynamic_stack 0
		.amdhsa_enable_private_segment 0
		.amdhsa_system_sgpr_workgroup_id_x 1
		.amdhsa_system_sgpr_workgroup_id_y 0
		.amdhsa_system_sgpr_workgroup_id_z 0
		.amdhsa_system_sgpr_workgroup_info 0
		.amdhsa_system_vgpr_workitem_id 0
		.amdhsa_next_free_vgpr 52
		.amdhsa_next_free_sgpr 23
		.amdhsa_named_barrier_count 0
		.amdhsa_reserve_vcc 1
		.amdhsa_float_round_mode_32 0
		.amdhsa_float_round_mode_16_64 0
		.amdhsa_float_denorm_mode_32 3
		.amdhsa_float_denorm_mode_16_64 3
		.amdhsa_fp16_overflow 0
		.amdhsa_memory_ordered 1
		.amdhsa_forward_progress 1
		.amdhsa_inst_pref_size 18
		.amdhsa_round_robin_scheduling 0
		.amdhsa_exception_fp_ieee_invalid_op 0
		.amdhsa_exception_fp_denorm_src 0
		.amdhsa_exception_fp_ieee_div_zero 0
		.amdhsa_exception_fp_ieee_overflow 0
		.amdhsa_exception_fp_ieee_underflow 0
		.amdhsa_exception_fp_ieee_inexact 0
		.amdhsa_exception_int_div_zero 0
	.end_amdhsa_kernel
	.section	.text._ZN2at6native12_GLOBAL__N_125multi_tensor_apply_kernelINS1_18TensorListMetadataILi4EEENS1_32PointwiseOpScalar0dTensorFunctorIaLi4ELi2ELi3EEEJSt7dividesIaEaEEEvT_T0_DpT1_,"axG",@progbits,_ZN2at6native12_GLOBAL__N_125multi_tensor_apply_kernelINS1_18TensorListMetadataILi4EEENS1_32PointwiseOpScalar0dTensorFunctorIaLi4ELi2ELi3EEEJSt7dividesIaEaEEEvT_T0_DpT1_,comdat
.Lfunc_end56:
	.size	_ZN2at6native12_GLOBAL__N_125multi_tensor_apply_kernelINS1_18TensorListMetadataILi4EEENS1_32PointwiseOpScalar0dTensorFunctorIaLi4ELi2ELi3EEEJSt7dividesIaEaEEEvT_T0_DpT1_, .Lfunc_end56-_ZN2at6native12_GLOBAL__N_125multi_tensor_apply_kernelINS1_18TensorListMetadataILi4EEENS1_32PointwiseOpScalar0dTensorFunctorIaLi4ELi2ELi3EEEJSt7dividesIaEaEEEvT_T0_DpT1_
                                        ; -- End function
	.set _ZN2at6native12_GLOBAL__N_125multi_tensor_apply_kernelINS1_18TensorListMetadataILi4EEENS1_32PointwiseOpScalar0dTensorFunctorIaLi4ELi2ELi3EEEJSt7dividesIaEaEEEvT_T0_DpT1_.num_vgpr, 52
	.set _ZN2at6native12_GLOBAL__N_125multi_tensor_apply_kernelINS1_18TensorListMetadataILi4EEENS1_32PointwiseOpScalar0dTensorFunctorIaLi4ELi2ELi3EEEJSt7dividesIaEaEEEvT_T0_DpT1_.num_agpr, 0
	.set _ZN2at6native12_GLOBAL__N_125multi_tensor_apply_kernelINS1_18TensorListMetadataILi4EEENS1_32PointwiseOpScalar0dTensorFunctorIaLi4ELi2ELi3EEEJSt7dividesIaEaEEEvT_T0_DpT1_.numbered_sgpr, 23
	.set _ZN2at6native12_GLOBAL__N_125multi_tensor_apply_kernelINS1_18TensorListMetadataILi4EEENS1_32PointwiseOpScalar0dTensorFunctorIaLi4ELi2ELi3EEEJSt7dividesIaEaEEEvT_T0_DpT1_.num_named_barrier, 0
	.set _ZN2at6native12_GLOBAL__N_125multi_tensor_apply_kernelINS1_18TensorListMetadataILi4EEENS1_32PointwiseOpScalar0dTensorFunctorIaLi4ELi2ELi3EEEJSt7dividesIaEaEEEvT_T0_DpT1_.private_seg_size, 0
	.set _ZN2at6native12_GLOBAL__N_125multi_tensor_apply_kernelINS1_18TensorListMetadataILi4EEENS1_32PointwiseOpScalar0dTensorFunctorIaLi4ELi2ELi3EEEJSt7dividesIaEaEEEvT_T0_DpT1_.uses_vcc, 1
	.set _ZN2at6native12_GLOBAL__N_125multi_tensor_apply_kernelINS1_18TensorListMetadataILi4EEENS1_32PointwiseOpScalar0dTensorFunctorIaLi4ELi2ELi3EEEJSt7dividesIaEaEEEvT_T0_DpT1_.uses_flat_scratch, 0
	.set _ZN2at6native12_GLOBAL__N_125multi_tensor_apply_kernelINS1_18TensorListMetadataILi4EEENS1_32PointwiseOpScalar0dTensorFunctorIaLi4ELi2ELi3EEEJSt7dividesIaEaEEEvT_T0_DpT1_.has_dyn_sized_stack, 0
	.set _ZN2at6native12_GLOBAL__N_125multi_tensor_apply_kernelINS1_18TensorListMetadataILi4EEENS1_32PointwiseOpScalar0dTensorFunctorIaLi4ELi2ELi3EEEJSt7dividesIaEaEEEvT_T0_DpT1_.has_recursion, 0
	.set _ZN2at6native12_GLOBAL__N_125multi_tensor_apply_kernelINS1_18TensorListMetadataILi4EEENS1_32PointwiseOpScalar0dTensorFunctorIaLi4ELi2ELi3EEEJSt7dividesIaEaEEEvT_T0_DpT1_.has_indirect_call, 0
	.section	.AMDGPU.csdata,"",@progbits
; Kernel info:
; codeLenInByte = 2180
; TotalNumSgprs: 25
; NumVgprs: 52
; ScratchSize: 0
; MemoryBound: 0
; FloatMode: 240
; IeeeMode: 1
; LDSByteSize: 0 bytes/workgroup (compile time only)
; SGPRBlocks: 0
; VGPRBlocks: 3
; NumSGPRsForWavesPerEU: 25
; NumVGPRsForWavesPerEU: 52
; NamedBarCnt: 0
; Occupancy: 16
; WaveLimiterHint : 0
; COMPUTE_PGM_RSRC2:SCRATCH_EN: 0
; COMPUTE_PGM_RSRC2:USER_SGPR: 2
; COMPUTE_PGM_RSRC2:TRAP_HANDLER: 0
; COMPUTE_PGM_RSRC2:TGID_X_EN: 1
; COMPUTE_PGM_RSRC2:TGID_Y_EN: 0
; COMPUTE_PGM_RSRC2:TGID_Z_EN: 0
; COMPUTE_PGM_RSRC2:TIDIG_COMP_CNT: 0
	.section	.text._ZN2at6native12_GLOBAL__N_125multi_tensor_apply_kernelINS1_18TensorListMetadataILi4EEENS1_32PointwiseOpScalar0dTensorFunctorIiLi4ELi2ELi3EEEJSt7dividesIiEiEEEvT_T0_DpT1_,"axG",@progbits,_ZN2at6native12_GLOBAL__N_125multi_tensor_apply_kernelINS1_18TensorListMetadataILi4EEENS1_32PointwiseOpScalar0dTensorFunctorIiLi4ELi2ELi3EEEJSt7dividesIiEiEEEvT_T0_DpT1_,comdat
	.globl	_ZN2at6native12_GLOBAL__N_125multi_tensor_apply_kernelINS1_18TensorListMetadataILi4EEENS1_32PointwiseOpScalar0dTensorFunctorIiLi4ELi2ELi3EEEJSt7dividesIiEiEEEvT_T0_DpT1_ ; -- Begin function _ZN2at6native12_GLOBAL__N_125multi_tensor_apply_kernelINS1_18TensorListMetadataILi4EEENS1_32PointwiseOpScalar0dTensorFunctorIiLi4ELi2ELi3EEEJSt7dividesIiEiEEEvT_T0_DpT1_
	.p2align	8
	.type	_ZN2at6native12_GLOBAL__N_125multi_tensor_apply_kernelINS1_18TensorListMetadataILi4EEENS1_32PointwiseOpScalar0dTensorFunctorIiLi4ELi2ELi3EEEJSt7dividesIiEiEEEvT_T0_DpT1_,@function
_ZN2at6native12_GLOBAL__N_125multi_tensor_apply_kernelINS1_18TensorListMetadataILi4EEENS1_32PointwiseOpScalar0dTensorFunctorIiLi4ELi2ELi3EEEJSt7dividesIiEiEEEvT_T0_DpT1_: ; @_ZN2at6native12_GLOBAL__N_125multi_tensor_apply_kernelINS1_18TensorListMetadataILi4EEENS1_32PointwiseOpScalar0dTensorFunctorIiLi4ELi2ELi3EEEJSt7dividesIiEiEEEvT_T0_DpT1_
; %bb.0:
	s_bfe_u32 s2, ttmp6, 0x4000c
	s_and_b32 s3, ttmp6, 15
	s_add_co_i32 s2, s2, 1
	s_getreg_b32 s4, hwreg(HW_REG_IB_STS2, 6, 4)
	s_mul_i32 s2, ttmp9, s2
	s_mov_b32 s13, 0
	s_add_co_i32 s3, s3, s2
	s_cmp_eq_u32 s4, 0
	s_load_b32 s24, s[0:1], 0xbec
	s_cselect_b32 s12, ttmp9, s3
	s_load_u8 s6, s[0:1], s12 offset:0x5a0
	s_add_nc_u64 s[2:3], s[0:1], s[12:13]
	s_mul_u64 s[4:5], s[12:13], 3
	s_delay_alu instid0(SALU_CYCLE_1)
	s_add_nc_u64 s[4:5], s[2:3], s[4:5]
	s_load_b32 s14, s[4:5], 0x6e0
	s_wait_kmcnt 0x0
	s_clause 0x4
	s_load_b64 s[2:3], s[0:1], s6 offset:0x0 scale_offset
	s_load_b64 s[16:17], s[0:1], s6 offset:0x120 scale_offset
	;; [unrolled: 1-line block ×5, first 2 shown]
	s_ashr_i32 s15, s14, 31
	s_delay_alu instid0(SALU_CYCLE_1)
	s_lshl_b64 s[22:23], s[14:15], 18
	s_wait_kmcnt 0x0
	s_load_b32 s25, s[16:17], 0x0
	s_add_nc_u64 s[8:9], s[16:17], s[22:23]
	s_add_nc_u64 s[4:5], s[2:3], s[22:23]
	s_and_b32 s12, s8, 15
	s_and_b64 s[26:27], s[4:5], 15
	s_add_nc_u64 s[6:7], s[20:21], s[22:23]
	s_cmp_lg_u64 s[12:13], 0
	s_add_nc_u64 s[8:9], s[10:11], s[22:23]
	s_cselect_b32 s28, -1, 0
	s_or_b32 s12, s8, s6
	s_delay_alu instid0(SALU_CYCLE_1) | instskip(NEXT) | instid1(SALU_CYCLE_1)
	s_and_b32 s12, s12, 15
	s_cmp_lg_u32 s12, 0
	s_wait_xcnt 0x0
	s_cselect_b32 s16, -1, 0
	s_and_b32 s12, s18, 3
	s_lshl_b64 s[14:15], s[14:15], 16
	s_or_b64 s[12:13], s[26:27], s[12:13]
	s_or_b32 s16, s16, s28
	s_cmp_lg_u64 s[12:13], 0
	s_cselect_b32 s12, -1, 0
	s_delay_alu instid0(SALU_CYCLE_1)
	s_or_b32 s16, s16, s12
	s_sub_nc_u64 s[12:13], s[18:19], s[14:15]
	s_and_not1_b32 vcc_lo, exec_lo, s16
	s_mov_b32 s14, -1
	s_cbranch_vccz .LBB57_5
; %bb.1:
	v_min_i64 v[2:3], 0x10000, s[12:13]
	v_dual_mov_b32 v5, 0 :: v_dual_lshlrev_b32 v4, 2, v0
	s_mov_b32 s26, exec_lo
	s_delay_alu instid0(VALU_DEP_1)
	v_cmpx_lt_i64_e64 v[4:5], v[2:3]
	s_cbranch_execz .LBB57_4
; %bb.2:
	s_load_b32 s14, s[0:1], 0xbfc
	v_dual_mov_b32 v1, v5 :: v_dual_lshlrev_b32 v4, 4, v0
	s_mov_b32 s15, 0
	s_mov_b32 s27, s24
	s_wait_kmcnt 0x0
	s_ashr_i32 s28, s25, 31
	v_mov_b64_e32 v[8:9], v[0:1]
	v_add_nc_u64_e32 v[6:7], s[22:23], v[4:5]
	s_abs_i32 s16, s25
	s_add_nc_u64 s[18:19], s[2:3], 8
	s_add_nc_u64 s[20:21], s[20:21], 8
	s_mov_b32 s17, s15
	s_mov_b32 s23, s15
	;; [unrolled: 1-line block ×3, first 2 shown]
	s_and_b32 s14, s14, 0xffff
	s_delay_alu instid0(SALU_CYCLE_1)
	s_lshl_b32 s22, s14, 4
.LBB57_3:                               ; =>This Inner Loop Header: Depth=1
	v_add_nc_u64_e32 v[10:11], s[20:21], v[6:7]
	v_add_nc_u64_e32 v[14:15], s[18:19], v[6:7]
	;; [unrolled: 1-line block ×3, first 2 shown]
	global_load_b128 v[10:13], v[10:11], off offset:-8
	global_load_b128 v[14:17], v[14:15], off offset:-8
	s_wait_loadcnt 0x1
	v_dual_ashrrev_i32 v1, 31, v10 :: v_dual_sub_nc_u32 v4, 0, v10
	v_dual_ashrrev_i32 v25, 31, v12 :: v_dual_sub_nc_u32 v19, 0, v12
	v_dual_sub_nc_u32 v20, 0, v13 :: v_dual_ashrrev_i32 v24, 31, v11
	s_delay_alu instid0(VALU_DEP_3) | instskip(NEXT) | instid1(VALU_DEP_3)
	v_dual_sub_nc_u32 v18, 0, v11 :: v_dual_max_i32 v26, v10, v4
	v_max_i32_e32 v12, v12, v19
	v_xor_b32_e32 v1, s28, v1
	s_delay_alu instid0(VALU_DEP_3)
	v_cvt_f32_u32_e32 v4, v26
	s_wait_xcnt 0x1
	v_sub_nc_u32_e32 v10, 0, v26
	v_cvt_f32_u32_e32 v19, v12
	v_max_i32_e32 v27, v11, v18
	v_max_i32_e32 v28, v13, v20
	v_rcp_iflag_f32_e32 v4, v4
	v_sub_nc_u32_e32 v20, 0, v12
	v_rcp_iflag_f32_e32 v19, v19
	v_cvt_f32_u32_e32 v11, v27
	v_sub_nc_u32_e32 v18, 0, v27
	v_cvt_f32_u32_e32 v21, v28
	s_delay_alu instid0(TRANS32_DEP_2) | instskip(NEXT) | instid1(VALU_DEP_4)
	v_mul_f32_e32 v4, 0x4f7ffffe, v4
	v_rcp_iflag_f32_e32 v11, v11
	s_delay_alu instid0(TRANS32_DEP_2) | instskip(NEXT) | instid1(VALU_DEP_3)
	v_dual_mul_f32 v19, 0x4f7ffffe, v19 :: v_dual_sub_nc_u32 v22, 0, v28
	v_rcp_iflag_f32_e32 v21, v21
	s_delay_alu instid0(VALU_DEP_2) | instskip(NEXT) | instid1(VALU_DEP_2)
	v_cvt_u32_f32_e32 v4, v4
	v_cvt_u32_f32_e32 v29, v19
	s_delay_alu instid0(TRANS32_DEP_2) | instskip(NEXT) | instid1(VALU_DEP_3)
	v_mul_f32_e32 v11, 0x4f7ffffe, v11
	v_mul_lo_u32 v10, v10, v4
	s_delay_alu instid0(VALU_DEP_2) | instskip(NEXT) | instid1(VALU_DEP_1)
	v_cvt_u32_f32_e32 v23, v11
	v_mul_lo_u32 v11, v18, v23
	v_mul_lo_u32 v18, v20, v29
	s_delay_alu instid0(VALU_DEP_4) | instskip(SKIP_1) | instid1(VALU_DEP_4)
	v_mul_hi_u32 v10, v4, v10
	v_mul_f32_e32 v21, 0x4f7ffffe, v21
	v_mul_hi_u32 v20, v23, v11
	s_delay_alu instid0(VALU_DEP_3) | instskip(NEXT) | instid1(VALU_DEP_3)
	v_add_nc_u32_e32 v4, v4, v10
	v_cvt_u32_f32_e32 v30, v21
	v_mul_hi_u32 v21, v29, v18
	s_delay_alu instid0(VALU_DEP_3) | instskip(NEXT) | instid1(VALU_DEP_3)
	v_mul_u64_e32 v[10:11], s[16:17], v[4:5]
	v_mul_lo_u32 v19, v22, v30
	v_xor_b32_e32 v10, s28, v24
	v_add_nc_u32_e32 v4, v23, v20
	s_delay_alu instid0(VALU_DEP_3) | instskip(NEXT) | instid1(VALU_DEP_2)
	v_mul_hi_u32 v22, v30, v19
	v_mul_u64_e32 v[18:19], s[16:17], v[4:5]
	v_add_nc_u32_e32 v4, v29, v21
	s_delay_alu instid0(VALU_DEP_1) | instskip(NEXT) | instid1(VALU_DEP_4)
	v_mul_u64_e32 v[20:21], s[16:17], v[4:5]
	v_add_nc_u32_e32 v4, v30, v22
	s_delay_alu instid0(VALU_DEP_1) | instskip(SKIP_3) | instid1(VALU_DEP_3)
	v_mul_u64_e32 v[22:23], s[16:17], v[4:5]
	v_ashrrev_i32_e32 v4, 31, v13
	v_xor_b32_e32 v13, s28, v25
	v_mul_lo_u32 v18, v11, v26
	v_dual_add_nc_u32 v20, 1, v11 :: v_dual_bitop2_b32 v4, s28, v4 bitop3:0x14
	s_delay_alu instid0(VALU_DEP_2) | instskip(SKIP_2) | instid1(VALU_DEP_3)
	v_sub_nc_u32_e32 v18, s16, v18
	v_mul_lo_u32 v22, v19, v27
	v_add_nc_u32_e32 v24, 1, v19
	v_cmp_ge_u32_e32 vcc_lo, v18, v26
	v_dual_sub_nc_u32 v32, v18, v26 :: v_dual_add_nc_u32 v29, 1, v21
	v_mul_lo_u32 v25, v21, v12
	v_cndmask_b32_e32 v11, v11, v20, vcc_lo
	s_delay_alu instid0(VALU_DEP_3) | instskip(NEXT) | instid1(VALU_DEP_2)
	v_dual_cndmask_b32 v18, v18, v32, vcc_lo :: v_dual_sub_nc_u32 v20, s16, v22
	v_add_nc_u32_e32 v22, 1, v11
	s_delay_alu instid0(VALU_DEP_2) | instskip(SKIP_3) | instid1(VALU_DEP_4)
	v_cmp_ge_u32_e64 s2, v18, v26
	v_mul_lo_u32 v30, v23, v28
	v_add_nc_u32_e32 v31, 1, v23
	v_cmp_ge_u32_e32 vcc_lo, v20, v27
	v_dual_sub_nc_u32 v32, v20, v27 :: v_dual_cndmask_b32 v11, v11, v22, s2
	v_dual_cndmask_b32 v19, v19, v24 :: v_dual_sub_nc_u32 v24, s16, v25
	s_delay_alu instid0(VALU_DEP_2) | instskip(NEXT) | instid1(VALU_DEP_2)
	v_dual_cndmask_b32 v18, v20, v32, vcc_lo :: v_dual_sub_nc_u32 v20, s16, v30
	v_cmp_ge_u32_e32 vcc_lo, v24, v12
	s_delay_alu instid0(VALU_DEP_3) | instskip(NEXT) | instid1(VALU_DEP_3)
	v_add_nc_u32_e32 v22, 1, v19
	v_cmp_ge_u32_e64 s3, v18, v27
	s_delay_alu instid0(VALU_DEP_4) | instskip(SKIP_1) | instid1(VALU_DEP_3)
	v_cmp_ge_u32_e64 s2, v20, v28
	v_dual_sub_nc_u32 v25, v24, v12 :: v_dual_cndmask_b32 v21, v21, v29, vcc_lo
	v_dual_sub_nc_u32 v26, v20, v28 :: v_dual_cndmask_b32 v18, v19, v22, s3
	s_delay_alu instid0(VALU_DEP_2) | instskip(NEXT) | instid1(VALU_DEP_2)
	v_dual_cndmask_b32 v23, v23, v31, s2 :: v_dual_cndmask_b32 v19, v24, v25, vcc_lo
	v_dual_add_nc_u32 v22, 1, v21 :: v_dual_cndmask_b32 v20, v20, v26, s2
	s_delay_alu instid0(VALU_DEP_2) | instskip(NEXT) | instid1(VALU_DEP_3)
	v_add_nc_u32_e32 v24, 1, v23
	v_cmp_ge_u32_e32 vcc_lo, v19, v12
	s_delay_alu instid0(VALU_DEP_3) | instskip(NEXT) | instid1(VALU_DEP_4)
	v_cndmask_b32_e32 v12, v21, v22, vcc_lo
	v_cmp_ge_u32_e32 vcc_lo, v20, v28
	s_delay_alu instid0(VALU_DEP_2) | instskip(NEXT) | instid1(VALU_DEP_1)
	v_dual_cndmask_b32 v19, v23, v24, vcc_lo :: v_dual_bitop2_b32 v12, v12, v13 bitop3:0x14
	v_xor_b32_e32 v21, v19, v4
	v_xor_b32_e32 v11, v11, v1
	s_delay_alu instid0(VALU_DEP_2) | instskip(NEXT) | instid1(VALU_DEP_2)
	v_dual_sub_nc_u32 v12, v12, v13 :: v_dual_sub_nc_u32 v4, v21, v4
	v_dual_sub_nc_u32 v1, v11, v1 :: v_dual_bitop2_b32 v20, v18, v10 bitop3:0x14
	v_lshlrev_b64_e32 v[18:19], 2, v[8:9]
	s_wait_loadcnt 0x0
	s_delay_alu instid0(VALU_DEP_3) | instskip(SKIP_4) | instid1(VALU_DEP_3)
	v_mad_u32 v12, v12, s24, v16
	v_mad_u32 v13, v4, s27, v17
	v_sub_nc_u32_e32 v11, v20, v10
	v_mad_u32 v10, v1, s24, v14
	v_cmp_ge_i64_e32 vcc_lo, v[18:19], v[2:3]
	v_mad_u32 v11, v11, s27, v15
	s_wait_xcnt 0x0
	v_add_nc_u64_e32 v[14:15], s[10:11], v[6:7]
	v_add_nc_u64_e32 v[6:7], s[22:23], v[6:7]
	s_or_b32 s29, vcc_lo, s29
	global_store_b128 v[14:15], v[10:13], off
	s_wait_xcnt 0x0
	s_and_not1_b32 exec_lo, exec_lo, s29
	s_cbranch_execnz .LBB57_3
.LBB57_4:
	s_or_b32 exec_lo, exec_lo, s26
	s_mov_b32 s14, 0
.LBB57_5:
	s_delay_alu instid0(SALU_CYCLE_1)
	s_and_not1_b32 vcc_lo, exec_lo, s14
	s_cbranch_vccnz .LBB57_19
; %bb.6:
	v_cmp_lt_i64_e64 s2, s[12:13], 1
	s_and_b32 vcc_lo, exec_lo, s2
	s_cbranch_vccnz .LBB57_19
; %bb.7:
	v_min_i64 v[2:3], 0x10000, s[12:13]
	v_min_u64 v[4:5], 0x10000, s[12:13]
	s_load_b32 s0, s[0:1], 0xbfc
	v_mov_b32_e32 v7, 0
	s_wait_xcnt 0x0
	s_mov_b32 s1, 0
	s_wait_kmcnt 0x0
	s_ashr_i32 s18, s25, 31
	s_mov_b32 s3, s1
	s_mov_b32 s11, s1
	v_mov_b32_e32 v1, v7
	s_mov_b32 s13, s1
	s_abs_i32 s14, s25
	s_mov_b32 s15, s1
	s_mov_b64 s[16:17], 0
	s_and_b32 s0, s0, 0xffff
	s_delay_alu instid0(SALU_CYCLE_1)
	s_lshl_b32 s2, s0, 1
	s_mul_i32 s10, s0, 3
	s_lshl_b32 s12, s0, 2
	s_branch .LBB57_9
.LBB57_8:                               ;   in Loop: Header=BB57_9 Depth=1
	s_wait_xcnt 0x0
	s_or_b32 exec_lo, exec_lo, s19
	s_add_nc_u64 s[16:17], s[16:17], s[12:13]
	s_delay_alu instid0(SALU_CYCLE_1)
	v_cmp_ge_i64_e32 vcc_lo, s[16:17], v[2:3]
	s_cbranch_vccnz .LBB57_19
.LBB57_9:                               ; =>This Inner Loop Header: Depth=1
	v_add_nc_u64_e32 v[14:15], s[16:17], v[0:1]
	s_wait_loadcnt 0x6
	v_dual_mov_b32 v23, 0 :: v_dual_mov_b32 v21, 0
	s_mov_b32 s19, exec_lo
	s_delay_alu instid0(VALU_DEP_2)
	v_cmpx_lt_i64_e64 v[14:15], v[2:3]
	s_cbranch_execz .LBB57_11
; %bb.10:                               ;   in Loop: Header=BB57_9 Depth=1
	v_lshlrev_b64_e32 v[8:9], 2, v[14:15]
	s_delay_alu instid0(VALU_DEP_1)
	v_add_nc_u64_e32 v[10:11], s[4:5], v[8:9]
	v_add_nc_u64_e32 v[8:9], s[6:7], v[8:9]
	global_load_b32 v21, v[10:11], off
	global_load_b32 v23, v[8:9], off
.LBB57_11:                              ;   in Loop: Header=BB57_9 Depth=1
	s_wait_xcnt 0x0
	s_or_b32 exec_lo, exec_lo, s19
	v_add_nc_u64_e32 v[12:13], s[0:1], v[14:15]
	v_add_nc_u64_e32 v[10:11], s[2:3], v[14:15]
	v_add_nc_u64_e32 v[8:9], s[10:11], v[14:15]
	s_mov_b32 s19, exec_lo
	s_wait_loadcnt 0x0
	s_delay_alu instid0(VALU_DEP_3) | instskip(NEXT) | instid1(VALU_DEP_3)
	v_lshlrev_b64_e32 v[16:17], 2, v[12:13]
	v_lshlrev_b64_e32 v[18:19], 2, v[10:11]
	s_delay_alu instid0(VALU_DEP_3) | instskip(NEXT) | instid1(VALU_DEP_3)
	v_lshlrev_b64_e32 v[24:25], 2, v[8:9]
	v_add_nc_u64_e32 v[26:27], s[4:5], v[16:17]
	v_add_nc_u64_e32 v[28:29], s[6:7], v[16:17]
	s_delay_alu instid0(VALU_DEP_4)
	v_add_nc_u64_e32 v[30:31], s[4:5], v[18:19]
	v_add_nc_u64_e32 v[32:33], s[6:7], v[18:19]
	;; [unrolled: 1-line block ×4, first 2 shown]
	global_load_b32 v20, v[26:27], off
	global_load_b32 v22, v[28:29], off
	;; [unrolled: 1-line block ×6, first 2 shown]
	s_wait_xcnt 0x0
	v_cmpx_lt_u64_e64 v[14:15], v[4:5]
	s_cbranch_execnz .LBB57_15
; %bb.12:                               ;   in Loop: Header=BB57_9 Depth=1
	s_or_b32 exec_lo, exec_lo, s19
	s_delay_alu instid0(SALU_CYCLE_1)
	s_mov_b32 s19, exec_lo
	v_cmpx_lt_u64_e64 v[12:13], v[4:5]
	s_cbranch_execnz .LBB57_16
.LBB57_13:                              ;   in Loop: Header=BB57_9 Depth=1
	s_or_b32 exec_lo, exec_lo, s19
	s_delay_alu instid0(SALU_CYCLE_1)
	s_mov_b32 s19, exec_lo
	v_cmpx_lt_u64_e64 v[10:11], v[4:5]
	s_cbranch_execnz .LBB57_17
.LBB57_14:                              ;   in Loop: Header=BB57_9 Depth=1
	s_or_b32 exec_lo, exec_lo, s19
	s_delay_alu instid0(SALU_CYCLE_1)
	s_mov_b32 s19, exec_lo
	v_cmpx_lt_u64_e64 v[8:9], v[4:5]
	s_cbranch_execz .LBB57_8
	s_branch .LBB57_18
.LBB57_15:                              ;   in Loop: Header=BB57_9 Depth=1
	s_wait_loadcnt 0x6
	v_sub_nc_u32_e32 v6, 0, v23
	v_lshl_add_u64 v[14:15], v[14:15], 2, s[8:9]
	s_delay_alu instid0(VALU_DEP_2) | instskip(NEXT) | instid1(VALU_DEP_1)
	v_dual_ashrrev_i32 v23, 31, v23 :: v_dual_max_i32 v26, v23, v6
	v_cvt_f32_u32_e32 v6, v26
	v_sub_nc_u32_e32 v24, 0, v26
	s_delay_alu instid0(VALU_DEP_2) | instskip(SKIP_1) | instid1(TRANS32_DEP_1)
	v_rcp_iflag_f32_e32 v6, v6
	v_nop
	v_mul_f32_e32 v6, 0x4f7ffffe, v6
	s_delay_alu instid0(VALU_DEP_1) | instskip(NEXT) | instid1(VALU_DEP_1)
	v_cvt_u32_f32_e32 v6, v6
	v_mul_lo_u32 v24, v24, v6
	s_delay_alu instid0(VALU_DEP_1) | instskip(NEXT) | instid1(VALU_DEP_1)
	v_mul_hi_u32 v24, v6, v24
	v_add_nc_u32_e32 v6, v6, v24
	s_delay_alu instid0(VALU_DEP_1) | instskip(NEXT) | instid1(VALU_DEP_1)
	v_mul_u64_e32 v[24:25], s[14:15], v[6:7]
	v_mul_lo_u32 v6, v25, v26
	s_delay_alu instid0(VALU_DEP_1) | instskip(NEXT) | instid1(VALU_DEP_1)
	v_dual_add_nc_u32 v24, 1, v25 :: v_dual_sub_nc_u32 v6, s14, v6
	v_cmp_ge_u32_e32 vcc_lo, v6, v26
	s_delay_alu instid0(VALU_DEP_2) | instskip(NEXT) | instid1(VALU_DEP_1)
	v_dual_cndmask_b32 v24, v25, v24 :: v_dual_sub_nc_u32 v27, v6, v26
	v_dual_cndmask_b32 v6, v6, v27 :: v_dual_add_nc_u32 v25, 1, v24
	s_delay_alu instid0(VALU_DEP_1) | instskip(NEXT) | instid1(VALU_DEP_2)
	v_cmp_ge_u32_e32 vcc_lo, v6, v26
	v_dual_cndmask_b32 v6, v24, v25, vcc_lo :: v_dual_bitop2_b32 v23, s18, v23 bitop3:0x14
	s_delay_alu instid0(VALU_DEP_1) | instskip(NEXT) | instid1(VALU_DEP_1)
	v_xor_b32_e32 v6, v6, v23
	v_sub_nc_u32_e32 v6, v6, v23
	s_delay_alu instid0(VALU_DEP_1) | instskip(SKIP_3) | instid1(SALU_CYCLE_1)
	v_mad_u32 v6, v6, s24, v21
	global_store_b32 v[14:15], v6, off
	s_wait_xcnt 0x0
	s_or_b32 exec_lo, exec_lo, s19
	s_mov_b32 s19, exec_lo
	v_cmpx_lt_u64_e64 v[12:13], v[4:5]
	s_cbranch_execz .LBB57_13
.LBB57_16:                              ;   in Loop: Header=BB57_9 Depth=1
	s_wait_loadcnt 0x4
	v_sub_nc_u32_e32 v6, 0, v22
	v_lshl_add_u64 v[12:13], v[12:13], 2, s[8:9]
	s_delay_alu instid0(VALU_DEP_2) | instskip(NEXT) | instid1(VALU_DEP_1)
	v_max_i32_e32 v21, v22, v6
	v_cvt_f32_u32_e32 v6, v21
	s_delay_alu instid0(VALU_DEP_1) | instskip(SKIP_1) | instid1(TRANS32_DEP_1)
	v_rcp_iflag_f32_e32 v6, v6
	v_nop
	v_mul_f32_e32 v6, 0x4f7ffffe, v6
	v_sub_nc_u32_e32 v14, 0, v21
	s_delay_alu instid0(VALU_DEP_2) | instskip(NEXT) | instid1(VALU_DEP_1)
	v_cvt_u32_f32_e32 v6, v6
	v_mul_lo_u32 v14, v14, v6
	s_delay_alu instid0(VALU_DEP_1) | instskip(NEXT) | instid1(VALU_DEP_1)
	v_mul_hi_u32 v14, v6, v14
	v_add_nc_u32_e32 v6, v6, v14
	s_delay_alu instid0(VALU_DEP_1) | instskip(NEXT) | instid1(VALU_DEP_1)
	v_mul_u64_e32 v[14:15], s[14:15], v[6:7]
	v_mul_lo_u32 v6, v15, v21
	s_delay_alu instid0(VALU_DEP_1) | instskip(NEXT) | instid1(VALU_DEP_1)
	v_dual_add_nc_u32 v14, 1, v15 :: v_dual_sub_nc_u32 v6, s14, v6
	v_cmp_ge_u32_e32 vcc_lo, v6, v21
	s_delay_alu instid0(VALU_DEP_2) | instskip(SKIP_1) | instid1(VALU_DEP_1)
	v_cndmask_b32_e32 v14, v15, v14, vcc_lo
	v_ashrrev_i32_e32 v15, 31, v22
	v_dual_add_nc_u32 v22, 1, v14 :: v_dual_bitop2_b32 v15, s18, v15 bitop3:0x14
	v_sub_nc_u32_e32 v23, v6, v21
	s_delay_alu instid0(VALU_DEP_1) | instskip(NEXT) | instid1(VALU_DEP_1)
	v_cndmask_b32_e32 v6, v6, v23, vcc_lo
	v_cmp_ge_u32_e32 vcc_lo, v6, v21
	s_delay_alu instid0(VALU_DEP_4) | instskip(NEXT) | instid1(VALU_DEP_1)
	v_cndmask_b32_e32 v6, v14, v22, vcc_lo
	v_xor_b32_e32 v6, v6, v15
	s_delay_alu instid0(VALU_DEP_1) | instskip(NEXT) | instid1(VALU_DEP_1)
	v_sub_nc_u32_e32 v6, v6, v15
	v_mad_u32 v6, v6, s24, v20
	global_store_b32 v[12:13], v6, off
	s_wait_xcnt 0x0
	s_or_b32 exec_lo, exec_lo, s19
	s_delay_alu instid0(SALU_CYCLE_1)
	s_mov_b32 s19, exec_lo
	v_cmpx_lt_u64_e64 v[10:11], v[4:5]
	s_cbranch_execz .LBB57_14
.LBB57_17:                              ;   in Loop: Header=BB57_9 Depth=1
	s_wait_loadcnt 0x2
	v_sub_nc_u32_e32 v6, 0, v19
	v_lshl_add_u64 v[10:11], v[10:11], 2, s[8:9]
	s_delay_alu instid0(VALU_DEP_2) | instskip(NEXT) | instid1(VALU_DEP_1)
	v_max_i32_e32 v14, v19, v6
	v_cvt_f32_u32_e32 v6, v14
	v_sub_nc_u32_e32 v12, 0, v14
	s_delay_alu instid0(VALU_DEP_2) | instskip(SKIP_1) | instid1(TRANS32_DEP_1)
	v_rcp_iflag_f32_e32 v6, v6
	v_nop
	v_mul_f32_e32 v6, 0x4f7ffffe, v6
	s_delay_alu instid0(VALU_DEP_1) | instskip(NEXT) | instid1(VALU_DEP_1)
	v_cvt_u32_f32_e32 v6, v6
	v_mul_lo_u32 v12, v12, v6
	s_delay_alu instid0(VALU_DEP_1) | instskip(NEXT) | instid1(VALU_DEP_1)
	v_mul_hi_u32 v12, v6, v12
	v_add_nc_u32_e32 v6, v6, v12
	s_delay_alu instid0(VALU_DEP_1) | instskip(NEXT) | instid1(VALU_DEP_1)
	v_mul_u64_e32 v[12:13], s[14:15], v[6:7]
	v_mul_lo_u32 v6, v13, v14
	s_delay_alu instid0(VALU_DEP_1) | instskip(NEXT) | instid1(VALU_DEP_1)
	v_dual_add_nc_u32 v12, 1, v13 :: v_dual_sub_nc_u32 v6, s14, v6
	v_cmp_ge_u32_e32 vcc_lo, v6, v14
	s_delay_alu instid0(VALU_DEP_2) | instskip(NEXT) | instid1(VALU_DEP_1)
	v_dual_cndmask_b32 v12, v13, v12 :: v_dual_sub_nc_u32 v15, v6, v14
	v_cndmask_b32_e32 v6, v6, v15, vcc_lo
	s_delay_alu instid0(VALU_DEP_2) | instskip(NEXT) | instid1(VALU_DEP_2)
	v_dual_ashrrev_i32 v13, 31, v19 :: v_dual_add_nc_u32 v15, 1, v12
	v_cmp_ge_u32_e32 vcc_lo, v6, v14
	s_delay_alu instid0(VALU_DEP_2) | instskip(NEXT) | instid1(VALU_DEP_1)
	v_dual_cndmask_b32 v6, v12, v15, vcc_lo :: v_dual_bitop2_b32 v13, s18, v13 bitop3:0x14
	v_xor_b32_e32 v6, v6, v13
	s_delay_alu instid0(VALU_DEP_1) | instskip(NEXT) | instid1(VALU_DEP_1)
	v_sub_nc_u32_e32 v6, v6, v13
	v_mad_u32 v6, v6, s24, v18
	global_store_b32 v[10:11], v6, off
	s_wait_xcnt 0x0
	s_or_b32 exec_lo, exec_lo, s19
	s_delay_alu instid0(SALU_CYCLE_1)
	s_mov_b32 s19, exec_lo
	v_cmpx_lt_u64_e64 v[8:9], v[4:5]
	s_cbranch_execz .LBB57_8
.LBB57_18:                              ;   in Loop: Header=BB57_9 Depth=1
	s_wait_loadcnt 0x0
	v_sub_nc_u32_e32 v6, 0, v17
	v_lshl_add_u64 v[8:9], v[8:9], 2, s[8:9]
	s_delay_alu instid0(VALU_DEP_2) | instskip(NEXT) | instid1(VALU_DEP_1)
	v_max_i32_e32 v12, v17, v6
	v_cvt_f32_u32_e32 v6, v12
	v_sub_nc_u32_e32 v10, 0, v12
	s_delay_alu instid0(VALU_DEP_2) | instskip(SKIP_1) | instid1(TRANS32_DEP_1)
	v_rcp_iflag_f32_e32 v6, v6
	v_nop
	v_mul_f32_e32 v6, 0x4f7ffffe, v6
	s_delay_alu instid0(VALU_DEP_1) | instskip(NEXT) | instid1(VALU_DEP_1)
	v_cvt_u32_f32_e32 v6, v6
	v_mul_lo_u32 v10, v10, v6
	s_delay_alu instid0(VALU_DEP_1) | instskip(NEXT) | instid1(VALU_DEP_1)
	v_mul_hi_u32 v10, v6, v10
	v_add_nc_u32_e32 v6, v6, v10
	s_delay_alu instid0(VALU_DEP_1) | instskip(NEXT) | instid1(VALU_DEP_1)
	v_mul_u64_e32 v[10:11], s[14:15], v[6:7]
	v_mul_lo_u32 v6, v11, v12
	s_delay_alu instid0(VALU_DEP_1) | instskip(NEXT) | instid1(VALU_DEP_1)
	v_dual_add_nc_u32 v10, 1, v11 :: v_dual_sub_nc_u32 v6, s14, v6
	v_cmp_ge_u32_e32 vcc_lo, v6, v12
	s_delay_alu instid0(VALU_DEP_2) | instskip(NEXT) | instid1(VALU_DEP_1)
	v_dual_cndmask_b32 v10, v11, v10 :: v_dual_sub_nc_u32 v13, v6, v12
	v_cndmask_b32_e32 v6, v6, v13, vcc_lo
	s_delay_alu instid0(VALU_DEP_2) | instskip(NEXT) | instid1(VALU_DEP_2)
	v_dual_ashrrev_i32 v11, 31, v17 :: v_dual_add_nc_u32 v13, 1, v10
	v_cmp_ge_u32_e32 vcc_lo, v6, v12
	s_delay_alu instid0(VALU_DEP_2) | instskip(NEXT) | instid1(VALU_DEP_1)
	v_dual_cndmask_b32 v6, v10, v13, vcc_lo :: v_dual_bitop2_b32 v11, s18, v11 bitop3:0x14
	v_xor_b32_e32 v6, v6, v11
	s_delay_alu instid0(VALU_DEP_1) | instskip(NEXT) | instid1(VALU_DEP_1)
	v_sub_nc_u32_e32 v6, v6, v11
	v_mad_u32 v6, v6, s24, v16
	global_store_b32 v[8:9], v6, off
	s_branch .LBB57_8
.LBB57_19:
	s_endpgm
	.section	.rodata,"a",@progbits
	.p2align	6, 0x0
	.amdhsa_kernel _ZN2at6native12_GLOBAL__N_125multi_tensor_apply_kernelINS1_18TensorListMetadataILi4EEENS1_32PointwiseOpScalar0dTensorFunctorIiLi4ELi2ELi3EEEJSt7dividesIiEiEEEvT_T0_DpT1_
		.amdhsa_group_segment_fixed_size 0
		.amdhsa_private_segment_fixed_size 0
		.amdhsa_kernarg_size 3312
		.amdhsa_user_sgpr_count 2
		.amdhsa_user_sgpr_dispatch_ptr 0
		.amdhsa_user_sgpr_queue_ptr 0
		.amdhsa_user_sgpr_kernarg_segment_ptr 1
		.amdhsa_user_sgpr_dispatch_id 0
		.amdhsa_user_sgpr_kernarg_preload_length 0
		.amdhsa_user_sgpr_kernarg_preload_offset 0
		.amdhsa_user_sgpr_private_segment_size 0
		.amdhsa_wavefront_size32 1
		.amdhsa_uses_dynamic_stack 0
		.amdhsa_enable_private_segment 0
		.amdhsa_system_sgpr_workgroup_id_x 1
		.amdhsa_system_sgpr_workgroup_id_y 0
		.amdhsa_system_sgpr_workgroup_id_z 0
		.amdhsa_system_sgpr_workgroup_info 0
		.amdhsa_system_vgpr_workitem_id 0
		.amdhsa_next_free_vgpr 36
		.amdhsa_next_free_sgpr 30
		.amdhsa_named_barrier_count 0
		.amdhsa_reserve_vcc 1
		.amdhsa_float_round_mode_32 0
		.amdhsa_float_round_mode_16_64 0
		.amdhsa_float_denorm_mode_32 3
		.amdhsa_float_denorm_mode_16_64 3
		.amdhsa_fp16_overflow 0
		.amdhsa_memory_ordered 1
		.amdhsa_forward_progress 1
		.amdhsa_inst_pref_size 20
		.amdhsa_round_robin_scheduling 0
		.amdhsa_exception_fp_ieee_invalid_op 0
		.amdhsa_exception_fp_denorm_src 0
		.amdhsa_exception_fp_ieee_div_zero 0
		.amdhsa_exception_fp_ieee_overflow 0
		.amdhsa_exception_fp_ieee_underflow 0
		.amdhsa_exception_fp_ieee_inexact 0
		.amdhsa_exception_int_div_zero 0
	.end_amdhsa_kernel
	.section	.text._ZN2at6native12_GLOBAL__N_125multi_tensor_apply_kernelINS1_18TensorListMetadataILi4EEENS1_32PointwiseOpScalar0dTensorFunctorIiLi4ELi2ELi3EEEJSt7dividesIiEiEEEvT_T0_DpT1_,"axG",@progbits,_ZN2at6native12_GLOBAL__N_125multi_tensor_apply_kernelINS1_18TensorListMetadataILi4EEENS1_32PointwiseOpScalar0dTensorFunctorIiLi4ELi2ELi3EEEJSt7dividesIiEiEEEvT_T0_DpT1_,comdat
.Lfunc_end57:
	.size	_ZN2at6native12_GLOBAL__N_125multi_tensor_apply_kernelINS1_18TensorListMetadataILi4EEENS1_32PointwiseOpScalar0dTensorFunctorIiLi4ELi2ELi3EEEJSt7dividesIiEiEEEvT_T0_DpT1_, .Lfunc_end57-_ZN2at6native12_GLOBAL__N_125multi_tensor_apply_kernelINS1_18TensorListMetadataILi4EEENS1_32PointwiseOpScalar0dTensorFunctorIiLi4ELi2ELi3EEEJSt7dividesIiEiEEEvT_T0_DpT1_
                                        ; -- End function
	.set _ZN2at6native12_GLOBAL__N_125multi_tensor_apply_kernelINS1_18TensorListMetadataILi4EEENS1_32PointwiseOpScalar0dTensorFunctorIiLi4ELi2ELi3EEEJSt7dividesIiEiEEEvT_T0_DpT1_.num_vgpr, 36
	.set _ZN2at6native12_GLOBAL__N_125multi_tensor_apply_kernelINS1_18TensorListMetadataILi4EEENS1_32PointwiseOpScalar0dTensorFunctorIiLi4ELi2ELi3EEEJSt7dividesIiEiEEEvT_T0_DpT1_.num_agpr, 0
	.set _ZN2at6native12_GLOBAL__N_125multi_tensor_apply_kernelINS1_18TensorListMetadataILi4EEENS1_32PointwiseOpScalar0dTensorFunctorIiLi4ELi2ELi3EEEJSt7dividesIiEiEEEvT_T0_DpT1_.numbered_sgpr, 30
	.set _ZN2at6native12_GLOBAL__N_125multi_tensor_apply_kernelINS1_18TensorListMetadataILi4EEENS1_32PointwiseOpScalar0dTensorFunctorIiLi4ELi2ELi3EEEJSt7dividesIiEiEEEvT_T0_DpT1_.num_named_barrier, 0
	.set _ZN2at6native12_GLOBAL__N_125multi_tensor_apply_kernelINS1_18TensorListMetadataILi4EEENS1_32PointwiseOpScalar0dTensorFunctorIiLi4ELi2ELi3EEEJSt7dividesIiEiEEEvT_T0_DpT1_.private_seg_size, 0
	.set _ZN2at6native12_GLOBAL__N_125multi_tensor_apply_kernelINS1_18TensorListMetadataILi4EEENS1_32PointwiseOpScalar0dTensorFunctorIiLi4ELi2ELi3EEEJSt7dividesIiEiEEEvT_T0_DpT1_.uses_vcc, 1
	.set _ZN2at6native12_GLOBAL__N_125multi_tensor_apply_kernelINS1_18TensorListMetadataILi4EEENS1_32PointwiseOpScalar0dTensorFunctorIiLi4ELi2ELi3EEEJSt7dividesIiEiEEEvT_T0_DpT1_.uses_flat_scratch, 0
	.set _ZN2at6native12_GLOBAL__N_125multi_tensor_apply_kernelINS1_18TensorListMetadataILi4EEENS1_32PointwiseOpScalar0dTensorFunctorIiLi4ELi2ELi3EEEJSt7dividesIiEiEEEvT_T0_DpT1_.has_dyn_sized_stack, 0
	.set _ZN2at6native12_GLOBAL__N_125multi_tensor_apply_kernelINS1_18TensorListMetadataILi4EEENS1_32PointwiseOpScalar0dTensorFunctorIiLi4ELi2ELi3EEEJSt7dividesIiEiEEEvT_T0_DpT1_.has_recursion, 0
	.set _ZN2at6native12_GLOBAL__N_125multi_tensor_apply_kernelINS1_18TensorListMetadataILi4EEENS1_32PointwiseOpScalar0dTensorFunctorIiLi4ELi2ELi3EEEJSt7dividesIiEiEEEvT_T0_DpT1_.has_indirect_call, 0
	.section	.AMDGPU.csdata,"",@progbits
; Kernel info:
; codeLenInByte = 2532
; TotalNumSgprs: 32
; NumVgprs: 36
; ScratchSize: 0
; MemoryBound: 0
; FloatMode: 240
; IeeeMode: 1
; LDSByteSize: 0 bytes/workgroup (compile time only)
; SGPRBlocks: 0
; VGPRBlocks: 2
; NumSGPRsForWavesPerEU: 32
; NumVGPRsForWavesPerEU: 36
; NamedBarCnt: 0
; Occupancy: 16
; WaveLimiterHint : 0
; COMPUTE_PGM_RSRC2:SCRATCH_EN: 0
; COMPUTE_PGM_RSRC2:USER_SGPR: 2
; COMPUTE_PGM_RSRC2:TRAP_HANDLER: 0
; COMPUTE_PGM_RSRC2:TGID_X_EN: 1
; COMPUTE_PGM_RSRC2:TGID_Y_EN: 0
; COMPUTE_PGM_RSRC2:TGID_Z_EN: 0
; COMPUTE_PGM_RSRC2:TIDIG_COMP_CNT: 0
	.section	.text._ZN2at6native12_GLOBAL__N_125multi_tensor_apply_kernelINS1_18TensorListMetadataILi4EEENS1_32PointwiseOpScalar0dTensorFunctorIlLi4ELi2ELi3EEEJSt7dividesIlElEEEvT_T0_DpT1_,"axG",@progbits,_ZN2at6native12_GLOBAL__N_125multi_tensor_apply_kernelINS1_18TensorListMetadataILi4EEENS1_32PointwiseOpScalar0dTensorFunctorIlLi4ELi2ELi3EEEJSt7dividesIlElEEEvT_T0_DpT1_,comdat
	.globl	_ZN2at6native12_GLOBAL__N_125multi_tensor_apply_kernelINS1_18TensorListMetadataILi4EEENS1_32PointwiseOpScalar0dTensorFunctorIlLi4ELi2ELi3EEEJSt7dividesIlElEEEvT_T0_DpT1_ ; -- Begin function _ZN2at6native12_GLOBAL__N_125multi_tensor_apply_kernelINS1_18TensorListMetadataILi4EEENS1_32PointwiseOpScalar0dTensorFunctorIlLi4ELi2ELi3EEEJSt7dividesIlElEEEvT_T0_DpT1_
	.p2align	8
	.type	_ZN2at6native12_GLOBAL__N_125multi_tensor_apply_kernelINS1_18TensorListMetadataILi4EEENS1_32PointwiseOpScalar0dTensorFunctorIlLi4ELi2ELi3EEEJSt7dividesIlElEEEvT_T0_DpT1_,@function
_ZN2at6native12_GLOBAL__N_125multi_tensor_apply_kernelINS1_18TensorListMetadataILi4EEENS1_32PointwiseOpScalar0dTensorFunctorIlLi4ELi2ELi3EEEJSt7dividesIlElEEEvT_T0_DpT1_: ; @_ZN2at6native12_GLOBAL__N_125multi_tensor_apply_kernelINS1_18TensorListMetadataILi4EEENS1_32PointwiseOpScalar0dTensorFunctorIlLi4ELi2ELi3EEEJSt7dividesIlElEEEvT_T0_DpT1_
; %bb.0:
	s_bfe_u32 s2, ttmp6, 0x4000c
	s_and_b32 s3, ttmp6, 15
	s_add_co_i32 s2, s2, 1
	s_getreg_b32 s4, hwreg(HW_REG_IB_STS2, 6, 4)
	s_mul_i32 s2, ttmp9, s2
	s_delay_alu instid0(SALU_CYCLE_1)
	s_add_co_i32 s3, s3, s2
	s_cmp_eq_u32 s4, 0
	s_cselect_b32 s2, ttmp9, s3
	s_mov_b32 s3, 0
	s_load_u8 s15, s[0:1], s2 offset:0x5a0
	s_add_nc_u64 s[4:5], s[0:1], s[2:3]
	s_mul_u64 s[6:7], s[2:3], 3
	s_delay_alu instid0(SALU_CYCLE_1)
	s_add_nc_u64 s[4:5], s[4:5], s[6:7]
	s_load_b32 s14, s[4:5], 0x6e0
	s_wait_kmcnt 0x0
	s_clause 0x4
	s_load_b64 s[6:7], s[0:1], s15 offset:0x0 scale_offset
	s_load_b64 s[12:13], s[0:1], s15 offset:0x120 scale_offset
	;; [unrolled: 1-line block ×5, first 2 shown]
	s_wait_xcnt 0x0
	s_ashr_i32 s15, s14, 31
	s_delay_alu instid0(SALU_CYCLE_1)
	s_lshl_b64 s[18:19], s[14:15], 19
	s_wait_kmcnt 0x0
	s_add_nc_u64 s[20:21], s[12:13], s[18:19]
	s_add_nc_u64 s[4:5], s[6:7], s[18:19]
	s_and_b32 s2, s20, 31
	s_and_b64 s[20:21], s[4:5], 31
	s_add_nc_u64 s[6:7], s[8:9], s[18:19]
	s_cmp_lg_u64 s[2:3], 0
	s_add_nc_u64 s[8:9], s[10:11], s[18:19]
	s_load_b64 s[10:11], s[0:1], 0xbf0
	s_cselect_b32 s18, -1, 0
	s_load_b64 s[12:13], s[12:13], 0x0
	s_or_b32 s2, s8, s6
	s_delay_alu instid0(SALU_CYCLE_1) | instskip(NEXT) | instid1(SALU_CYCLE_1)
	s_and_b32 s2, s2, 31
	s_cmp_lg_u32 s2, 0
	s_cselect_b32 s19, -1, 0
	s_and_b32 s2, s16, 3
	s_lshl_b64 s[14:15], s[14:15], 16
	s_or_b64 s[2:3], s[20:21], s[2:3]
	s_or_b32 s18, s19, s18
	s_cmp_lg_u64 s[2:3], 0
	s_sub_nc_u64 s[14:15], s[16:17], s[14:15]
	s_cselect_b32 s2, -1, 0
	s_delay_alu instid0(SALU_CYCLE_1) | instskip(NEXT) | instid1(SALU_CYCLE_1)
	s_or_b32 s2, s18, s2
	s_and_not1_b32 vcc_lo, exec_lo, s2
	s_mov_b32 s2, -1
	s_cbranch_vccz .LBB58_21
; %bb.1:
	v_min_i64 v[18:19], 0x10000, s[14:15]
	v_dual_mov_b32 v20, 0 :: v_dual_lshlrev_b32 v2, 2, v0
	s_mov_b32 s30, exec_lo
	s_delay_alu instid0(VALU_DEP_1) | instskip(NEXT) | instid1(VALU_DEP_1)
	v_mov_b32_e32 v3, v20
	v_cmpx_lt_i64_e64 v[2:3], v[18:19]
	s_cbranch_execz .LBB58_20
; %bb.2:
	s_load_b32 s2, s[0:1], 0xc04
	v_dual_mov_b32 v1, v20 :: v_dual_lshlrev_b32 v22, 5, v0
	v_mov_b32_e32 v23, v20
	s_mov_b32 s3, 0
	s_wait_kmcnt 0x0
	s_ashr_i32 s16, s13, 31
	v_mov_b64_e32 v[24:25], v[0:1]
	s_mov_b64 s[18:19], 0xffffffff
	s_mov_b32 s31, 0
	s_mov_b64 s[20:21], s[6:7]
	s_mov_b64 s[22:23], s[4:5]
	s_mov_b32 s25, s3
	s_mov_b32 s27, s3
	s_mov_b64 s[28:29], s[8:9]
	s_and_b32 s24, s2, 0xffff
	s_delay_alu instid0(SALU_CYCLE_1)
	s_lshl_b32 s26, s24, 5
	s_branch .LBB58_4
.LBB58_3:                               ;   in Loop: Header=BB58_4 Depth=1
	s_or_b32 exec_lo, exec_lo, s2
	s_wait_loadcnt 0x0
	v_mad_nc_u64_u32 v[8:9], v14, s10, v[8:9]
	v_mad_nc_u64_u32 v[6:7], v26, s10, v[6:7]
	;; [unrolled: 1-line block ×4, first 2 shown]
	v_add_nc_u64_e32 v[24:25], s[24:25], v[24:25]
	s_add_nc_u64 s[22:23], s[22:23], s[26:27]
	s_add_nc_u64 s[20:21], s[20:21], s[26:27]
	s_delay_alu instid0(VALU_DEP_1)
	v_lshlrev_b64_e32 v[12:13], 2, v[24:25]
	v_mad_u32 v9, v15, s10, v9
	v_mad_u32 v7, v27, s10, v7
	;; [unrolled: 1-line block ×4, first 2 shown]
	v_cmp_ge_i64_e32 vcc_lo, v[12:13], v[18:19]
	v_mad_u32 v9, v14, s11, v9
	v_mad_u32 v7, v26, s11, v7
	;; [unrolled: 1-line block ×4, first 2 shown]
	v_add_nc_u64_e32 v[10:11], s[28:29], v[22:23]
	s_add_nc_u64 s[28:29], s[28:29], s[26:27]
	s_or_b32 s31, vcc_lo, s31
	s_clause 0x1
	global_store_b128 v[10:11], v[6:9], off
	global_store_b128 v[10:11], v[2:5], off offset:16
	s_wait_xcnt 0x0
	s_and_not1_b32 exec_lo, exec_lo, s31
	s_cbranch_execz .LBB58_20
.LBB58_4:                               ; =>This Inner Loop Header: Depth=1
	v_add_nc_u64_e32 v[26:27], s[20:21], v[22:23]
	v_add_nc_u64_e32 v[28:29], s[22:23], v[22:23]
	s_mov_b32 s2, exec_lo
	s_clause 0x1
	global_load_b128 v[14:17], v[26:27], off
	global_load_b128 v[10:13], v[26:27], off offset:16
	s_clause 0x1
	global_load_b128 v[2:5], v[28:29], off offset:16
	global_load_b128 v[6:9], v[28:29], off
                                        ; implicit-def: $vgpr26_vgpr27
	s_wait_loadcnt 0x3
	v_or_b32_e32 v21, s13, v15
	s_wait_xcnt 0x0
	s_delay_alu instid0(VALU_DEP_1)
	v_cmpx_ne_u64_e32 0, v[20:21]
	s_xor_b32 s33, exec_lo, s2
	s_cbranch_execz .LBB58_6
; %bb.5:                                ;   in Loop: Header=BB58_4 Depth=1
	v_dual_mov_b32 v29, v20 :: v_dual_ashrrev_i32 v26, 31, v15
	v_dual_mov_b32 v37, v20 :: v_dual_mov_b32 v39, v20
	s_mov_b32 s17, s16
	s_delay_alu instid0(VALU_DEP_2) | instskip(SKIP_1) | instid1(SALU_CYCLE_1)
	v_mov_b32_e32 v27, v26
	s_add_nc_u64 s[34:35], s[12:13], s[16:17]
	s_xor_b64 s[34:35], s[34:35], s[16:17]
	s_delay_alu instid0(SALU_CYCLE_1) | instskip(NEXT) | instid1(VALU_DEP_1)
	s_and_b64 s[36:37], s[34:35], s[18:19]
	v_add_nc_u64_e32 v[14:15], v[14:15], v[26:27]
	s_mov_b32 s2, s35
	s_delay_alu instid0(VALU_DEP_1) | instskip(NEXT) | instid1(VALU_DEP_2)
	v_xor_b32_e32 v14, v14, v26
	v_xor_b32_e32 v15, v15, v26
	s_delay_alu instid0(VALU_DEP_2) | instskip(NEXT) | instid1(VALU_DEP_2)
	v_cvt_f32_u32_e32 v1, v14
	v_cvt_f32_u32_e32 v21, v15
	s_delay_alu instid0(VALU_DEP_1) | instskip(NEXT) | instid1(VALU_DEP_1)
	v_fmac_f32_e32 v1, 0x4f800000, v21
	v_rcp_f32_e32 v1, v1
	v_nop
	s_delay_alu instid0(TRANS32_DEP_1) | instskip(NEXT) | instid1(VALU_DEP_1)
	v_mul_f32_e32 v1, 0x5f7ffffc, v1
	v_mul_f32_e32 v21, 0x2f800000, v1
	s_delay_alu instid0(VALU_DEP_1) | instskip(NEXT) | instid1(VALU_DEP_1)
	v_trunc_f32_e32 v21, v21
	v_fmac_f32_e32 v1, 0xcf800000, v21
	v_cvt_u32_f32_e32 v33, v21
	s_delay_alu instid0(VALU_DEP_2) | instskip(NEXT) | instid1(VALU_DEP_1)
	v_cvt_u32_f32_e32 v28, v1
	v_dual_mov_b32 v38, v33 :: v_dual_mov_b32 v32, v28
	v_sub_nc_u64_e32 v[30:31], 0, v[14:15]
	s_delay_alu instid0(VALU_DEP_1) | instskip(NEXT) | instid1(VALU_DEP_1)
	v_mul_u64_e32 v[34:35], v[30:31], v[32:33]
	v_dual_mov_b32 v36, v35 :: v_dual_mov_b32 v35, v20
	s_delay_alu instid0(VALU_DEP_1) | instskip(NEXT) | instid1(VALU_DEP_2)
	v_mul_u64_e32 v[40:41], v[28:29], v[36:37]
	v_mul_u64_e32 v[42:43], v[38:39], v[34:35]
	;; [unrolled: 1-line block ×3, first 2 shown]
	v_mul_hi_u32 v34, v28, v34
	s_delay_alu instid0(VALU_DEP_1) | instskip(NEXT) | instid1(VALU_DEP_1)
	v_add_nc_u64_e32 v[34:35], v[34:35], v[40:41]
	v_add_co_u32 v1, vcc_lo, v34, v42
	s_delay_alu instid0(VALU_DEP_2) | instskip(SKIP_1) | instid1(VALU_DEP_1)
	v_add_co_ci_u32_e32 v38, vcc_lo, v35, v43, vcc_lo
	v_add_co_ci_u32_e32 v37, vcc_lo, 0, v37, vcc_lo
	v_add_nc_u64_e32 v[34:35], v[38:39], v[36:37]
	s_delay_alu instid0(VALU_DEP_1) | instskip(NEXT) | instid1(VALU_DEP_1)
	v_add_co_u32 v28, vcc_lo, v28, v34
	v_add_co_ci_u32_e64 v32, null, v33, v35, vcc_lo
	v_dual_mov_b32 v35, v20 :: v_dual_mov_b32 v33, v20
	s_delay_alu instid0(VALU_DEP_2) | instskip(NEXT) | instid1(VALU_DEP_1)
	v_mov_b32_e32 v29, v32
	v_mul_u64_e32 v[30:31], v[30:31], v[28:29]
	s_delay_alu instid0(VALU_DEP_1) | instskip(NEXT) | instid1(VALU_DEP_2)
	v_dual_mov_b32 v29, v20 :: v_dual_mov_b32 v34, v31
	v_dual_mov_b32 v38, v30 :: v_dual_mov_b32 v31, v20
	v_mul_hi_u32 v30, v28, v30
	s_delay_alu instid0(VALU_DEP_3) | instskip(NEXT) | instid1(VALU_DEP_3)
	v_mul_u64_e32 v[36:37], v[28:29], v[34:35]
	v_mul_u64_e32 v[38:39], v[32:33], v[38:39]
	;; [unrolled: 1-line block ×3, first 2 shown]
	s_delay_alu instid0(VALU_DEP_3) | instskip(SKIP_1) | instid1(VALU_DEP_2)
	v_add_nc_u64_e32 v[30:31], v[30:31], v[36:37]
	v_mov_b32_e32 v37, v20
	v_add_co_u32 v1, vcc_lo, v30, v38
	s_delay_alu instid0(VALU_DEP_3) | instskip(SKIP_1) | instid1(VALU_DEP_1)
	v_add_co_ci_u32_e32 v36, vcc_lo, v31, v39, vcc_lo
	v_add_co_ci_u32_e32 v35, vcc_lo, 0, v35, vcc_lo
	v_add_nc_u64_e32 v[30:31], v[36:37], v[34:35]
	s_delay_alu instid0(VALU_DEP_1) | instskip(NEXT) | instid1(VALU_DEP_1)
	v_add_co_u32 v30, vcc_lo, v28, v30
	v_add_co_ci_u32_e64 v28, null, v32, v31, vcc_lo
	v_mov_b32_e32 v31, v20
	s_delay_alu instid0(VALU_DEP_2) | instskip(SKIP_1) | instid1(VALU_DEP_3)
	v_mul_u64_e32 v[32:33], s[36:37], v[28:29]
	v_mul_u64_e32 v[28:29], s[2:3], v[28:29]
	;; [unrolled: 1-line block ×3, first 2 shown]
	v_mul_hi_u32 v30, s34, v30
	s_delay_alu instid0(VALU_DEP_1) | instskip(SKIP_1) | instid1(VALU_DEP_2)
	v_add_nc_u64_e32 v[30:31], v[30:31], v[32:33]
	v_mov_b32_e32 v33, v20
	v_add_co_u32 v1, vcc_lo, v30, v34
	s_delay_alu instid0(VALU_DEP_3) | instskip(SKIP_1) | instid1(VALU_DEP_1)
	v_add_co_ci_u32_e32 v32, vcc_lo, v31, v35, vcc_lo
	v_add_co_ci_u32_e32 v29, vcc_lo, 0, v29, vcc_lo
	v_add_nc_u64_e32 v[28:29], v[32:33], v[28:29]
	s_delay_alu instid0(VALU_DEP_1) | instskip(SKIP_1) | instid1(VALU_DEP_2)
	v_mul_u64_e32 v[30:31], v[14:15], v[28:29]
	v_add_nc_u64_e32 v[32:33], 1, v[28:29]
	v_sub_nc_u32_e32 v1, s35, v31
	s_delay_alu instid0(VALU_DEP_3) | instskip(NEXT) | instid1(VALU_DEP_1)
	v_sub_co_u32 v21, vcc_lo, s34, v30
	v_sub_co_ci_u32_e64 v34, null, s35, v31, vcc_lo
	s_delay_alu instid0(VALU_DEP_3) | instskip(NEXT) | instid1(VALU_DEP_3)
	v_sub_co_ci_u32_e64 v1, null, v1, v15, vcc_lo
	v_sub_co_u32 v27, s2, v21, v14
	s_delay_alu instid0(VALU_DEP_1) | instskip(NEXT) | instid1(VALU_DEP_2)
	v_subrev_co_ci_u32_e64 v1, null, 0, v1, s2
	v_cmp_ge_u32_e32 vcc_lo, v27, v14
	v_cndmask_b32_e64 v27, 0, -1, vcc_lo
	s_delay_alu instid0(VALU_DEP_3)
	v_cmp_ge_u32_e32 vcc_lo, v1, v15
	v_cndmask_b32_e64 v30, 0, -1, vcc_lo
	v_cmp_ge_u32_e32 vcc_lo, v21, v14
	v_cndmask_b32_e64 v14, 0, -1, vcc_lo
	;; [unrolled: 2-line block ×3, first 2 shown]
	v_cmp_eq_u32_e32 vcc_lo, v1, v15
	v_cndmask_b32_e32 v1, v30, v27, vcc_lo
	v_cmp_eq_u32_e32 vcc_lo, v34, v15
	v_add_nc_u64_e32 v[30:31], 2, v[28:29]
	v_cndmask_b32_e32 v14, v21, v14, vcc_lo
	s_delay_alu instid0(VALU_DEP_4) | instskip(NEXT) | instid1(VALU_DEP_2)
	v_cmp_ne_u32_e32 vcc_lo, 0, v1
	v_cmp_ne_u32_e64 s2, 0, v14
	s_delay_alu instid0(VALU_DEP_4) | instskip(NEXT) | instid1(VALU_DEP_1)
	v_dual_cndmask_b32 v1, v33, v31, vcc_lo :: v_dual_cndmask_b32 v15, v32, v30, vcc_lo
	v_dual_cndmask_b32 v1, v29, v1, s2 :: v_dual_bitop2_b32 v14, s16, v26 bitop3:0x14
	s_delay_alu instid0(VALU_DEP_1) | instskip(NEXT) | instid1(VALU_DEP_2)
	v_dual_cndmask_b32 v21, v28, v15, s2 :: v_dual_mov_b32 v15, v14
	v_xor_b32_e32 v27, v1, v14
	s_delay_alu instid0(VALU_DEP_2) | instskip(NEXT) | instid1(VALU_DEP_1)
	v_xor_b32_e32 v26, v21, v14
	v_sub_nc_u64_e32 v[26:27], v[26:27], v[14:15]
.LBB58_6:                               ;   in Loop: Header=BB58_4 Depth=1
	s_and_not1_saveexec_b32 s2, s33
	s_cbranch_execz .LBB58_8
; %bb.7:                                ;   in Loop: Header=BB58_4 Depth=1
	v_cvt_f32_u32_e32 v1, v14
	v_dual_sub_nc_u32 v15, 0, v14 :: v_dual_mov_b32 v27, v20
	s_delay_alu instid0(VALU_DEP_2) | instskip(SKIP_1) | instid1(TRANS32_DEP_1)
	v_rcp_iflag_f32_e32 v1, v1
	v_nop
	v_mul_f32_e32 v1, 0x4f7ffffe, v1
	s_delay_alu instid0(VALU_DEP_1) | instskip(NEXT) | instid1(VALU_DEP_1)
	v_cvt_u32_f32_e32 v1, v1
	v_mul_lo_u32 v15, v15, v1
	s_delay_alu instid0(VALU_DEP_1) | instskip(NEXT) | instid1(VALU_DEP_1)
	v_mul_hi_u32 v15, v1, v15
	v_add_nc_u32_e32 v1, v1, v15
	s_delay_alu instid0(VALU_DEP_1) | instskip(NEXT) | instid1(VALU_DEP_1)
	v_mul_hi_u32 v1, s12, v1
	v_mul_lo_u32 v15, v1, v14
	s_delay_alu instid0(VALU_DEP_1) | instskip(NEXT) | instid1(VALU_DEP_1)
	v_dual_add_nc_u32 v21, 1, v1 :: v_dual_sub_nc_u32 v15, s12, v15
	v_sub_nc_u32_e32 v26, v15, v14
	v_cmp_ge_u32_e32 vcc_lo, v15, v14
	s_delay_alu instid0(VALU_DEP_2) | instskip(NEXT) | instid1(VALU_DEP_1)
	v_dual_cndmask_b32 v15, v15, v26, vcc_lo :: v_dual_cndmask_b32 v1, v1, v21, vcc_lo
	v_cmp_ge_u32_e32 vcc_lo, v15, v14
	s_delay_alu instid0(VALU_DEP_2) | instskip(NEXT) | instid1(VALU_DEP_1)
	v_add_nc_u32_e32 v21, 1, v1
	v_cndmask_b32_e32 v26, v1, v21, vcc_lo
.LBB58_8:                               ;   in Loop: Header=BB58_4 Depth=1
	s_or_b32 exec_lo, exec_lo, s2
	v_or_b32_e32 v21, s13, v17
                                        ; implicit-def: $vgpr14_vgpr15
	s_mov_b32 s2, exec_lo
	s_delay_alu instid0(VALU_DEP_1)
	v_cmpx_ne_u64_e32 0, v[20:21]
	s_xor_b32 s33, exec_lo, s2
	s_cbranch_execz .LBB58_10
; %bb.9:                                ;   in Loop: Header=BB58_4 Depth=1
	v_dual_mov_b32 v29, v20 :: v_dual_ashrrev_i32 v14, 31, v17
	v_dual_mov_b32 v37, v20 :: v_dual_mov_b32 v39, v20
	s_mov_b32 s17, s16
	s_delay_alu instid0(VALU_DEP_2) | instskip(SKIP_1) | instid1(SALU_CYCLE_1)
	v_mov_b32_e32 v15, v14
	s_add_nc_u64 s[34:35], s[12:13], s[16:17]
	s_xor_b64 s[34:35], s[34:35], s[16:17]
	s_delay_alu instid0(SALU_CYCLE_1) | instskip(NEXT) | instid1(VALU_DEP_1)
	s_and_b64 s[36:37], s[34:35], s[18:19]
	v_add_nc_u64_e32 v[16:17], v[16:17], v[14:15]
	s_mov_b32 s2, s35
	s_delay_alu instid0(VALU_DEP_1) | instskip(NEXT) | instid1(VALU_DEP_2)
	v_xor_b32_e32 v16, v16, v14
	v_xor_b32_e32 v17, v17, v14
	s_delay_alu instid0(VALU_DEP_2) | instskip(NEXT) | instid1(VALU_DEP_2)
	v_cvt_f32_u32_e32 v1, v16
	v_cvt_f32_u32_e32 v15, v17
	s_delay_alu instid0(VALU_DEP_1) | instskip(NEXT) | instid1(VALU_DEP_1)
	v_fmac_f32_e32 v1, 0x4f800000, v15
	v_rcp_f32_e32 v1, v1
	v_nop
	s_delay_alu instid0(TRANS32_DEP_1) | instskip(NEXT) | instid1(VALU_DEP_1)
	v_mul_f32_e32 v1, 0x5f7ffffc, v1
	v_mul_f32_e32 v15, 0x2f800000, v1
	s_delay_alu instid0(VALU_DEP_1) | instskip(NEXT) | instid1(VALU_DEP_1)
	v_trunc_f32_e32 v15, v15
	v_fmac_f32_e32 v1, 0xcf800000, v15
	v_cvt_u32_f32_e32 v33, v15
	s_delay_alu instid0(VALU_DEP_2) | instskip(NEXT) | instid1(VALU_DEP_1)
	v_cvt_u32_f32_e32 v28, v1
	v_dual_mov_b32 v38, v33 :: v_dual_mov_b32 v32, v28
	v_sub_nc_u64_e32 v[30:31], 0, v[16:17]
	s_delay_alu instid0(VALU_DEP_1) | instskip(NEXT) | instid1(VALU_DEP_1)
	v_mul_u64_e32 v[34:35], v[30:31], v[32:33]
	v_dual_mov_b32 v36, v35 :: v_dual_mov_b32 v35, v20
	s_delay_alu instid0(VALU_DEP_1) | instskip(NEXT) | instid1(VALU_DEP_2)
	v_mul_u64_e32 v[40:41], v[28:29], v[36:37]
	v_mul_u64_e32 v[42:43], v[38:39], v[34:35]
	;; [unrolled: 1-line block ×3, first 2 shown]
	v_mul_hi_u32 v34, v28, v34
	s_delay_alu instid0(VALU_DEP_1) | instskip(NEXT) | instid1(VALU_DEP_1)
	v_add_nc_u64_e32 v[34:35], v[34:35], v[40:41]
	v_add_co_u32 v1, vcc_lo, v34, v42
	s_delay_alu instid0(VALU_DEP_2) | instskip(SKIP_1) | instid1(VALU_DEP_1)
	v_add_co_ci_u32_e32 v38, vcc_lo, v35, v43, vcc_lo
	v_add_co_ci_u32_e32 v37, vcc_lo, 0, v37, vcc_lo
	v_add_nc_u64_e32 v[34:35], v[38:39], v[36:37]
	s_delay_alu instid0(VALU_DEP_1) | instskip(NEXT) | instid1(VALU_DEP_1)
	v_add_co_u32 v28, vcc_lo, v28, v34
	v_add_co_ci_u32_e64 v32, null, v33, v35, vcc_lo
	v_dual_mov_b32 v35, v20 :: v_dual_mov_b32 v33, v20
	s_delay_alu instid0(VALU_DEP_2) | instskip(NEXT) | instid1(VALU_DEP_1)
	v_mov_b32_e32 v29, v32
	v_mul_u64_e32 v[30:31], v[30:31], v[28:29]
	s_delay_alu instid0(VALU_DEP_1) | instskip(NEXT) | instid1(VALU_DEP_2)
	v_dual_mov_b32 v29, v20 :: v_dual_mov_b32 v34, v31
	v_dual_mov_b32 v38, v30 :: v_dual_mov_b32 v31, v20
	v_mul_hi_u32 v30, v28, v30
	s_delay_alu instid0(VALU_DEP_3) | instskip(NEXT) | instid1(VALU_DEP_3)
	v_mul_u64_e32 v[36:37], v[28:29], v[34:35]
	v_mul_u64_e32 v[38:39], v[32:33], v[38:39]
	;; [unrolled: 1-line block ×3, first 2 shown]
	s_delay_alu instid0(VALU_DEP_3) | instskip(SKIP_1) | instid1(VALU_DEP_2)
	v_add_nc_u64_e32 v[30:31], v[30:31], v[36:37]
	v_mov_b32_e32 v37, v20
	v_add_co_u32 v1, vcc_lo, v30, v38
	s_delay_alu instid0(VALU_DEP_3) | instskip(SKIP_1) | instid1(VALU_DEP_1)
	v_add_co_ci_u32_e32 v36, vcc_lo, v31, v39, vcc_lo
	v_add_co_ci_u32_e32 v35, vcc_lo, 0, v35, vcc_lo
	v_add_nc_u64_e32 v[30:31], v[36:37], v[34:35]
	s_delay_alu instid0(VALU_DEP_1) | instskip(NEXT) | instid1(VALU_DEP_1)
	v_add_co_u32 v30, vcc_lo, v28, v30
	v_add_co_ci_u32_e64 v28, null, v32, v31, vcc_lo
	v_mov_b32_e32 v31, v20
	s_delay_alu instid0(VALU_DEP_2) | instskip(SKIP_1) | instid1(VALU_DEP_3)
	v_mul_u64_e32 v[32:33], s[36:37], v[28:29]
	v_mul_u64_e32 v[28:29], s[2:3], v[28:29]
	;; [unrolled: 1-line block ×3, first 2 shown]
	v_mul_hi_u32 v30, s34, v30
	s_delay_alu instid0(VALU_DEP_1) | instskip(SKIP_1) | instid1(VALU_DEP_2)
	v_add_nc_u64_e32 v[30:31], v[30:31], v[32:33]
	v_mov_b32_e32 v33, v20
	v_add_co_u32 v1, vcc_lo, v30, v34
	s_delay_alu instid0(VALU_DEP_3) | instskip(SKIP_1) | instid1(VALU_DEP_1)
	v_add_co_ci_u32_e32 v32, vcc_lo, v31, v35, vcc_lo
	v_add_co_ci_u32_e32 v29, vcc_lo, 0, v29, vcc_lo
	v_add_nc_u64_e32 v[28:29], v[32:33], v[28:29]
	s_delay_alu instid0(VALU_DEP_1) | instskip(SKIP_1) | instid1(VALU_DEP_2)
	v_mul_u64_e32 v[30:31], v[16:17], v[28:29]
	v_add_nc_u64_e32 v[32:33], 1, v[28:29]
	v_sub_nc_u32_e32 v1, s35, v31
	s_delay_alu instid0(VALU_DEP_3) | instskip(NEXT) | instid1(VALU_DEP_1)
	v_sub_co_u32 v15, vcc_lo, s34, v30
	v_sub_co_ci_u32_e64 v34, null, s35, v31, vcc_lo
	s_delay_alu instid0(VALU_DEP_3) | instskip(NEXT) | instid1(VALU_DEP_3)
	v_sub_co_ci_u32_e64 v1, null, v1, v17, vcc_lo
	v_sub_co_u32 v21, s2, v15, v16
	s_delay_alu instid0(VALU_DEP_1) | instskip(NEXT) | instid1(VALU_DEP_2)
	v_subrev_co_ci_u32_e64 v1, null, 0, v1, s2
	v_cmp_ge_u32_e32 vcc_lo, v21, v16
	v_cndmask_b32_e64 v21, 0, -1, vcc_lo
	s_delay_alu instid0(VALU_DEP_3)
	v_cmp_ge_u32_e32 vcc_lo, v1, v17
	v_cndmask_b32_e64 v30, 0, -1, vcc_lo
	v_cmp_ge_u32_e32 vcc_lo, v15, v16
	v_cndmask_b32_e64 v15, 0, -1, vcc_lo
	;; [unrolled: 2-line block ×3, first 2 shown]
	v_cmp_eq_u32_e32 vcc_lo, v1, v17
	v_cndmask_b32_e32 v1, v30, v21, vcc_lo
	v_cmp_eq_u32_e32 vcc_lo, v34, v17
	v_add_nc_u64_e32 v[30:31], 2, v[28:29]
	v_cndmask_b32_e32 v15, v16, v15, vcc_lo
	s_delay_alu instid0(VALU_DEP_4) | instskip(NEXT) | instid1(VALU_DEP_2)
	v_cmp_ne_u32_e32 vcc_lo, 0, v1
	v_cmp_ne_u32_e64 s2, 0, v15
	s_delay_alu instid0(VALU_DEP_4) | instskip(NEXT) | instid1(VALU_DEP_1)
	v_dual_cndmask_b32 v1, v33, v31, vcc_lo :: v_dual_cndmask_b32 v15, v32, v30, vcc_lo
	v_dual_cndmask_b32 v1, v29, v1, s2 :: v_dual_bitop2_b32 v14, s16, v14 bitop3:0x14
	s_delay_alu instid0(VALU_DEP_1) | instskip(NEXT) | instid1(VALU_DEP_2)
	v_dual_cndmask_b32 v16, v28, v15, s2 :: v_dual_mov_b32 v15, v14
	v_xor_b32_e32 v17, v1, v14
	s_delay_alu instid0(VALU_DEP_2) | instskip(NEXT) | instid1(VALU_DEP_1)
	v_xor_b32_e32 v16, v16, v14
	v_sub_nc_u64_e32 v[14:15], v[16:17], v[14:15]
                                        ; implicit-def: $vgpr16_vgpr17
.LBB58_10:                              ;   in Loop: Header=BB58_4 Depth=1
	s_and_not1_saveexec_b32 s2, s33
	s_cbranch_execz .LBB58_12
; %bb.11:                               ;   in Loop: Header=BB58_4 Depth=1
	v_cvt_f32_u32_e32 v1, v16
	v_sub_nc_u32_e32 v14, 0, v16
	s_delay_alu instid0(VALU_DEP_2) | instskip(SKIP_1) | instid1(TRANS32_DEP_1)
	v_rcp_iflag_f32_e32 v1, v1
	v_nop
	v_mul_f32_e32 v1, 0x4f7ffffe, v1
	s_delay_alu instid0(VALU_DEP_1) | instskip(NEXT) | instid1(VALU_DEP_1)
	v_cvt_u32_f32_e32 v1, v1
	v_mul_lo_u32 v14, v14, v1
	s_delay_alu instid0(VALU_DEP_1) | instskip(NEXT) | instid1(VALU_DEP_1)
	v_mul_hi_u32 v14, v1, v14
	v_add_nc_u32_e32 v1, v1, v14
	s_delay_alu instid0(VALU_DEP_1) | instskip(NEXT) | instid1(VALU_DEP_1)
	v_mul_hi_u32 v1, s12, v1
	v_mul_lo_u32 v14, v1, v16
	s_delay_alu instid0(VALU_DEP_1) | instskip(NEXT) | instid1(VALU_DEP_1)
	v_dual_sub_nc_u32 v14, s12, v14 :: v_dual_add_nc_u32 v15, 1, v1
	v_sub_nc_u32_e32 v17, v14, v16
	v_cmp_ge_u32_e32 vcc_lo, v14, v16
	s_delay_alu instid0(VALU_DEP_2) | instskip(NEXT) | instid1(VALU_DEP_1)
	v_dual_cndmask_b32 v14, v14, v17 :: v_dual_cndmask_b32 v1, v1, v15
	v_cmp_ge_u32_e32 vcc_lo, v14, v16
	s_delay_alu instid0(VALU_DEP_2) | instskip(NEXT) | instid1(VALU_DEP_1)
	v_add_nc_u32_e32 v15, 1, v1
	v_dual_cndmask_b32 v14, v1, v15 :: v_dual_mov_b32 v15, v20
.LBB58_12:                              ;   in Loop: Header=BB58_4 Depth=1
	s_or_b32 exec_lo, exec_lo, s2
	s_wait_loadcnt 0x2
	v_or_b32_e32 v21, s13, v11
                                        ; implicit-def: $vgpr16_vgpr17
	s_mov_b32 s2, exec_lo
	s_delay_alu instid0(VALU_DEP_1)
	v_cmpx_ne_u64_e32 0, v[20:21]
	s_xor_b32 s33, exec_lo, s2
	s_cbranch_execz .LBB58_14
; %bb.13:                               ;   in Loop: Header=BB58_4 Depth=1
	v_dual_mov_b32 v31, v20 :: v_dual_ashrrev_i32 v16, 31, v11
	v_dual_mov_b32 v39, v20 :: v_dual_mov_b32 v41, v20
	s_mov_b32 s17, s16
	s_delay_alu instid0(VALU_DEP_2) | instskip(SKIP_1) | instid1(SALU_CYCLE_1)
	v_mov_b32_e32 v17, v16
	s_add_nc_u64 s[34:35], s[12:13], s[16:17]
	s_xor_b64 s[34:35], s[34:35], s[16:17]
	s_delay_alu instid0(SALU_CYCLE_1) | instskip(NEXT) | instid1(VALU_DEP_1)
	s_and_b64 s[36:37], s[34:35], s[18:19]
	v_add_nc_u64_e32 v[28:29], v[10:11], v[16:17]
	s_mov_b32 s2, s35
	s_delay_alu instid0(VALU_DEP_1) | instskip(NEXT) | instid1(VALU_DEP_2)
	v_xor_b32_e32 v28, v28, v16
	v_xor_b32_e32 v29, v29, v16
	s_delay_alu instid0(VALU_DEP_2) | instskip(NEXT) | instid1(VALU_DEP_2)
	v_cvt_f32_u32_e32 v1, v28
	v_cvt_f32_u32_e32 v11, v29
	s_delay_alu instid0(VALU_DEP_1) | instskip(NEXT) | instid1(VALU_DEP_1)
	v_fmac_f32_e32 v1, 0x4f800000, v11
	v_rcp_f32_e32 v1, v1
	v_nop
	s_delay_alu instid0(TRANS32_DEP_1) | instskip(NEXT) | instid1(VALU_DEP_1)
	v_mul_f32_e32 v1, 0x5f7ffffc, v1
	v_mul_f32_e32 v11, 0x2f800000, v1
	s_delay_alu instid0(VALU_DEP_1) | instskip(NEXT) | instid1(VALU_DEP_1)
	v_trunc_f32_e32 v11, v11
	v_fmac_f32_e32 v1, 0xcf800000, v11
	v_cvt_u32_f32_e32 v35, v11
	s_delay_alu instid0(VALU_DEP_2) | instskip(NEXT) | instid1(VALU_DEP_1)
	v_cvt_u32_f32_e32 v30, v1
	v_dual_mov_b32 v40, v35 :: v_dual_mov_b32 v34, v30
	v_sub_nc_u64_e32 v[32:33], 0, v[28:29]
	s_delay_alu instid0(VALU_DEP_1) | instskip(NEXT) | instid1(VALU_DEP_1)
	v_mul_u64_e32 v[36:37], v[32:33], v[34:35]
	v_dual_mov_b32 v38, v37 :: v_dual_mov_b32 v37, v20
	s_delay_alu instid0(VALU_DEP_1) | instskip(NEXT) | instid1(VALU_DEP_2)
	v_mul_u64_e32 v[42:43], v[30:31], v[38:39]
	v_mul_u64_e32 v[44:45], v[40:41], v[36:37]
	;; [unrolled: 1-line block ×3, first 2 shown]
	v_mul_hi_u32 v36, v30, v36
	s_delay_alu instid0(VALU_DEP_1) | instskip(NEXT) | instid1(VALU_DEP_1)
	v_add_nc_u64_e32 v[36:37], v[36:37], v[42:43]
	v_add_co_u32 v1, vcc_lo, v36, v44
	s_delay_alu instid0(VALU_DEP_2) | instskip(SKIP_1) | instid1(VALU_DEP_1)
	v_add_co_ci_u32_e32 v40, vcc_lo, v37, v45, vcc_lo
	v_add_co_ci_u32_e32 v39, vcc_lo, 0, v39, vcc_lo
	v_add_nc_u64_e32 v[36:37], v[40:41], v[38:39]
	s_delay_alu instid0(VALU_DEP_1) | instskip(NEXT) | instid1(VALU_DEP_1)
	v_add_co_u32 v30, vcc_lo, v30, v36
	v_add_co_ci_u32_e64 v34, null, v35, v37, vcc_lo
	v_dual_mov_b32 v37, v20 :: v_dual_mov_b32 v35, v20
	s_delay_alu instid0(VALU_DEP_2) | instskip(NEXT) | instid1(VALU_DEP_1)
	v_mov_b32_e32 v31, v34
	v_mul_u64_e32 v[32:33], v[32:33], v[30:31]
	s_delay_alu instid0(VALU_DEP_1) | instskip(NEXT) | instid1(VALU_DEP_2)
	v_dual_mov_b32 v31, v20 :: v_dual_mov_b32 v36, v33
	v_dual_mov_b32 v40, v32 :: v_dual_mov_b32 v33, v20
	v_mul_hi_u32 v32, v30, v32
	s_delay_alu instid0(VALU_DEP_3) | instskip(NEXT) | instid1(VALU_DEP_3)
	v_mul_u64_e32 v[38:39], v[30:31], v[36:37]
	v_mul_u64_e32 v[40:41], v[34:35], v[40:41]
	;; [unrolled: 1-line block ×3, first 2 shown]
	s_delay_alu instid0(VALU_DEP_3) | instskip(SKIP_1) | instid1(VALU_DEP_2)
	v_add_nc_u64_e32 v[32:33], v[32:33], v[38:39]
	v_mov_b32_e32 v39, v20
	v_add_co_u32 v1, vcc_lo, v32, v40
	s_delay_alu instid0(VALU_DEP_3) | instskip(SKIP_1) | instid1(VALU_DEP_1)
	v_add_co_ci_u32_e32 v38, vcc_lo, v33, v41, vcc_lo
	v_add_co_ci_u32_e32 v37, vcc_lo, 0, v37, vcc_lo
	v_add_nc_u64_e32 v[32:33], v[38:39], v[36:37]
	s_delay_alu instid0(VALU_DEP_1) | instskip(NEXT) | instid1(VALU_DEP_1)
	v_add_co_u32 v32, vcc_lo, v30, v32
	v_add_co_ci_u32_e64 v30, null, v34, v33, vcc_lo
	v_mov_b32_e32 v33, v20
	s_delay_alu instid0(VALU_DEP_2) | instskip(SKIP_1) | instid1(VALU_DEP_3)
	v_mul_u64_e32 v[34:35], s[36:37], v[30:31]
	v_mul_u64_e32 v[30:31], s[2:3], v[30:31]
	v_mul_u64_e32 v[36:37], s[2:3], v[32:33]
	v_mul_hi_u32 v32, s34, v32
	s_delay_alu instid0(VALU_DEP_1) | instskip(SKIP_1) | instid1(VALU_DEP_2)
	v_add_nc_u64_e32 v[32:33], v[32:33], v[34:35]
	v_mov_b32_e32 v35, v20
	v_add_co_u32 v1, vcc_lo, v32, v36
	s_delay_alu instid0(VALU_DEP_3) | instskip(SKIP_1) | instid1(VALU_DEP_1)
	v_add_co_ci_u32_e32 v34, vcc_lo, v33, v37, vcc_lo
	v_add_co_ci_u32_e32 v31, vcc_lo, 0, v31, vcc_lo
	v_add_nc_u64_e32 v[30:31], v[34:35], v[30:31]
	s_delay_alu instid0(VALU_DEP_1) | instskip(SKIP_1) | instid1(VALU_DEP_2)
	v_mul_u64_e32 v[32:33], v[28:29], v[30:31]
	v_add_nc_u64_e32 v[34:35], 1, v[30:31]
	v_sub_nc_u32_e32 v1, s35, v33
	s_delay_alu instid0(VALU_DEP_3) | instskip(NEXT) | instid1(VALU_DEP_1)
	v_sub_co_u32 v11, vcc_lo, s34, v32
	v_sub_co_ci_u32_e64 v21, null, s35, v33, vcc_lo
	s_delay_alu instid0(VALU_DEP_3) | instskip(NEXT) | instid1(VALU_DEP_3)
	v_sub_co_ci_u32_e64 v1, null, v1, v29, vcc_lo
	v_sub_co_u32 v17, s2, v11, v28
	s_delay_alu instid0(VALU_DEP_1) | instskip(NEXT) | instid1(VALU_DEP_2)
	v_subrev_co_ci_u32_e64 v1, null, 0, v1, s2
	v_cmp_ge_u32_e32 vcc_lo, v17, v28
	v_cndmask_b32_e64 v17, 0, -1, vcc_lo
	s_delay_alu instid0(VALU_DEP_3)
	v_cmp_ge_u32_e32 vcc_lo, v1, v29
	v_cndmask_b32_e64 v32, 0, -1, vcc_lo
	v_cmp_ge_u32_e32 vcc_lo, v11, v28
	v_cndmask_b32_e64 v11, 0, -1, vcc_lo
	;; [unrolled: 2-line block ×3, first 2 shown]
	v_cmp_eq_u32_e32 vcc_lo, v1, v29
	v_cndmask_b32_e32 v1, v32, v17, vcc_lo
	v_cmp_eq_u32_e32 vcc_lo, v21, v29
	v_add_nc_u64_e32 v[32:33], 2, v[30:31]
	v_cndmask_b32_e32 v11, v28, v11, vcc_lo
	s_delay_alu instid0(VALU_DEP_4) | instskip(NEXT) | instid1(VALU_DEP_3)
	v_cmp_ne_u32_e32 vcc_lo, 0, v1
	v_cndmask_b32_e32 v1, v35, v33, vcc_lo
	s_delay_alu instid0(VALU_DEP_3) | instskip(SKIP_1) | instid1(VALU_DEP_2)
	v_cmp_ne_u32_e64 s2, 0, v11
	v_cndmask_b32_e32 v11, v34, v32, vcc_lo
	v_dual_cndmask_b32 v1, v31, v1, s2 :: v_dual_bitop2_b32 v16, s16, v16 bitop3:0x14
	s_delay_alu instid0(VALU_DEP_1) | instskip(NEXT) | instid1(VALU_DEP_2)
	v_dual_cndmask_b32 v11, v30, v11, s2 :: v_dual_mov_b32 v17, v16
	v_xor_b32_e32 v29, v1, v16
	s_delay_alu instid0(VALU_DEP_2) | instskip(NEXT) | instid1(VALU_DEP_1)
	v_xor_b32_e32 v28, v11, v16
	v_sub_nc_u64_e32 v[16:17], v[28:29], v[16:17]
.LBB58_14:                              ;   in Loop: Header=BB58_4 Depth=1
	s_and_not1_saveexec_b32 s2, s33
	s_cbranch_execz .LBB58_16
; %bb.15:                               ;   in Loop: Header=BB58_4 Depth=1
	v_cvt_f32_u32_e32 v1, v10
	v_sub_nc_u32_e32 v11, 0, v10
	s_delay_alu instid0(VALU_DEP_2) | instskip(SKIP_1) | instid1(TRANS32_DEP_1)
	v_rcp_iflag_f32_e32 v1, v1
	v_nop
	v_mul_f32_e32 v1, 0x4f7ffffe, v1
	s_delay_alu instid0(VALU_DEP_1) | instskip(NEXT) | instid1(VALU_DEP_1)
	v_cvt_u32_f32_e32 v1, v1
	v_mul_lo_u32 v11, v11, v1
	s_delay_alu instid0(VALU_DEP_1) | instskip(NEXT) | instid1(VALU_DEP_1)
	v_mul_hi_u32 v11, v1, v11
	v_add_nc_u32_e32 v1, v1, v11
	s_delay_alu instid0(VALU_DEP_1) | instskip(NEXT) | instid1(VALU_DEP_1)
	v_mul_hi_u32 v1, s12, v1
	v_mul_lo_u32 v11, v1, v10
	s_delay_alu instid0(VALU_DEP_1) | instskip(NEXT) | instid1(VALU_DEP_1)
	v_dual_add_nc_u32 v16, 1, v1 :: v_dual_sub_nc_u32 v11, s12, v11
	v_cmp_ge_u32_e32 vcc_lo, v11, v10
	s_delay_alu instid0(VALU_DEP_2) | instskip(NEXT) | instid1(VALU_DEP_1)
	v_dual_sub_nc_u32 v17, v11, v10 :: v_dual_cndmask_b32 v1, v1, v16, vcc_lo
	v_add_nc_u32_e32 v16, 1, v1
	s_delay_alu instid0(VALU_DEP_2) | instskip(NEXT) | instid1(VALU_DEP_1)
	v_dual_cndmask_b32 v11, v11, v17, vcc_lo :: v_dual_mov_b32 v17, v20
	v_cmp_ge_u32_e32 vcc_lo, v11, v10
	s_delay_alu instid0(VALU_DEP_3)
	v_cndmask_b32_e32 v16, v1, v16, vcc_lo
.LBB58_16:                              ;   in Loop: Header=BB58_4 Depth=1
	s_or_b32 exec_lo, exec_lo, s2
	v_or_b32_e32 v21, s13, v13
                                        ; implicit-def: $vgpr10_vgpr11
	s_mov_b32 s2, exec_lo
	s_delay_alu instid0(VALU_DEP_1)
	v_cmpx_ne_u64_e32 0, v[20:21]
	s_xor_b32 s33, exec_lo, s2
	s_cbranch_execz .LBB58_18
; %bb.17:                               ;   in Loop: Header=BB58_4 Depth=1
	v_dual_mov_b32 v29, v20 :: v_dual_ashrrev_i32 v10, 31, v13
	v_dual_mov_b32 v37, v20 :: v_dual_mov_b32 v39, v20
	s_mov_b32 s17, s16
	s_delay_alu instid0(VALU_DEP_2) | instskip(SKIP_1) | instid1(SALU_CYCLE_1)
	v_mov_b32_e32 v11, v10
	s_add_nc_u64 s[34:35], s[12:13], s[16:17]
	s_xor_b64 s[34:35], s[34:35], s[16:17]
	s_delay_alu instid0(SALU_CYCLE_1) | instskip(NEXT) | instid1(VALU_DEP_1)
	s_and_b64 s[36:37], s[34:35], s[18:19]
	v_add_nc_u64_e32 v[12:13], v[12:13], v[10:11]
	s_mov_b32 s2, s35
	s_delay_alu instid0(VALU_DEP_1) | instskip(NEXT) | instid1(VALU_DEP_2)
	v_xor_b32_e32 v12, v12, v10
	v_xor_b32_e32 v13, v13, v10
	s_delay_alu instid0(VALU_DEP_2) | instskip(NEXT) | instid1(VALU_DEP_2)
	v_cvt_f32_u32_e32 v1, v12
	v_cvt_f32_u32_e32 v11, v13
	s_delay_alu instid0(VALU_DEP_1) | instskip(NEXT) | instid1(VALU_DEP_1)
	v_fmac_f32_e32 v1, 0x4f800000, v11
	v_rcp_f32_e32 v1, v1
	v_nop
	s_delay_alu instid0(TRANS32_DEP_1) | instskip(NEXT) | instid1(VALU_DEP_1)
	v_mul_f32_e32 v1, 0x5f7ffffc, v1
	v_mul_f32_e32 v11, 0x2f800000, v1
	s_delay_alu instid0(VALU_DEP_1) | instskip(NEXT) | instid1(VALU_DEP_1)
	v_trunc_f32_e32 v11, v11
	v_fmac_f32_e32 v1, 0xcf800000, v11
	v_cvt_u32_f32_e32 v33, v11
	s_delay_alu instid0(VALU_DEP_2) | instskip(NEXT) | instid1(VALU_DEP_1)
	v_cvt_u32_f32_e32 v28, v1
	v_dual_mov_b32 v38, v33 :: v_dual_mov_b32 v32, v28
	v_sub_nc_u64_e32 v[30:31], 0, v[12:13]
	s_delay_alu instid0(VALU_DEP_1) | instskip(NEXT) | instid1(VALU_DEP_1)
	v_mul_u64_e32 v[34:35], v[30:31], v[32:33]
	v_dual_mov_b32 v36, v35 :: v_dual_mov_b32 v35, v20
	s_delay_alu instid0(VALU_DEP_1) | instskip(NEXT) | instid1(VALU_DEP_2)
	v_mul_u64_e32 v[40:41], v[28:29], v[36:37]
	v_mul_u64_e32 v[42:43], v[38:39], v[34:35]
	;; [unrolled: 1-line block ×3, first 2 shown]
	v_mul_hi_u32 v34, v28, v34
	s_delay_alu instid0(VALU_DEP_1) | instskip(NEXT) | instid1(VALU_DEP_1)
	v_add_nc_u64_e32 v[34:35], v[34:35], v[40:41]
	v_add_co_u32 v1, vcc_lo, v34, v42
	s_delay_alu instid0(VALU_DEP_2) | instskip(SKIP_1) | instid1(VALU_DEP_1)
	v_add_co_ci_u32_e32 v38, vcc_lo, v35, v43, vcc_lo
	v_add_co_ci_u32_e32 v37, vcc_lo, 0, v37, vcc_lo
	v_add_nc_u64_e32 v[34:35], v[38:39], v[36:37]
	s_delay_alu instid0(VALU_DEP_1) | instskip(NEXT) | instid1(VALU_DEP_1)
	v_add_co_u32 v28, vcc_lo, v28, v34
	v_add_co_ci_u32_e64 v32, null, v33, v35, vcc_lo
	v_dual_mov_b32 v35, v20 :: v_dual_mov_b32 v33, v20
	s_delay_alu instid0(VALU_DEP_2) | instskip(NEXT) | instid1(VALU_DEP_1)
	v_mov_b32_e32 v29, v32
	v_mul_u64_e32 v[30:31], v[30:31], v[28:29]
	s_delay_alu instid0(VALU_DEP_1) | instskip(NEXT) | instid1(VALU_DEP_2)
	v_dual_mov_b32 v29, v20 :: v_dual_mov_b32 v34, v31
	v_dual_mov_b32 v38, v30 :: v_dual_mov_b32 v31, v20
	v_mul_hi_u32 v30, v28, v30
	s_delay_alu instid0(VALU_DEP_3) | instskip(NEXT) | instid1(VALU_DEP_3)
	v_mul_u64_e32 v[36:37], v[28:29], v[34:35]
	v_mul_u64_e32 v[38:39], v[32:33], v[38:39]
	;; [unrolled: 1-line block ×3, first 2 shown]
	s_delay_alu instid0(VALU_DEP_3) | instskip(SKIP_1) | instid1(VALU_DEP_2)
	v_add_nc_u64_e32 v[30:31], v[30:31], v[36:37]
	v_mov_b32_e32 v37, v20
	v_add_co_u32 v1, vcc_lo, v30, v38
	s_delay_alu instid0(VALU_DEP_3) | instskip(SKIP_1) | instid1(VALU_DEP_1)
	v_add_co_ci_u32_e32 v36, vcc_lo, v31, v39, vcc_lo
	v_add_co_ci_u32_e32 v35, vcc_lo, 0, v35, vcc_lo
	v_add_nc_u64_e32 v[30:31], v[36:37], v[34:35]
	s_delay_alu instid0(VALU_DEP_1) | instskip(NEXT) | instid1(VALU_DEP_1)
	v_add_co_u32 v30, vcc_lo, v28, v30
	v_add_co_ci_u32_e64 v28, null, v32, v31, vcc_lo
	v_mov_b32_e32 v31, v20
	s_delay_alu instid0(VALU_DEP_2) | instskip(SKIP_1) | instid1(VALU_DEP_3)
	v_mul_u64_e32 v[32:33], s[36:37], v[28:29]
	v_mul_u64_e32 v[28:29], s[2:3], v[28:29]
	;; [unrolled: 1-line block ×3, first 2 shown]
	v_mul_hi_u32 v30, s34, v30
	s_delay_alu instid0(VALU_DEP_1) | instskip(SKIP_1) | instid1(VALU_DEP_2)
	v_add_nc_u64_e32 v[30:31], v[30:31], v[32:33]
	v_mov_b32_e32 v33, v20
	v_add_co_u32 v1, vcc_lo, v30, v34
	s_delay_alu instid0(VALU_DEP_3) | instskip(SKIP_1) | instid1(VALU_DEP_1)
	v_add_co_ci_u32_e32 v32, vcc_lo, v31, v35, vcc_lo
	v_add_co_ci_u32_e32 v29, vcc_lo, 0, v29, vcc_lo
	v_add_nc_u64_e32 v[28:29], v[32:33], v[28:29]
	s_delay_alu instid0(VALU_DEP_1) | instskip(SKIP_1) | instid1(VALU_DEP_2)
	v_mul_u64_e32 v[30:31], v[12:13], v[28:29]
	v_add_nc_u64_e32 v[32:33], 1, v[28:29]
	v_sub_nc_u32_e32 v1, s35, v31
	s_delay_alu instid0(VALU_DEP_3) | instskip(NEXT) | instid1(VALU_DEP_1)
	v_sub_co_u32 v11, vcc_lo, s34, v30
	v_sub_co_ci_u32_e64 v34, null, s35, v31, vcc_lo
	s_delay_alu instid0(VALU_DEP_3) | instskip(NEXT) | instid1(VALU_DEP_3)
	v_sub_co_ci_u32_e64 v1, null, v1, v13, vcc_lo
	v_sub_co_u32 v21, s2, v11, v12
	s_delay_alu instid0(VALU_DEP_1) | instskip(NEXT) | instid1(VALU_DEP_2)
	v_subrev_co_ci_u32_e64 v1, null, 0, v1, s2
	v_cmp_ge_u32_e32 vcc_lo, v21, v12
	v_cndmask_b32_e64 v21, 0, -1, vcc_lo
	s_delay_alu instid0(VALU_DEP_3)
	v_cmp_ge_u32_e32 vcc_lo, v1, v13
	v_cndmask_b32_e64 v30, 0, -1, vcc_lo
	v_cmp_ge_u32_e32 vcc_lo, v11, v12
	v_cndmask_b32_e64 v11, 0, -1, vcc_lo
	;; [unrolled: 2-line block ×3, first 2 shown]
	v_cmp_eq_u32_e32 vcc_lo, v1, v13
	v_cndmask_b32_e32 v1, v30, v21, vcc_lo
	v_cmp_eq_u32_e32 vcc_lo, v34, v13
	v_add_nc_u64_e32 v[30:31], 2, v[28:29]
	v_cndmask_b32_e32 v11, v12, v11, vcc_lo
	s_delay_alu instid0(VALU_DEP_4) | instskip(NEXT) | instid1(VALU_DEP_2)
	v_cmp_ne_u32_e32 vcc_lo, 0, v1
	v_cmp_ne_u32_e64 s2, 0, v11
	s_delay_alu instid0(VALU_DEP_4) | instskip(NEXT) | instid1(VALU_DEP_1)
	v_dual_cndmask_b32 v1, v33, v31, vcc_lo :: v_dual_cndmask_b32 v11, v32, v30, vcc_lo
	v_dual_cndmask_b32 v1, v29, v1, s2 :: v_dual_bitop2_b32 v10, s16, v10 bitop3:0x14
	s_delay_alu instid0(VALU_DEP_1) | instskip(NEXT) | instid1(VALU_DEP_2)
	v_dual_cndmask_b32 v12, v28, v11, s2 :: v_dual_mov_b32 v11, v10
	v_xor_b32_e32 v13, v1, v10
	s_delay_alu instid0(VALU_DEP_2) | instskip(NEXT) | instid1(VALU_DEP_1)
	v_xor_b32_e32 v12, v12, v10
	v_sub_nc_u64_e32 v[10:11], v[12:13], v[10:11]
                                        ; implicit-def: $vgpr12_vgpr13
.LBB58_18:                              ;   in Loop: Header=BB58_4 Depth=1
	s_and_not1_saveexec_b32 s2, s33
	s_cbranch_execz .LBB58_3
; %bb.19:                               ;   in Loop: Header=BB58_4 Depth=1
	v_cvt_f32_u32_e32 v1, v12
	v_sub_nc_u32_e32 v10, 0, v12
	s_delay_alu instid0(VALU_DEP_2) | instskip(SKIP_1) | instid1(TRANS32_DEP_1)
	v_rcp_iflag_f32_e32 v1, v1
	v_nop
	v_mul_f32_e32 v1, 0x4f7ffffe, v1
	s_delay_alu instid0(VALU_DEP_1) | instskip(NEXT) | instid1(VALU_DEP_1)
	v_cvt_u32_f32_e32 v1, v1
	v_mul_lo_u32 v10, v10, v1
	s_delay_alu instid0(VALU_DEP_1) | instskip(NEXT) | instid1(VALU_DEP_1)
	v_mul_hi_u32 v10, v1, v10
	v_add_nc_u32_e32 v1, v1, v10
	s_delay_alu instid0(VALU_DEP_1) | instskip(NEXT) | instid1(VALU_DEP_1)
	v_mul_hi_u32 v1, s12, v1
	v_mul_lo_u32 v10, v1, v12
	s_delay_alu instid0(VALU_DEP_1) | instskip(NEXT) | instid1(VALU_DEP_1)
	v_dual_sub_nc_u32 v10, s12, v10 :: v_dual_add_nc_u32 v11, 1, v1
	v_sub_nc_u32_e32 v13, v10, v12
	v_cmp_ge_u32_e32 vcc_lo, v10, v12
	s_delay_alu instid0(VALU_DEP_2) | instskip(NEXT) | instid1(VALU_DEP_1)
	v_dual_cndmask_b32 v10, v10, v13 :: v_dual_cndmask_b32 v1, v1, v11
	v_cmp_ge_u32_e32 vcc_lo, v10, v12
	s_delay_alu instid0(VALU_DEP_2) | instskip(NEXT) | instid1(VALU_DEP_1)
	v_add_nc_u32_e32 v11, 1, v1
	v_dual_cndmask_b32 v10, v1, v11 :: v_dual_mov_b32 v11, v20
	s_branch .LBB58_3
.LBB58_20:
	s_or_b32 exec_lo, exec_lo, s30
	s_mov_b32 s2, 0
.LBB58_21:
	s_delay_alu instid0(SALU_CYCLE_1)
	s_and_not1_b32 vcc_lo, exec_lo, s2
	s_cbranch_vccnz .LBB58_51
; %bb.22:
	v_cmp_lt_i64_e64 s2, s[14:15], 1
	s_and_b32 vcc_lo, exec_lo, s2
	s_cbranch_vccnz .LBB58_51
; %bb.23:
	v_min_i64 v[2:3], 0x10000, s[14:15]
	v_min_u64 v[4:5], 0x10000, s[14:15]
	s_wait_xcnt 0x0
	s_load_b32 s0, s[0:1], 0xc04
	v_mov_b32_e32 v6, 0
	s_wait_xcnt 0x0
	s_mov_b32 s1, 0
	s_mov_b64 s[18:19], 0xffffffff
	s_mov_b32 s3, s1
	s_mov_b32 s15, s1
	v_mov_b32_e32 v1, v6
	s_mov_b32 s17, s1
	s_mov_b32 s21, s1
	s_mov_b64 s[22:23], 0
	s_wait_kmcnt 0x0
	s_ashr_i32 s24, s13, 31
	s_and_b32 s2, s0, 0xffff
	s_delay_alu instid0(SALU_CYCLE_1)
	s_lshl_b32 s14, s2, 1
	s_mul_i32 s16, s2, 3
	s_lshl_b32 s20, s2, 2
	s_branch .LBB58_25
.LBB58_24:                              ;   in Loop: Header=BB58_25 Depth=1
	s_wait_xcnt 0x0
	s_or_b32 exec_lo, exec_lo, s0
	s_add_nc_u64 s[22:23], s[22:23], s[20:21]
	s_delay_alu instid0(SALU_CYCLE_1)
	v_cmp_ge_i64_e32 vcc_lo, s[22:23], v[2:3]
	s_cbranch_vccnz .LBB58_51
.LBB58_25:                              ; =>This Inner Loop Header: Depth=1
	v_add_nc_u64_e32 v[12:13], s[22:23], v[0:1]
	v_mov_b64_e32 v[24:25], 0
	v_mov_b64_e32 v[18:19], 0
	s_mov_b32 s0, exec_lo
	s_delay_alu instid0(VALU_DEP_3)
	v_cmpx_lt_i64_e64 v[12:13], v[2:3]
	s_cbranch_execz .LBB58_27
; %bb.26:                               ;   in Loop: Header=BB58_25 Depth=1
	v_lshlrev_b64_e32 v[8:9], 3, v[12:13]
	s_delay_alu instid0(VALU_DEP_1)
	v_add_nc_u64_e32 v[10:11], s[4:5], v[8:9]
	v_add_nc_u64_e32 v[8:9], s[6:7], v[8:9]
	global_load_b64 v[18:19], v[10:11], off
	global_load_b64 v[24:25], v[8:9], off
.LBB58_27:                              ;   in Loop: Header=BB58_25 Depth=1
	s_wait_xcnt 0x0
	s_or_b32 exec_lo, exec_lo, s0
	v_add_nc_u64_e32 v[16:17], s[2:3], v[12:13]
	v_add_nc_u64_e32 v[10:11], s[14:15], v[12:13]
	;; [unrolled: 1-line block ×3, first 2 shown]
	s_mov_b32 s0, exec_lo
	s_delay_alu instid0(VALU_DEP_3) | instskip(NEXT) | instid1(VALU_DEP_3)
	v_lshlrev_b64_e32 v[14:15], 3, v[16:17]
	v_lshlrev_b64_e32 v[22:23], 3, v[10:11]
	s_delay_alu instid0(VALU_DEP_3) | instskip(NEXT) | instid1(VALU_DEP_3)
	v_lshlrev_b64_e32 v[26:27], 3, v[8:9]
	v_add_nc_u64_e32 v[20:21], s[6:7], v[14:15]
	v_add_nc_u64_e32 v[34:35], s[4:5], v[14:15]
	s_delay_alu instid0(VALU_DEP_4)
	v_add_nc_u64_e32 v[36:37], s[4:5], v[22:23]
	v_add_nc_u64_e32 v[38:39], s[6:7], v[22:23]
	;; [unrolled: 1-line block ×4, first 2 shown]
	global_load_b64 v[28:29], v[20:21], off
	s_clause 0x1
	global_load_b64 v[22:23], v[34:35], off
	global_load_b64 v[20:21], v[36:37], off
	;; [unrolled: 1-line block ×5, first 2 shown]
                                        ; implicit-def: $vgpr26_vgpr27
	s_wait_loadcnt 0x5
	v_or_b32_e32 v7, s13, v29
	s_wait_xcnt 0x0
	s_delay_alu instid0(VALU_DEP_1)
	v_cmpx_ne_u64_e32 0, v[6:7]
	s_xor_b32 s26, exec_lo, s0
	s_cbranch_execz .LBB58_29
; %bb.28:                               ;   in Loop: Header=BB58_25 Depth=1
	v_dual_mov_b32 v35, v6 :: v_dual_ashrrev_i32 v26, 31, v29
	v_dual_mov_b32 v43, v6 :: v_dual_mov_b32 v45, v6
	s_mov_b32 s25, s24
	s_delay_alu instid0(VALU_DEP_2) | instskip(SKIP_1) | instid1(SALU_CYCLE_1)
	v_mov_b32_e32 v27, v26
	s_add_nc_u64 s[28:29], s[12:13], s[24:25]
	s_xor_b64 s[28:29], s[28:29], s[24:25]
	s_delay_alu instid0(SALU_CYCLE_1) | instskip(NEXT) | instid1(VALU_DEP_1)
	s_and_b64 s[30:31], s[28:29], s[18:19]
	v_add_nc_u64_e32 v[28:29], v[28:29], v[26:27]
	s_mov_b32 s0, s29
	s_delay_alu instid0(VALU_DEP_1) | instskip(NEXT) | instid1(VALU_DEP_2)
	v_xor_b32_e32 v28, v28, v26
	v_xor_b32_e32 v29, v29, v26
	s_delay_alu instid0(VALU_DEP_2) | instskip(NEXT) | instid1(VALU_DEP_2)
	v_cvt_f32_u32_e32 v7, v28
	v_cvt_f32_u32_e32 v27, v29
	s_delay_alu instid0(VALU_DEP_1) | instskip(NEXT) | instid1(VALU_DEP_1)
	v_fmac_f32_e32 v7, 0x4f800000, v27
	v_rcp_f32_e32 v7, v7
	v_nop
	s_delay_alu instid0(TRANS32_DEP_1) | instskip(NEXT) | instid1(VALU_DEP_1)
	v_mul_f32_e32 v7, 0x5f7ffffc, v7
	v_mul_f32_e32 v27, 0x2f800000, v7
	s_delay_alu instid0(VALU_DEP_1) | instskip(NEXT) | instid1(VALU_DEP_1)
	v_trunc_f32_e32 v27, v27
	v_fmac_f32_e32 v7, 0xcf800000, v27
	v_cvt_u32_f32_e32 v39, v27
	s_delay_alu instid0(VALU_DEP_2) | instskip(NEXT) | instid1(VALU_DEP_1)
	v_cvt_u32_f32_e32 v34, v7
	v_dual_mov_b32 v44, v39 :: v_dual_mov_b32 v38, v34
	v_sub_nc_u64_e32 v[36:37], 0, v[28:29]
	s_delay_alu instid0(VALU_DEP_1) | instskip(NEXT) | instid1(VALU_DEP_1)
	v_mul_u64_e32 v[40:41], v[36:37], v[38:39]
	v_dual_mov_b32 v42, v41 :: v_dual_mov_b32 v41, v6
	s_delay_alu instid0(VALU_DEP_1) | instskip(NEXT) | instid1(VALU_DEP_2)
	v_mul_u64_e32 v[46:47], v[34:35], v[42:43]
	v_mul_u64_e32 v[48:49], v[44:45], v[40:41]
	;; [unrolled: 1-line block ×3, first 2 shown]
	v_mul_hi_u32 v40, v34, v40
	s_delay_alu instid0(VALU_DEP_1) | instskip(NEXT) | instid1(VALU_DEP_1)
	v_add_nc_u64_e32 v[40:41], v[40:41], v[46:47]
	v_add_co_u32 v7, vcc_lo, v40, v48
	s_delay_alu instid0(VALU_DEP_2) | instskip(SKIP_1) | instid1(VALU_DEP_1)
	v_add_co_ci_u32_e32 v44, vcc_lo, v41, v49, vcc_lo
	v_add_co_ci_u32_e32 v43, vcc_lo, 0, v43, vcc_lo
	v_add_nc_u64_e32 v[40:41], v[44:45], v[42:43]
	s_delay_alu instid0(VALU_DEP_1) | instskip(NEXT) | instid1(VALU_DEP_1)
	v_add_co_u32 v34, vcc_lo, v34, v40
	v_add_co_ci_u32_e64 v38, null, v39, v41, vcc_lo
	v_dual_mov_b32 v41, v6 :: v_dual_mov_b32 v39, v6
	s_delay_alu instid0(VALU_DEP_2) | instskip(NEXT) | instid1(VALU_DEP_1)
	v_mov_b32_e32 v35, v38
	v_mul_u64_e32 v[36:37], v[36:37], v[34:35]
	s_delay_alu instid0(VALU_DEP_1) | instskip(NEXT) | instid1(VALU_DEP_2)
	v_dual_mov_b32 v35, v6 :: v_dual_mov_b32 v40, v37
	v_dual_mov_b32 v44, v36 :: v_dual_mov_b32 v37, v6
	v_mul_hi_u32 v36, v34, v36
	s_delay_alu instid0(VALU_DEP_3) | instskip(NEXT) | instid1(VALU_DEP_3)
	v_mul_u64_e32 v[42:43], v[34:35], v[40:41]
	v_mul_u64_e32 v[44:45], v[38:39], v[44:45]
	;; [unrolled: 1-line block ×3, first 2 shown]
	s_delay_alu instid0(VALU_DEP_3) | instskip(SKIP_1) | instid1(VALU_DEP_2)
	v_add_nc_u64_e32 v[36:37], v[36:37], v[42:43]
	v_mov_b32_e32 v43, v6
	v_add_co_u32 v7, vcc_lo, v36, v44
	s_delay_alu instid0(VALU_DEP_3) | instskip(SKIP_1) | instid1(VALU_DEP_1)
	v_add_co_ci_u32_e32 v42, vcc_lo, v37, v45, vcc_lo
	v_add_co_ci_u32_e32 v41, vcc_lo, 0, v41, vcc_lo
	v_add_nc_u64_e32 v[36:37], v[42:43], v[40:41]
	s_delay_alu instid0(VALU_DEP_1) | instskip(NEXT) | instid1(VALU_DEP_1)
	v_add_co_u32 v36, vcc_lo, v34, v36
	v_add_co_ci_u32_e64 v34, null, v38, v37, vcc_lo
	v_mov_b32_e32 v37, v6
	s_delay_alu instid0(VALU_DEP_2) | instskip(SKIP_1) | instid1(VALU_DEP_3)
	v_mul_u64_e32 v[38:39], s[30:31], v[34:35]
	v_mul_u64_e32 v[34:35], s[0:1], v[34:35]
	;; [unrolled: 1-line block ×3, first 2 shown]
	v_mul_hi_u32 v36, s28, v36
	s_delay_alu instid0(VALU_DEP_1) | instskip(SKIP_1) | instid1(VALU_DEP_2)
	v_add_nc_u64_e32 v[36:37], v[36:37], v[38:39]
	v_mov_b32_e32 v39, v6
	v_add_co_u32 v7, vcc_lo, v36, v40
	s_delay_alu instid0(VALU_DEP_3) | instskip(SKIP_1) | instid1(VALU_DEP_1)
	v_add_co_ci_u32_e32 v38, vcc_lo, v37, v41, vcc_lo
	v_add_co_ci_u32_e32 v35, vcc_lo, 0, v35, vcc_lo
	v_add_nc_u64_e32 v[34:35], v[38:39], v[34:35]
	s_delay_alu instid0(VALU_DEP_1) | instskip(SKIP_1) | instid1(VALU_DEP_2)
	v_mul_u64_e32 v[36:37], v[28:29], v[34:35]
	v_add_nc_u64_e32 v[38:39], 1, v[34:35]
	v_sub_nc_u32_e32 v7, s29, v37
	s_delay_alu instid0(VALU_DEP_3) | instskip(NEXT) | instid1(VALU_DEP_1)
	v_sub_co_u32 v27, vcc_lo, s28, v36
	v_sub_co_ci_u32_e64 v40, null, s29, v37, vcc_lo
	s_delay_alu instid0(VALU_DEP_3) | instskip(NEXT) | instid1(VALU_DEP_3)
	v_sub_co_ci_u32_e64 v7, null, v7, v29, vcc_lo
	v_sub_co_u32 v36, s0, v27, v28
	s_delay_alu instid0(VALU_DEP_1) | instskip(NEXT) | instid1(VALU_DEP_2)
	v_subrev_co_ci_u32_e64 v7, null, 0, v7, s0
	v_cmp_ge_u32_e32 vcc_lo, v36, v28
	v_cndmask_b32_e64 v36, 0, -1, vcc_lo
	s_delay_alu instid0(VALU_DEP_3)
	v_cmp_ge_u32_e32 vcc_lo, v7, v29
	v_cndmask_b32_e64 v37, 0, -1, vcc_lo
	v_cmp_ge_u32_e32 vcc_lo, v27, v28
	v_cndmask_b32_e64 v27, 0, -1, vcc_lo
	v_cmp_ge_u32_e32 vcc_lo, v40, v29
	v_cndmask_b32_e64 v28, 0, -1, vcc_lo
	v_cmp_eq_u32_e32 vcc_lo, v7, v29
	v_cndmask_b32_e32 v7, v37, v36, vcc_lo
	v_cmp_eq_u32_e32 vcc_lo, v40, v29
	v_add_nc_u64_e32 v[36:37], 2, v[34:35]
	v_cndmask_b32_e32 v27, v28, v27, vcc_lo
	s_delay_alu instid0(VALU_DEP_4) | instskip(NEXT) | instid1(VALU_DEP_2)
	v_cmp_ne_u32_e32 vcc_lo, 0, v7
	v_cmp_ne_u32_e64 s0, 0, v27
	s_delay_alu instid0(VALU_DEP_4) | instskip(NEXT) | instid1(VALU_DEP_1)
	v_dual_cndmask_b32 v7, v39, v37, vcc_lo :: v_dual_cndmask_b32 v27, v38, v36, vcc_lo
	v_dual_cndmask_b32 v7, v35, v7, s0 :: v_dual_bitop2_b32 v26, s24, v26 bitop3:0x14
	s_delay_alu instid0(VALU_DEP_1) | instskip(NEXT) | instid1(VALU_DEP_1)
	v_dual_cndmask_b32 v28, v34, v27, s0 :: v_dual_bitop2_b32 v29, v7, v26 bitop3:0x14
	v_dual_mov_b32 v27, v26 :: v_dual_bitop2_b32 v28, v28, v26 bitop3:0x14
	s_delay_alu instid0(VALU_DEP_1)
	v_sub_nc_u64_e32 v[26:27], v[28:29], v[26:27]
                                        ; implicit-def: $vgpr28_vgpr29
.LBB58_29:                              ;   in Loop: Header=BB58_25 Depth=1
	s_and_not1_saveexec_b32 s0, s26
	s_cbranch_execz .LBB58_31
; %bb.30:                               ;   in Loop: Header=BB58_25 Depth=1
	v_cvt_f32_u32_e32 v7, v28
	v_sub_nc_u32_e32 v26, 0, v28
	s_delay_alu instid0(VALU_DEP_2) | instskip(SKIP_1) | instid1(TRANS32_DEP_1)
	v_rcp_iflag_f32_e32 v7, v7
	v_nop
	v_mul_f32_e32 v7, 0x4f7ffffe, v7
	s_delay_alu instid0(VALU_DEP_1) | instskip(NEXT) | instid1(VALU_DEP_1)
	v_cvt_u32_f32_e32 v7, v7
	v_mul_lo_u32 v26, v26, v7
	s_delay_alu instid0(VALU_DEP_1) | instskip(NEXT) | instid1(VALU_DEP_1)
	v_mul_hi_u32 v26, v7, v26
	v_add_nc_u32_e32 v7, v7, v26
	s_delay_alu instid0(VALU_DEP_1) | instskip(NEXT) | instid1(VALU_DEP_1)
	v_mul_hi_u32 v7, s12, v7
	v_mul_lo_u32 v26, v7, v28
	s_delay_alu instid0(VALU_DEP_1) | instskip(NEXT) | instid1(VALU_DEP_1)
	v_dual_sub_nc_u32 v26, s12, v26 :: v_dual_add_nc_u32 v27, 1, v7
	v_sub_nc_u32_e32 v29, v26, v28
	v_cmp_ge_u32_e32 vcc_lo, v26, v28
	s_delay_alu instid0(VALU_DEP_2) | instskip(NEXT) | instid1(VALU_DEP_1)
	v_dual_cndmask_b32 v26, v26, v29 :: v_dual_cndmask_b32 v7, v7, v27
	v_cmp_ge_u32_e32 vcc_lo, v26, v28
	s_delay_alu instid0(VALU_DEP_2) | instskip(NEXT) | instid1(VALU_DEP_1)
	v_add_nc_u32_e32 v27, 1, v7
	v_dual_cndmask_b32 v26, v7, v27 :: v_dual_mov_b32 v27, v6
.LBB58_31:                              ;   in Loop: Header=BB58_25 Depth=1
	s_or_b32 exec_lo, exec_lo, s0
	s_wait_loadcnt 0x2
	v_or_b32_e32 v7, s13, v33
                                        ; implicit-def: $vgpr28_vgpr29
	s_mov_b32 s0, exec_lo
	s_delay_alu instid0(VALU_DEP_1)
	v_cmpx_ne_u64_e32 0, v[6:7]
	s_xor_b32 s26, exec_lo, s0
	s_cbranch_execz .LBB58_33
; %bb.32:                               ;   in Loop: Header=BB58_25 Depth=1
	v_dual_mov_b32 v35, v6 :: v_dual_ashrrev_i32 v28, 31, v33
	v_dual_mov_b32 v43, v6 :: v_dual_mov_b32 v45, v6
	s_mov_b32 s25, s24
	s_delay_alu instid0(VALU_DEP_2) | instskip(SKIP_1) | instid1(SALU_CYCLE_1)
	v_mov_b32_e32 v29, v28
	s_add_nc_u64 s[28:29], s[12:13], s[24:25]
	s_xor_b64 s[28:29], s[28:29], s[24:25]
	s_delay_alu instid0(SALU_CYCLE_1) | instskip(NEXT) | instid1(VALU_DEP_1)
	s_and_b64 s[30:31], s[28:29], s[18:19]
	v_add_nc_u64_e32 v[32:33], v[32:33], v[28:29]
	s_mov_b32 s0, s29
	s_delay_alu instid0(VALU_DEP_1) | instskip(NEXT) | instid1(VALU_DEP_2)
	v_xor_b32_e32 v32, v32, v28
	v_xor_b32_e32 v33, v33, v28
	s_delay_alu instid0(VALU_DEP_2) | instskip(NEXT) | instid1(VALU_DEP_2)
	v_cvt_f32_u32_e32 v7, v32
	v_cvt_f32_u32_e32 v29, v33
	s_delay_alu instid0(VALU_DEP_1) | instskip(NEXT) | instid1(VALU_DEP_1)
	v_fmac_f32_e32 v7, 0x4f800000, v29
	v_rcp_f32_e32 v7, v7
	v_nop
	s_delay_alu instid0(TRANS32_DEP_1) | instskip(NEXT) | instid1(VALU_DEP_1)
	v_mul_f32_e32 v7, 0x5f7ffffc, v7
	v_mul_f32_e32 v29, 0x2f800000, v7
	s_delay_alu instid0(VALU_DEP_1) | instskip(NEXT) | instid1(VALU_DEP_1)
	v_trunc_f32_e32 v29, v29
	v_fmac_f32_e32 v7, 0xcf800000, v29
	v_cvt_u32_f32_e32 v39, v29
	s_delay_alu instid0(VALU_DEP_2) | instskip(NEXT) | instid1(VALU_DEP_1)
	v_cvt_u32_f32_e32 v34, v7
	v_dual_mov_b32 v44, v39 :: v_dual_mov_b32 v38, v34
	v_sub_nc_u64_e32 v[36:37], 0, v[32:33]
	s_delay_alu instid0(VALU_DEP_1) | instskip(NEXT) | instid1(VALU_DEP_1)
	v_mul_u64_e32 v[40:41], v[36:37], v[38:39]
	v_dual_mov_b32 v42, v41 :: v_dual_mov_b32 v41, v6
	s_delay_alu instid0(VALU_DEP_1) | instskip(NEXT) | instid1(VALU_DEP_2)
	v_mul_u64_e32 v[46:47], v[34:35], v[42:43]
	v_mul_u64_e32 v[48:49], v[44:45], v[40:41]
	v_mul_u64_e32 v[42:43], v[44:45], v[42:43]
	v_mul_hi_u32 v40, v34, v40
	s_delay_alu instid0(VALU_DEP_1) | instskip(NEXT) | instid1(VALU_DEP_1)
	v_add_nc_u64_e32 v[40:41], v[40:41], v[46:47]
	v_add_co_u32 v7, vcc_lo, v40, v48
	s_delay_alu instid0(VALU_DEP_2) | instskip(SKIP_1) | instid1(VALU_DEP_1)
	v_add_co_ci_u32_e32 v44, vcc_lo, v41, v49, vcc_lo
	v_add_co_ci_u32_e32 v43, vcc_lo, 0, v43, vcc_lo
	v_add_nc_u64_e32 v[40:41], v[44:45], v[42:43]
	s_delay_alu instid0(VALU_DEP_1) | instskip(NEXT) | instid1(VALU_DEP_1)
	v_add_co_u32 v34, vcc_lo, v34, v40
	v_add_co_ci_u32_e64 v38, null, v39, v41, vcc_lo
	v_dual_mov_b32 v41, v6 :: v_dual_mov_b32 v39, v6
	s_delay_alu instid0(VALU_DEP_2) | instskip(NEXT) | instid1(VALU_DEP_1)
	v_mov_b32_e32 v35, v38
	v_mul_u64_e32 v[36:37], v[36:37], v[34:35]
	s_delay_alu instid0(VALU_DEP_1) | instskip(NEXT) | instid1(VALU_DEP_2)
	v_dual_mov_b32 v35, v6 :: v_dual_mov_b32 v40, v37
	v_dual_mov_b32 v44, v36 :: v_dual_mov_b32 v37, v6
	v_mul_hi_u32 v36, v34, v36
	s_delay_alu instid0(VALU_DEP_3) | instskip(NEXT) | instid1(VALU_DEP_3)
	v_mul_u64_e32 v[42:43], v[34:35], v[40:41]
	v_mul_u64_e32 v[44:45], v[38:39], v[44:45]
	;; [unrolled: 1-line block ×3, first 2 shown]
	s_delay_alu instid0(VALU_DEP_3) | instskip(SKIP_1) | instid1(VALU_DEP_2)
	v_add_nc_u64_e32 v[36:37], v[36:37], v[42:43]
	v_mov_b32_e32 v43, v6
	v_add_co_u32 v7, vcc_lo, v36, v44
	s_delay_alu instid0(VALU_DEP_3) | instskip(SKIP_1) | instid1(VALU_DEP_1)
	v_add_co_ci_u32_e32 v42, vcc_lo, v37, v45, vcc_lo
	v_add_co_ci_u32_e32 v41, vcc_lo, 0, v41, vcc_lo
	v_add_nc_u64_e32 v[36:37], v[42:43], v[40:41]
	s_delay_alu instid0(VALU_DEP_1) | instskip(NEXT) | instid1(VALU_DEP_1)
	v_add_co_u32 v36, vcc_lo, v34, v36
	v_add_co_ci_u32_e64 v34, null, v38, v37, vcc_lo
	v_mov_b32_e32 v37, v6
	s_delay_alu instid0(VALU_DEP_2) | instskip(SKIP_1) | instid1(VALU_DEP_3)
	v_mul_u64_e32 v[38:39], s[30:31], v[34:35]
	v_mul_u64_e32 v[34:35], s[0:1], v[34:35]
	;; [unrolled: 1-line block ×3, first 2 shown]
	v_mul_hi_u32 v36, s28, v36
	s_delay_alu instid0(VALU_DEP_1) | instskip(SKIP_1) | instid1(VALU_DEP_2)
	v_add_nc_u64_e32 v[36:37], v[36:37], v[38:39]
	v_mov_b32_e32 v39, v6
	v_add_co_u32 v7, vcc_lo, v36, v40
	s_delay_alu instid0(VALU_DEP_3) | instskip(SKIP_1) | instid1(VALU_DEP_1)
	v_add_co_ci_u32_e32 v38, vcc_lo, v37, v41, vcc_lo
	v_add_co_ci_u32_e32 v35, vcc_lo, 0, v35, vcc_lo
	v_add_nc_u64_e32 v[34:35], v[38:39], v[34:35]
	s_delay_alu instid0(VALU_DEP_1) | instskip(SKIP_1) | instid1(VALU_DEP_2)
	v_mul_u64_e32 v[36:37], v[32:33], v[34:35]
	v_add_nc_u64_e32 v[38:39], 1, v[34:35]
	v_sub_nc_u32_e32 v7, s29, v37
	s_delay_alu instid0(VALU_DEP_3) | instskip(NEXT) | instid1(VALU_DEP_1)
	v_sub_co_u32 v29, vcc_lo, s28, v36
	v_sub_co_ci_u32_e64 v40, null, s29, v37, vcc_lo
	s_delay_alu instid0(VALU_DEP_3) | instskip(NEXT) | instid1(VALU_DEP_3)
	v_sub_co_ci_u32_e64 v7, null, v7, v33, vcc_lo
	v_sub_co_u32 v36, s0, v29, v32
	s_delay_alu instid0(VALU_DEP_1) | instskip(NEXT) | instid1(VALU_DEP_2)
	v_subrev_co_ci_u32_e64 v7, null, 0, v7, s0
	v_cmp_ge_u32_e32 vcc_lo, v36, v32
	v_cndmask_b32_e64 v36, 0, -1, vcc_lo
	s_delay_alu instid0(VALU_DEP_3)
	v_cmp_ge_u32_e32 vcc_lo, v7, v33
	v_cndmask_b32_e64 v37, 0, -1, vcc_lo
	v_cmp_ge_u32_e32 vcc_lo, v29, v32
	v_cndmask_b32_e64 v29, 0, -1, vcc_lo
	;; [unrolled: 2-line block ×3, first 2 shown]
	v_cmp_eq_u32_e32 vcc_lo, v7, v33
	v_cndmask_b32_e32 v7, v37, v36, vcc_lo
	v_cmp_eq_u32_e32 vcc_lo, v40, v33
	v_add_nc_u64_e32 v[36:37], 2, v[34:35]
	v_cndmask_b32_e32 v29, v32, v29, vcc_lo
	s_delay_alu instid0(VALU_DEP_4) | instskip(NEXT) | instid1(VALU_DEP_2)
	v_cmp_ne_u32_e32 vcc_lo, 0, v7
	v_cmp_ne_u32_e64 s0, 0, v29
	s_delay_alu instid0(VALU_DEP_4) | instskip(NEXT) | instid1(VALU_DEP_1)
	v_dual_cndmask_b32 v7, v39, v37, vcc_lo :: v_dual_cndmask_b32 v29, v38, v36, vcc_lo
	v_dual_cndmask_b32 v7, v35, v7, s0 :: v_dual_bitop2_b32 v28, s24, v28 bitop3:0x14
	s_delay_alu instid0(VALU_DEP_1) | instskip(NEXT) | instid1(VALU_DEP_2)
	v_dual_cndmask_b32 v32, v34, v29, s0 :: v_dual_mov_b32 v29, v28
	v_xor_b32_e32 v33, v7, v28
	s_delay_alu instid0(VALU_DEP_2) | instskip(NEXT) | instid1(VALU_DEP_1)
	v_xor_b32_e32 v32, v32, v28
	v_sub_nc_u64_e32 v[28:29], v[32:33], v[28:29]
                                        ; implicit-def: $vgpr32_vgpr33
.LBB58_33:                              ;   in Loop: Header=BB58_25 Depth=1
	s_and_not1_saveexec_b32 s0, s26
	s_cbranch_execz .LBB58_35
; %bb.34:                               ;   in Loop: Header=BB58_25 Depth=1
	v_cvt_f32_u32_e32 v7, v32
	v_sub_nc_u32_e32 v28, 0, v32
	s_delay_alu instid0(VALU_DEP_2) | instskip(SKIP_1) | instid1(TRANS32_DEP_1)
	v_rcp_iflag_f32_e32 v7, v7
	v_nop
	v_mul_f32_e32 v7, 0x4f7ffffe, v7
	s_delay_alu instid0(VALU_DEP_1) | instskip(NEXT) | instid1(VALU_DEP_1)
	v_cvt_u32_f32_e32 v7, v7
	v_mul_lo_u32 v28, v28, v7
	s_delay_alu instid0(VALU_DEP_1) | instskip(NEXT) | instid1(VALU_DEP_1)
	v_mul_hi_u32 v28, v7, v28
	v_add_nc_u32_e32 v7, v7, v28
	s_delay_alu instid0(VALU_DEP_1) | instskip(NEXT) | instid1(VALU_DEP_1)
	v_mul_hi_u32 v7, s12, v7
	v_mul_lo_u32 v28, v7, v32
	s_delay_alu instid0(VALU_DEP_1) | instskip(NEXT) | instid1(VALU_DEP_1)
	v_dual_sub_nc_u32 v28, s12, v28 :: v_dual_add_nc_u32 v29, 1, v7
	v_sub_nc_u32_e32 v33, v28, v32
	v_cmp_ge_u32_e32 vcc_lo, v28, v32
	s_delay_alu instid0(VALU_DEP_3) | instskip(NEXT) | instid1(VALU_DEP_1)
	v_cndmask_b32_e32 v7, v7, v29, vcc_lo
	v_dual_cndmask_b32 v28, v28, v33 :: v_dual_add_nc_u32 v29, 1, v7
	s_delay_alu instid0(VALU_DEP_1) | instskip(NEXT) | instid1(VALU_DEP_2)
	v_cmp_ge_u32_e32 vcc_lo, v28, v32
	v_dual_cndmask_b32 v28, v7, v29 :: v_dual_mov_b32 v29, v6
.LBB58_35:                              ;   in Loop: Header=BB58_25 Depth=1
	s_or_b32 exec_lo, exec_lo, s0
	s_wait_loadcnt 0x0
	v_or_b32_e32 v7, s13, v31
                                        ; implicit-def: $vgpr32_vgpr33
	s_mov_b32 s0, exec_lo
	s_delay_alu instid0(VALU_DEP_1)
	v_cmpx_ne_u64_e32 0, v[6:7]
	s_xor_b32 s26, exec_lo, s0
	s_cbranch_execnz .LBB58_41
; %bb.36:                               ;   in Loop: Header=BB58_25 Depth=1
	s_and_not1_saveexec_b32 s0, s26
	s_cbranch_execnz .LBB58_42
.LBB58_37:                              ;   in Loop: Header=BB58_25 Depth=1
	s_or_b32 exec_lo, exec_lo, s0
	s_delay_alu instid0(SALU_CYCLE_1)
	s_mov_b32 s26, exec_lo
	v_cmpx_lt_u64_e64 v[12:13], v[4:5]
	s_cbranch_execnz .LBB58_43
.LBB58_38:                              ;   in Loop: Header=BB58_25 Depth=1
	s_or_b32 exec_lo, exec_lo, s26
	s_delay_alu instid0(SALU_CYCLE_1)
	s_mov_b32 s0, exec_lo
	v_cmpx_lt_u64_e64 v[16:17], v[4:5]
	s_cbranch_execnz .LBB58_48
.LBB58_39:                              ;   in Loop: Header=BB58_25 Depth=1
	s_or_b32 exec_lo, exec_lo, s0
	s_delay_alu instid0(SALU_CYCLE_1)
	s_mov_b32 s0, exec_lo
	v_cmpx_lt_u64_e64 v[10:11], v[4:5]
	s_cbranch_execnz .LBB58_49
.LBB58_40:                              ;   in Loop: Header=BB58_25 Depth=1
	s_or_b32 exec_lo, exec_lo, s0
	s_delay_alu instid0(SALU_CYCLE_1)
	s_mov_b32 s0, exec_lo
	v_cmpx_lt_u64_e64 v[8:9], v[4:5]
	s_cbranch_execz .LBB58_24
	s_branch .LBB58_50
.LBB58_41:                              ;   in Loop: Header=BB58_25 Depth=1
	v_dual_mov_b32 v35, v6 :: v_dual_ashrrev_i32 v32, 31, v31
	v_dual_mov_b32 v43, v6 :: v_dual_mov_b32 v45, v6
	s_mov_b32 s25, s24
	s_delay_alu instid0(VALU_DEP_2) | instskip(SKIP_1) | instid1(SALU_CYCLE_1)
	v_mov_b32_e32 v33, v32
	s_add_nc_u64 s[28:29], s[12:13], s[24:25]
	s_xor_b64 s[28:29], s[28:29], s[24:25]
	s_delay_alu instid0(SALU_CYCLE_1) | instskip(NEXT) | instid1(VALU_DEP_1)
	s_and_b64 s[30:31], s[28:29], s[18:19]
	v_add_nc_u64_e32 v[30:31], v[30:31], v[32:33]
	s_mov_b32 s0, s29
	s_delay_alu instid0(VALU_DEP_1) | instskip(NEXT) | instid1(VALU_DEP_2)
	v_xor_b32_e32 v30, v30, v32
	v_xor_b32_e32 v31, v31, v32
	s_delay_alu instid0(VALU_DEP_2) | instskip(NEXT) | instid1(VALU_DEP_2)
	v_cvt_f32_u32_e32 v7, v30
	v_cvt_f32_u32_e32 v33, v31
	s_delay_alu instid0(VALU_DEP_1) | instskip(NEXT) | instid1(VALU_DEP_1)
	v_fmac_f32_e32 v7, 0x4f800000, v33
	v_rcp_f32_e32 v7, v7
	v_nop
	s_delay_alu instid0(TRANS32_DEP_1) | instskip(NEXT) | instid1(VALU_DEP_1)
	v_mul_f32_e32 v7, 0x5f7ffffc, v7
	v_mul_f32_e32 v33, 0x2f800000, v7
	s_delay_alu instid0(VALU_DEP_1) | instskip(NEXT) | instid1(VALU_DEP_1)
	v_trunc_f32_e32 v33, v33
	v_fmac_f32_e32 v7, 0xcf800000, v33
	v_cvt_u32_f32_e32 v39, v33
	s_delay_alu instid0(VALU_DEP_2) | instskip(NEXT) | instid1(VALU_DEP_1)
	v_cvt_u32_f32_e32 v34, v7
	v_dual_mov_b32 v44, v39 :: v_dual_mov_b32 v38, v34
	v_sub_nc_u64_e32 v[36:37], 0, v[30:31]
	s_delay_alu instid0(VALU_DEP_1) | instskip(NEXT) | instid1(VALU_DEP_1)
	v_mul_u64_e32 v[40:41], v[36:37], v[38:39]
	v_dual_mov_b32 v42, v41 :: v_dual_mov_b32 v41, v6
	s_delay_alu instid0(VALU_DEP_1) | instskip(NEXT) | instid1(VALU_DEP_2)
	v_mul_u64_e32 v[46:47], v[34:35], v[42:43]
	v_mul_u64_e32 v[48:49], v[44:45], v[40:41]
	;; [unrolled: 1-line block ×3, first 2 shown]
	v_mul_hi_u32 v40, v34, v40
	s_delay_alu instid0(VALU_DEP_1) | instskip(NEXT) | instid1(VALU_DEP_1)
	v_add_nc_u64_e32 v[40:41], v[40:41], v[46:47]
	v_add_co_u32 v7, vcc_lo, v40, v48
	s_delay_alu instid0(VALU_DEP_2) | instskip(SKIP_1) | instid1(VALU_DEP_1)
	v_add_co_ci_u32_e32 v44, vcc_lo, v41, v49, vcc_lo
	v_add_co_ci_u32_e32 v43, vcc_lo, 0, v43, vcc_lo
	v_add_nc_u64_e32 v[40:41], v[44:45], v[42:43]
	s_delay_alu instid0(VALU_DEP_1) | instskip(NEXT) | instid1(VALU_DEP_1)
	v_add_co_u32 v34, vcc_lo, v34, v40
	v_add_co_ci_u32_e64 v38, null, v39, v41, vcc_lo
	v_dual_mov_b32 v41, v6 :: v_dual_mov_b32 v39, v6
	s_delay_alu instid0(VALU_DEP_2) | instskip(NEXT) | instid1(VALU_DEP_1)
	v_mov_b32_e32 v35, v38
	v_mul_u64_e32 v[36:37], v[36:37], v[34:35]
	s_delay_alu instid0(VALU_DEP_1) | instskip(NEXT) | instid1(VALU_DEP_2)
	v_dual_mov_b32 v35, v6 :: v_dual_mov_b32 v40, v37
	v_dual_mov_b32 v44, v36 :: v_dual_mov_b32 v37, v6
	v_mul_hi_u32 v36, v34, v36
	s_delay_alu instid0(VALU_DEP_3) | instskip(NEXT) | instid1(VALU_DEP_3)
	v_mul_u64_e32 v[42:43], v[34:35], v[40:41]
	v_mul_u64_e32 v[44:45], v[38:39], v[44:45]
	;; [unrolled: 1-line block ×3, first 2 shown]
	s_delay_alu instid0(VALU_DEP_3) | instskip(SKIP_1) | instid1(VALU_DEP_2)
	v_add_nc_u64_e32 v[36:37], v[36:37], v[42:43]
	v_mov_b32_e32 v43, v6
	v_add_co_u32 v7, vcc_lo, v36, v44
	s_delay_alu instid0(VALU_DEP_3) | instskip(SKIP_1) | instid1(VALU_DEP_1)
	v_add_co_ci_u32_e32 v42, vcc_lo, v37, v45, vcc_lo
	v_add_co_ci_u32_e32 v41, vcc_lo, 0, v41, vcc_lo
	v_add_nc_u64_e32 v[36:37], v[42:43], v[40:41]
	s_delay_alu instid0(VALU_DEP_1) | instskip(NEXT) | instid1(VALU_DEP_1)
	v_add_co_u32 v36, vcc_lo, v34, v36
	v_add_co_ci_u32_e64 v34, null, v38, v37, vcc_lo
	v_mov_b32_e32 v37, v6
	s_delay_alu instid0(VALU_DEP_2) | instskip(SKIP_1) | instid1(VALU_DEP_3)
	v_mul_u64_e32 v[38:39], s[30:31], v[34:35]
	v_mul_u64_e32 v[34:35], s[0:1], v[34:35]
	;; [unrolled: 1-line block ×3, first 2 shown]
	v_mul_hi_u32 v36, s28, v36
	s_delay_alu instid0(VALU_DEP_1) | instskip(SKIP_1) | instid1(VALU_DEP_2)
	v_add_nc_u64_e32 v[36:37], v[36:37], v[38:39]
	v_mov_b32_e32 v39, v6
	v_add_co_u32 v7, vcc_lo, v36, v40
	s_delay_alu instid0(VALU_DEP_3) | instskip(SKIP_1) | instid1(VALU_DEP_1)
	v_add_co_ci_u32_e32 v38, vcc_lo, v37, v41, vcc_lo
	v_add_co_ci_u32_e32 v35, vcc_lo, 0, v35, vcc_lo
	v_add_nc_u64_e32 v[34:35], v[38:39], v[34:35]
	s_delay_alu instid0(VALU_DEP_1) | instskip(SKIP_1) | instid1(VALU_DEP_2)
	v_mul_u64_e32 v[36:37], v[30:31], v[34:35]
	v_add_nc_u64_e32 v[38:39], 1, v[34:35]
	v_sub_nc_u32_e32 v7, s29, v37
	s_delay_alu instid0(VALU_DEP_3) | instskip(NEXT) | instid1(VALU_DEP_1)
	v_sub_co_u32 v33, vcc_lo, s28, v36
	v_sub_co_ci_u32_e64 v40, null, s29, v37, vcc_lo
	s_delay_alu instid0(VALU_DEP_3) | instskip(NEXT) | instid1(VALU_DEP_3)
	v_sub_co_ci_u32_e64 v7, null, v7, v31, vcc_lo
	v_sub_co_u32 v36, s0, v33, v30
	s_delay_alu instid0(VALU_DEP_1) | instskip(NEXT) | instid1(VALU_DEP_2)
	v_subrev_co_ci_u32_e64 v7, null, 0, v7, s0
	v_cmp_ge_u32_e32 vcc_lo, v36, v30
	v_cndmask_b32_e64 v36, 0, -1, vcc_lo
	s_delay_alu instid0(VALU_DEP_3)
	v_cmp_ge_u32_e32 vcc_lo, v7, v31
	v_cndmask_b32_e64 v37, 0, -1, vcc_lo
	v_cmp_ge_u32_e32 vcc_lo, v33, v30
	v_cndmask_b32_e64 v30, 0, -1, vcc_lo
	;; [unrolled: 2-line block ×3, first 2 shown]
	v_cmp_eq_u32_e32 vcc_lo, v7, v31
	v_cndmask_b32_e32 v7, v37, v36, vcc_lo
	v_cmp_eq_u32_e32 vcc_lo, v40, v31
	v_add_nc_u64_e32 v[36:37], 2, v[34:35]
	v_cndmask_b32_e32 v30, v33, v30, vcc_lo
	s_delay_alu instid0(VALU_DEP_4) | instskip(NEXT) | instid1(VALU_DEP_3)
	v_cmp_ne_u32_e32 vcc_lo, 0, v7
	v_cndmask_b32_e32 v7, v39, v37, vcc_lo
	s_delay_alu instid0(VALU_DEP_3) | instskip(SKIP_1) | instid1(VALU_DEP_2)
	v_cmp_ne_u32_e64 s0, 0, v30
	v_cndmask_b32_e32 v31, v38, v36, vcc_lo
	v_dual_cndmask_b32 v7, v35, v7, s0 :: v_dual_bitop2_b32 v30, s24, v32 bitop3:0x14
	s_delay_alu instid0(VALU_DEP_1) | instskip(NEXT) | instid1(VALU_DEP_1)
	v_dual_cndmask_b32 v32, v34, v31, s0 :: v_dual_bitop2_b32 v33, v7, v30 bitop3:0x14
	v_dual_mov_b32 v31, v30 :: v_dual_bitop2_b32 v32, v32, v30 bitop3:0x14
	s_delay_alu instid0(VALU_DEP_1)
	v_sub_nc_u64_e32 v[32:33], v[32:33], v[30:31]
                                        ; implicit-def: $vgpr30_vgpr31
	s_and_not1_saveexec_b32 s0, s26
	s_cbranch_execz .LBB58_37
.LBB58_42:                              ;   in Loop: Header=BB58_25 Depth=1
	v_cvt_f32_u32_e32 v7, v30
	v_sub_nc_u32_e32 v31, 0, v30
	s_delay_alu instid0(VALU_DEP_2) | instskip(SKIP_1) | instid1(TRANS32_DEP_1)
	v_rcp_iflag_f32_e32 v7, v7
	v_nop
	v_mul_f32_e32 v7, 0x4f7ffffe, v7
	s_delay_alu instid0(VALU_DEP_1) | instskip(NEXT) | instid1(VALU_DEP_1)
	v_cvt_u32_f32_e32 v7, v7
	v_mul_lo_u32 v31, v31, v7
	s_delay_alu instid0(VALU_DEP_1) | instskip(NEXT) | instid1(VALU_DEP_1)
	v_mul_hi_u32 v31, v7, v31
	v_add_nc_u32_e32 v7, v7, v31
	s_delay_alu instid0(VALU_DEP_1) | instskip(NEXT) | instid1(VALU_DEP_1)
	v_mul_hi_u32 v7, s12, v7
	v_mul_lo_u32 v31, v7, v30
	v_add_nc_u32_e32 v32, 1, v7
	s_delay_alu instid0(VALU_DEP_2) | instskip(NEXT) | instid1(VALU_DEP_1)
	v_sub_nc_u32_e32 v31, s12, v31
	v_cmp_ge_u32_e32 vcc_lo, v31, v30
	s_delay_alu instid0(VALU_DEP_3) | instskip(NEXT) | instid1(VALU_DEP_1)
	v_cndmask_b32_e32 v7, v7, v32, vcc_lo
	v_dual_sub_nc_u32 v33, v31, v30 :: v_dual_add_nc_u32 v32, 1, v7
	s_delay_alu instid0(VALU_DEP_1) | instskip(NEXT) | instid1(VALU_DEP_1)
	v_dual_cndmask_b32 v31, v31, v33, vcc_lo :: v_dual_mov_b32 v33, v6
	v_cmp_ge_u32_e32 vcc_lo, v31, v30
	s_delay_alu instid0(VALU_DEP_3) | instskip(SKIP_1) | instid1(SALU_CYCLE_1)
	v_cndmask_b32_e32 v32, v7, v32, vcc_lo
	s_or_b32 exec_lo, exec_lo, s0
	s_mov_b32 s26, exec_lo
	v_cmpx_lt_u64_e64 v[12:13], v[4:5]
	s_cbranch_execz .LBB58_38
.LBB58_43:                              ;   in Loop: Header=BB58_25 Depth=1
	v_or_b32_e32 v7, s13, v25
                                        ; implicit-def: $vgpr30_vgpr31
	s_mov_b32 s0, exec_lo
	s_delay_alu instid0(VALU_DEP_1)
	v_cmpx_ne_u64_e32 0, v[6:7]
	s_xor_b32 s27, exec_lo, s0
	s_cbranch_execz .LBB58_45
; %bb.44:                               ;   in Loop: Header=BB58_25 Depth=1
	v_dual_mov_b32 v35, v6 :: v_dual_ashrrev_i32 v30, 31, v25
	v_dual_mov_b32 v43, v6 :: v_dual_mov_b32 v45, v6
	s_mov_b32 s25, s24
	s_delay_alu instid0(VALU_DEP_2) | instskip(SKIP_1) | instid1(SALU_CYCLE_1)
	v_mov_b32_e32 v31, v30
	s_add_nc_u64 s[28:29], s[12:13], s[24:25]
	s_xor_b64 s[28:29], s[28:29], s[24:25]
	s_delay_alu instid0(SALU_CYCLE_1) | instskip(NEXT) | instid1(VALU_DEP_1)
	s_and_b64 s[30:31], s[28:29], s[18:19]
	v_add_nc_u64_e32 v[24:25], v[24:25], v[30:31]
	s_mov_b32 s0, s29
	s_delay_alu instid0(VALU_DEP_1) | instskip(NEXT) | instid1(VALU_DEP_2)
	v_xor_b32_e32 v24, v24, v30
	v_xor_b32_e32 v25, v25, v30
	s_delay_alu instid0(VALU_DEP_2) | instskip(NEXT) | instid1(VALU_DEP_2)
	v_cvt_f32_u32_e32 v7, v24
	v_cvt_f32_u32_e32 v31, v25
	s_delay_alu instid0(VALU_DEP_1) | instskip(NEXT) | instid1(VALU_DEP_1)
	v_fmac_f32_e32 v7, 0x4f800000, v31
	v_rcp_f32_e32 v7, v7
	v_nop
	s_delay_alu instid0(TRANS32_DEP_1) | instskip(NEXT) | instid1(VALU_DEP_1)
	v_mul_f32_e32 v7, 0x5f7ffffc, v7
	v_mul_f32_e32 v31, 0x2f800000, v7
	s_delay_alu instid0(VALU_DEP_1) | instskip(NEXT) | instid1(VALU_DEP_1)
	v_trunc_f32_e32 v31, v31
	v_fmac_f32_e32 v7, 0xcf800000, v31
	v_cvt_u32_f32_e32 v39, v31
	s_delay_alu instid0(VALU_DEP_2) | instskip(NEXT) | instid1(VALU_DEP_1)
	v_cvt_u32_f32_e32 v34, v7
	v_dual_mov_b32 v44, v39 :: v_dual_mov_b32 v38, v34
	v_sub_nc_u64_e32 v[36:37], 0, v[24:25]
	s_delay_alu instid0(VALU_DEP_1) | instskip(NEXT) | instid1(VALU_DEP_1)
	v_mul_u64_e32 v[40:41], v[36:37], v[38:39]
	v_dual_mov_b32 v42, v41 :: v_dual_mov_b32 v41, v6
	s_delay_alu instid0(VALU_DEP_1) | instskip(NEXT) | instid1(VALU_DEP_2)
	v_mul_u64_e32 v[46:47], v[34:35], v[42:43]
	v_mul_u64_e32 v[48:49], v[44:45], v[40:41]
	;; [unrolled: 1-line block ×3, first 2 shown]
	v_mul_hi_u32 v40, v34, v40
	s_delay_alu instid0(VALU_DEP_1) | instskip(NEXT) | instid1(VALU_DEP_1)
	v_add_nc_u64_e32 v[40:41], v[40:41], v[46:47]
	v_add_co_u32 v7, vcc_lo, v40, v48
	s_delay_alu instid0(VALU_DEP_2) | instskip(SKIP_1) | instid1(VALU_DEP_1)
	v_add_co_ci_u32_e32 v44, vcc_lo, v41, v49, vcc_lo
	v_add_co_ci_u32_e32 v43, vcc_lo, 0, v43, vcc_lo
	v_add_nc_u64_e32 v[40:41], v[44:45], v[42:43]
	s_delay_alu instid0(VALU_DEP_1) | instskip(NEXT) | instid1(VALU_DEP_1)
	v_add_co_u32 v34, vcc_lo, v34, v40
	v_add_co_ci_u32_e64 v38, null, v39, v41, vcc_lo
	v_dual_mov_b32 v41, v6 :: v_dual_mov_b32 v39, v6
	s_delay_alu instid0(VALU_DEP_2) | instskip(NEXT) | instid1(VALU_DEP_1)
	v_mov_b32_e32 v35, v38
	v_mul_u64_e32 v[36:37], v[36:37], v[34:35]
	s_delay_alu instid0(VALU_DEP_1) | instskip(NEXT) | instid1(VALU_DEP_2)
	v_dual_mov_b32 v35, v6 :: v_dual_mov_b32 v40, v37
	v_dual_mov_b32 v44, v36 :: v_dual_mov_b32 v37, v6
	v_mul_hi_u32 v36, v34, v36
	s_delay_alu instid0(VALU_DEP_3) | instskip(NEXT) | instid1(VALU_DEP_3)
	v_mul_u64_e32 v[42:43], v[34:35], v[40:41]
	v_mul_u64_e32 v[44:45], v[38:39], v[44:45]
	;; [unrolled: 1-line block ×3, first 2 shown]
	s_delay_alu instid0(VALU_DEP_3) | instskip(SKIP_1) | instid1(VALU_DEP_2)
	v_add_nc_u64_e32 v[36:37], v[36:37], v[42:43]
	v_mov_b32_e32 v43, v6
	v_add_co_u32 v7, vcc_lo, v36, v44
	s_delay_alu instid0(VALU_DEP_3) | instskip(SKIP_1) | instid1(VALU_DEP_1)
	v_add_co_ci_u32_e32 v42, vcc_lo, v37, v45, vcc_lo
	v_add_co_ci_u32_e32 v41, vcc_lo, 0, v41, vcc_lo
	v_add_nc_u64_e32 v[36:37], v[42:43], v[40:41]
	s_delay_alu instid0(VALU_DEP_1) | instskip(NEXT) | instid1(VALU_DEP_1)
	v_add_co_u32 v36, vcc_lo, v34, v36
	v_add_co_ci_u32_e64 v34, null, v38, v37, vcc_lo
	v_mov_b32_e32 v37, v6
	s_delay_alu instid0(VALU_DEP_2) | instskip(SKIP_1) | instid1(VALU_DEP_3)
	v_mul_u64_e32 v[38:39], s[30:31], v[34:35]
	v_mul_u64_e32 v[34:35], s[0:1], v[34:35]
	;; [unrolled: 1-line block ×3, first 2 shown]
	v_mul_hi_u32 v36, s28, v36
	s_delay_alu instid0(VALU_DEP_1) | instskip(SKIP_1) | instid1(VALU_DEP_2)
	v_add_nc_u64_e32 v[36:37], v[36:37], v[38:39]
	v_mov_b32_e32 v39, v6
	v_add_co_u32 v7, vcc_lo, v36, v40
	s_delay_alu instid0(VALU_DEP_3) | instskip(SKIP_1) | instid1(VALU_DEP_1)
	v_add_co_ci_u32_e32 v38, vcc_lo, v37, v41, vcc_lo
	v_add_co_ci_u32_e32 v35, vcc_lo, 0, v35, vcc_lo
	v_add_nc_u64_e32 v[34:35], v[38:39], v[34:35]
	s_delay_alu instid0(VALU_DEP_1) | instskip(SKIP_1) | instid1(VALU_DEP_2)
	v_mul_u64_e32 v[36:37], v[24:25], v[34:35]
	v_add_nc_u64_e32 v[38:39], 1, v[34:35]
	v_sub_nc_u32_e32 v7, s29, v37
	s_delay_alu instid0(VALU_DEP_3) | instskip(NEXT) | instid1(VALU_DEP_1)
	v_sub_co_u32 v31, vcc_lo, s28, v36
	v_sub_co_ci_u32_e64 v40, null, s29, v37, vcc_lo
	s_delay_alu instid0(VALU_DEP_3) | instskip(NEXT) | instid1(VALU_DEP_3)
	v_sub_co_ci_u32_e64 v7, null, v7, v25, vcc_lo
	v_sub_co_u32 v36, s0, v31, v24
	s_delay_alu instid0(VALU_DEP_1) | instskip(NEXT) | instid1(VALU_DEP_2)
	v_subrev_co_ci_u32_e64 v7, null, 0, v7, s0
	v_cmp_ge_u32_e32 vcc_lo, v36, v24
	v_cndmask_b32_e64 v36, 0, -1, vcc_lo
	s_delay_alu instid0(VALU_DEP_3)
	v_cmp_ge_u32_e32 vcc_lo, v7, v25
	v_cndmask_b32_e64 v37, 0, -1, vcc_lo
	v_cmp_ge_u32_e32 vcc_lo, v31, v24
	v_cndmask_b32_e64 v24, 0, -1, vcc_lo
	;; [unrolled: 2-line block ×3, first 2 shown]
	v_cmp_eq_u32_e32 vcc_lo, v7, v25
	v_cndmask_b32_e32 v7, v37, v36, vcc_lo
	v_cmp_eq_u32_e32 vcc_lo, v40, v25
	v_add_nc_u64_e32 v[36:37], 2, v[34:35]
	v_cndmask_b32_e32 v24, v31, v24, vcc_lo
	s_delay_alu instid0(VALU_DEP_4) | instskip(NEXT) | instid1(VALU_DEP_2)
	v_cmp_ne_u32_e32 vcc_lo, 0, v7
	v_cmp_ne_u32_e64 s0, 0, v24
	s_delay_alu instid0(VALU_DEP_4) | instskip(NEXT) | instid1(VALU_DEP_1)
	v_dual_cndmask_b32 v7, v39, v37, vcc_lo :: v_dual_bitop2_b32 v24, s24, v30 bitop3:0x14
	v_dual_cndmask_b32 v25, v38, v36, vcc_lo :: v_dual_cndmask_b32 v7, v35, v7, s0
	s_delay_alu instid0(VALU_DEP_1) | instskip(NEXT) | instid1(VALU_DEP_2)
	v_dual_cndmask_b32 v30, v34, v25, s0 :: v_dual_mov_b32 v25, v24
	v_xor_b32_e32 v31, v7, v24
	s_delay_alu instid0(VALU_DEP_2) | instskip(NEXT) | instid1(VALU_DEP_1)
	v_xor_b32_e32 v30, v30, v24
	v_sub_nc_u64_e32 v[30:31], v[30:31], v[24:25]
                                        ; implicit-def: $vgpr24_vgpr25
.LBB58_45:                              ;   in Loop: Header=BB58_25 Depth=1
	s_and_not1_saveexec_b32 s0, s27
	s_cbranch_execz .LBB58_47
; %bb.46:                               ;   in Loop: Header=BB58_25 Depth=1
	v_cvt_f32_u32_e32 v7, v24
	v_sub_nc_u32_e32 v25, 0, v24
	s_delay_alu instid0(VALU_DEP_2) | instskip(SKIP_1) | instid1(TRANS32_DEP_1)
	v_rcp_iflag_f32_e32 v7, v7
	v_nop
	v_mul_f32_e32 v7, 0x4f7ffffe, v7
	s_delay_alu instid0(VALU_DEP_1) | instskip(NEXT) | instid1(VALU_DEP_1)
	v_cvt_u32_f32_e32 v7, v7
	v_mul_lo_u32 v25, v25, v7
	s_delay_alu instid0(VALU_DEP_1) | instskip(NEXT) | instid1(VALU_DEP_1)
	v_mul_hi_u32 v25, v7, v25
	v_add_nc_u32_e32 v7, v7, v25
	s_delay_alu instid0(VALU_DEP_1) | instskip(NEXT) | instid1(VALU_DEP_1)
	v_mul_hi_u32 v7, s12, v7
	v_mul_lo_u32 v25, v7, v24
	s_delay_alu instid0(VALU_DEP_1) | instskip(NEXT) | instid1(VALU_DEP_1)
	v_dual_add_nc_u32 v30, 1, v7 :: v_dual_sub_nc_u32 v25, s12, v25
	v_cmp_ge_u32_e32 vcc_lo, v25, v24
	s_delay_alu instid0(VALU_DEP_2) | instskip(NEXT) | instid1(VALU_DEP_1)
	v_dual_sub_nc_u32 v31, v25, v24 :: v_dual_cndmask_b32 v7, v7, v30, vcc_lo
	v_add_nc_u32_e32 v30, 1, v7
	s_delay_alu instid0(VALU_DEP_2) | instskip(NEXT) | instid1(VALU_DEP_1)
	v_dual_cndmask_b32 v25, v25, v31, vcc_lo :: v_dual_mov_b32 v31, v6
	v_cmp_ge_u32_e32 vcc_lo, v25, v24
	s_delay_alu instid0(VALU_DEP_3)
	v_cndmask_b32_e32 v30, v7, v30, vcc_lo
.LBB58_47:                              ;   in Loop: Header=BB58_25 Depth=1
	s_or_b32 exec_lo, exec_lo, s0
	s_delay_alu instid0(VALU_DEP_1) | instskip(SKIP_1) | instid1(VALU_DEP_2)
	v_mad_nc_u64_u32 v[18:19], v30, s10, v[18:19]
	v_lshl_add_u64 v[12:13], v[12:13], 3, s[8:9]
	v_mad_u32 v7, v31, s10, v19
	s_delay_alu instid0(VALU_DEP_1) | instskip(SKIP_3) | instid1(SALU_CYCLE_1)
	v_mad_u32 v19, v30, s11, v7
	global_store_b64 v[12:13], v[18:19], off
	s_wait_xcnt 0x0
	s_or_b32 exec_lo, exec_lo, s26
	s_mov_b32 s0, exec_lo
	v_cmpx_lt_u64_e64 v[16:17], v[4:5]
	s_cbranch_execz .LBB58_39
.LBB58_48:                              ;   in Loop: Header=BB58_25 Depth=1
	v_mad_nc_u64_u32 v[12:13], v26, s10, v[22:23]
	v_lshl_add_u64 v[16:17], v[16:17], 3, s[8:9]
	s_delay_alu instid0(VALU_DEP_2) | instskip(NEXT) | instid1(VALU_DEP_1)
	v_mad_u32 v7, v27, s10, v13
	v_mad_u32 v13, v26, s11, v7
	global_store_b64 v[16:17], v[12:13], off
	s_wait_xcnt 0x0
	s_or_b32 exec_lo, exec_lo, s0
	s_delay_alu instid0(SALU_CYCLE_1)
	s_mov_b32 s0, exec_lo
	v_cmpx_lt_u64_e64 v[10:11], v[4:5]
	s_cbranch_execz .LBB58_40
.LBB58_49:                              ;   in Loop: Header=BB58_25 Depth=1
	v_mad_nc_u64_u32 v[12:13], v28, s10, v[20:21]
	v_lshl_add_u64 v[10:11], v[10:11], 3, s[8:9]
	s_delay_alu instid0(VALU_DEP_2) | instskip(NEXT) | instid1(VALU_DEP_1)
	v_mad_u32 v7, v29, s10, v13
	v_mad_u32 v13, v28, s11, v7
	global_store_b64 v[10:11], v[12:13], off
	s_wait_xcnt 0x0
	s_or_b32 exec_lo, exec_lo, s0
	s_delay_alu instid0(SALU_CYCLE_1)
	s_mov_b32 s0, exec_lo
	v_cmpx_lt_u64_e64 v[8:9], v[4:5]
	s_cbranch_execz .LBB58_24
.LBB58_50:                              ;   in Loop: Header=BB58_25 Depth=1
	v_mad_nc_u64_u32 v[10:11], v32, s10, v[14:15]
	v_lshl_add_u64 v[8:9], v[8:9], 3, s[8:9]
	s_delay_alu instid0(VALU_DEP_2) | instskip(NEXT) | instid1(VALU_DEP_1)
	v_mad_u32 v7, v33, s10, v11
	v_mad_u32 v11, v32, s11, v7
	global_store_b64 v[8:9], v[10:11], off
	s_branch .LBB58_24
.LBB58_51:
	s_endpgm
	.section	.rodata,"a",@progbits
	.p2align	6, 0x0
	.amdhsa_kernel _ZN2at6native12_GLOBAL__N_125multi_tensor_apply_kernelINS1_18TensorListMetadataILi4EEENS1_32PointwiseOpScalar0dTensorFunctorIlLi4ELi2ELi3EEEJSt7dividesIlElEEEvT_T0_DpT1_
		.amdhsa_group_segment_fixed_size 0
		.amdhsa_private_segment_fixed_size 0
		.amdhsa_kernarg_size 3320
		.amdhsa_user_sgpr_count 2
		.amdhsa_user_sgpr_dispatch_ptr 0
		.amdhsa_user_sgpr_queue_ptr 0
		.amdhsa_user_sgpr_kernarg_segment_ptr 1
		.amdhsa_user_sgpr_dispatch_id 0
		.amdhsa_user_sgpr_kernarg_preload_length 0
		.amdhsa_user_sgpr_kernarg_preload_offset 0
		.amdhsa_user_sgpr_private_segment_size 0
		.amdhsa_wavefront_size32 1
		.amdhsa_uses_dynamic_stack 0
		.amdhsa_enable_private_segment 0
		.amdhsa_system_sgpr_workgroup_id_x 1
		.amdhsa_system_sgpr_workgroup_id_y 0
		.amdhsa_system_sgpr_workgroup_id_z 0
		.amdhsa_system_sgpr_workgroup_info 0
		.amdhsa_system_vgpr_workitem_id 0
		.amdhsa_next_free_vgpr 50
		.amdhsa_next_free_sgpr 38
		.amdhsa_named_barrier_count 0
		.amdhsa_reserve_vcc 1
		.amdhsa_float_round_mode_32 0
		.amdhsa_float_round_mode_16_64 0
		.amdhsa_float_denorm_mode_32 3
		.amdhsa_float_denorm_mode_16_64 3
		.amdhsa_fp16_overflow 0
		.amdhsa_memory_ordered 1
		.amdhsa_forward_progress 1
		.amdhsa_inst_pref_size 64
		.amdhsa_round_robin_scheduling 0
		.amdhsa_exception_fp_ieee_invalid_op 0
		.amdhsa_exception_fp_denorm_src 0
		.amdhsa_exception_fp_ieee_div_zero 0
		.amdhsa_exception_fp_ieee_overflow 0
		.amdhsa_exception_fp_ieee_underflow 0
		.amdhsa_exception_fp_ieee_inexact 0
		.amdhsa_exception_int_div_zero 0
	.end_amdhsa_kernel
	.section	.text._ZN2at6native12_GLOBAL__N_125multi_tensor_apply_kernelINS1_18TensorListMetadataILi4EEENS1_32PointwiseOpScalar0dTensorFunctorIlLi4ELi2ELi3EEEJSt7dividesIlElEEEvT_T0_DpT1_,"axG",@progbits,_ZN2at6native12_GLOBAL__N_125multi_tensor_apply_kernelINS1_18TensorListMetadataILi4EEENS1_32PointwiseOpScalar0dTensorFunctorIlLi4ELi2ELi3EEEJSt7dividesIlElEEEvT_T0_DpT1_,comdat
.Lfunc_end58:
	.size	_ZN2at6native12_GLOBAL__N_125multi_tensor_apply_kernelINS1_18TensorListMetadataILi4EEENS1_32PointwiseOpScalar0dTensorFunctorIlLi4ELi2ELi3EEEJSt7dividesIlElEEEvT_T0_DpT1_, .Lfunc_end58-_ZN2at6native12_GLOBAL__N_125multi_tensor_apply_kernelINS1_18TensorListMetadataILi4EEENS1_32PointwiseOpScalar0dTensorFunctorIlLi4ELi2ELi3EEEJSt7dividesIlElEEEvT_T0_DpT1_
                                        ; -- End function
	.set _ZN2at6native12_GLOBAL__N_125multi_tensor_apply_kernelINS1_18TensorListMetadataILi4EEENS1_32PointwiseOpScalar0dTensorFunctorIlLi4ELi2ELi3EEEJSt7dividesIlElEEEvT_T0_DpT1_.num_vgpr, 50
	.set _ZN2at6native12_GLOBAL__N_125multi_tensor_apply_kernelINS1_18TensorListMetadataILi4EEENS1_32PointwiseOpScalar0dTensorFunctorIlLi4ELi2ELi3EEEJSt7dividesIlElEEEvT_T0_DpT1_.num_agpr, 0
	.set _ZN2at6native12_GLOBAL__N_125multi_tensor_apply_kernelINS1_18TensorListMetadataILi4EEENS1_32PointwiseOpScalar0dTensorFunctorIlLi4ELi2ELi3EEEJSt7dividesIlElEEEvT_T0_DpT1_.numbered_sgpr, 38
	.set _ZN2at6native12_GLOBAL__N_125multi_tensor_apply_kernelINS1_18TensorListMetadataILi4EEENS1_32PointwiseOpScalar0dTensorFunctorIlLi4ELi2ELi3EEEJSt7dividesIlElEEEvT_T0_DpT1_.num_named_barrier, 0
	.set _ZN2at6native12_GLOBAL__N_125multi_tensor_apply_kernelINS1_18TensorListMetadataILi4EEENS1_32PointwiseOpScalar0dTensorFunctorIlLi4ELi2ELi3EEEJSt7dividesIlElEEEvT_T0_DpT1_.private_seg_size, 0
	.set _ZN2at6native12_GLOBAL__N_125multi_tensor_apply_kernelINS1_18TensorListMetadataILi4EEENS1_32PointwiseOpScalar0dTensorFunctorIlLi4ELi2ELi3EEEJSt7dividesIlElEEEvT_T0_DpT1_.uses_vcc, 1
	.set _ZN2at6native12_GLOBAL__N_125multi_tensor_apply_kernelINS1_18TensorListMetadataILi4EEENS1_32PointwiseOpScalar0dTensorFunctorIlLi4ELi2ELi3EEEJSt7dividesIlElEEEvT_T0_DpT1_.uses_flat_scratch, 0
	.set _ZN2at6native12_GLOBAL__N_125multi_tensor_apply_kernelINS1_18TensorListMetadataILi4EEENS1_32PointwiseOpScalar0dTensorFunctorIlLi4ELi2ELi3EEEJSt7dividesIlElEEEvT_T0_DpT1_.has_dyn_sized_stack, 0
	.set _ZN2at6native12_GLOBAL__N_125multi_tensor_apply_kernelINS1_18TensorListMetadataILi4EEENS1_32PointwiseOpScalar0dTensorFunctorIlLi4ELi2ELi3EEEJSt7dividesIlElEEEvT_T0_DpT1_.has_recursion, 0
	.set _ZN2at6native12_GLOBAL__N_125multi_tensor_apply_kernelINS1_18TensorListMetadataILi4EEENS1_32PointwiseOpScalar0dTensorFunctorIlLi4ELi2ELi3EEEJSt7dividesIlElEEEvT_T0_DpT1_.has_indirect_call, 0
	.section	.AMDGPU.csdata,"",@progbits
; Kernel info:
; codeLenInByte = 8164
; TotalNumSgprs: 40
; NumVgprs: 50
; ScratchSize: 0
; MemoryBound: 0
; FloatMode: 240
; IeeeMode: 1
; LDSByteSize: 0 bytes/workgroup (compile time only)
; SGPRBlocks: 0
; VGPRBlocks: 3
; NumSGPRsForWavesPerEU: 40
; NumVGPRsForWavesPerEU: 50
; NamedBarCnt: 0
; Occupancy: 16
; WaveLimiterHint : 0
; COMPUTE_PGM_RSRC2:SCRATCH_EN: 0
; COMPUTE_PGM_RSRC2:USER_SGPR: 2
; COMPUTE_PGM_RSRC2:TRAP_HANDLER: 0
; COMPUTE_PGM_RSRC2:TGID_X_EN: 1
; COMPUTE_PGM_RSRC2:TGID_Y_EN: 0
; COMPUTE_PGM_RSRC2:TGID_Z_EN: 0
; COMPUTE_PGM_RSRC2:TIDIG_COMP_CNT: 0
	.section	.text._ZN2at6native12_GLOBAL__N_125multi_tensor_apply_kernelINS1_18TensorListMetadataILi4EEENS1_32PointwiseOpScalar0dTensorFunctorIsLi4ELi2ELi3EEEJSt7dividesIsEsEEEvT_T0_DpT1_,"axG",@progbits,_ZN2at6native12_GLOBAL__N_125multi_tensor_apply_kernelINS1_18TensorListMetadataILi4EEENS1_32PointwiseOpScalar0dTensorFunctorIsLi4ELi2ELi3EEEJSt7dividesIsEsEEEvT_T0_DpT1_,comdat
	.globl	_ZN2at6native12_GLOBAL__N_125multi_tensor_apply_kernelINS1_18TensorListMetadataILi4EEENS1_32PointwiseOpScalar0dTensorFunctorIsLi4ELi2ELi3EEEJSt7dividesIsEsEEEvT_T0_DpT1_ ; -- Begin function _ZN2at6native12_GLOBAL__N_125multi_tensor_apply_kernelINS1_18TensorListMetadataILi4EEENS1_32PointwiseOpScalar0dTensorFunctorIsLi4ELi2ELi3EEEJSt7dividesIsEsEEEvT_T0_DpT1_
	.p2align	8
	.type	_ZN2at6native12_GLOBAL__N_125multi_tensor_apply_kernelINS1_18TensorListMetadataILi4EEENS1_32PointwiseOpScalar0dTensorFunctorIsLi4ELi2ELi3EEEJSt7dividesIsEsEEEvT_T0_DpT1_,@function
_ZN2at6native12_GLOBAL__N_125multi_tensor_apply_kernelINS1_18TensorListMetadataILi4EEENS1_32PointwiseOpScalar0dTensorFunctorIsLi4ELi2ELi3EEEJSt7dividesIsEsEEEvT_T0_DpT1_: ; @_ZN2at6native12_GLOBAL__N_125multi_tensor_apply_kernelINS1_18TensorListMetadataILi4EEENS1_32PointwiseOpScalar0dTensorFunctorIsLi4ELi2ELi3EEEJSt7dividesIsEsEEEvT_T0_DpT1_
; %bb.0:
	s_load_b32 s2, s[0:1], 0xbe8
	s_bfe_u32 s3, ttmp6, 0x4000c
	s_and_b32 s4, ttmp6, 15
	s_add_co_i32 s3, s3, 1
	s_getreg_b32 s5, hwreg(HW_REG_IB_STS2, 6, 4)
	s_mul_i32 s3, ttmp9, s3
	s_mov_b32 s15, 0
	s_add_co_i32 s4, s4, s3
	s_wait_kmcnt 0x0
	s_lshr_b32 s20, s2, 16
	s_cmp_eq_u32 s5, 0
	s_cselect_b32 s14, ttmp9, s4
	s_load_u8 s6, s[0:1], s14 offset:0x5a0
	s_add_nc_u64 s[2:3], s[0:1], s[14:15]
	s_mul_u64 s[4:5], s[14:15], 3
	s_delay_alu instid0(SALU_CYCLE_1)
	s_add_nc_u64 s[2:3], s[2:3], s[4:5]
	s_load_b32 s16, s[2:3], 0x6e0
	s_wait_kmcnt 0x0
	s_clause 0x4
	s_load_b64 s[8:9], s[0:1], s6 offset:0x0 scale_offset
	s_load_b64 s[22:23], s[0:1], s6 offset:0x120 scale_offset
	;; [unrolled: 1-line block ×5, first 2 shown]
	s_ashr_i32 s17, s16, 31
	s_delay_alu instid0(SALU_CYCLE_1)
	s_lshl_b64 s[18:19], s[16:17], 17
	s_wait_kmcnt 0x0
	s_load_i16 s21, s[22:23], 0x0
	s_add_nc_u64 s[6:7], s[22:23], s[18:19]
	s_add_nc_u64 s[2:3], s[8:9], s[18:19]
	s_and_b32 s14, s6, 7
	s_and_b64 s[26:27], s[2:3], 7
	s_add_nc_u64 s[4:5], s[10:11], s[18:19]
	s_cmp_lg_u64 s[14:15], 0
	s_add_nc_u64 s[6:7], s[12:13], s[18:19]
	s_cselect_b32 s28, -1, 0
	s_or_b32 s14, s6, s4
	s_delay_alu instid0(SALU_CYCLE_1) | instskip(NEXT) | instid1(SALU_CYCLE_1)
	s_and_b32 s14, s14, 7
	s_cmp_lg_u32 s14, 0
	s_wait_xcnt 0x0
	s_cselect_b32 s22, -1, 0
	s_and_b32 s14, s24, 3
	s_lshl_b64 s[16:17], s[16:17], 16
	s_or_b64 s[14:15], s[26:27], s[14:15]
	s_or_b32 s22, s22, s28
	s_cmp_lg_u64 s[14:15], 0
	s_cselect_b32 s14, -1, 0
	s_delay_alu instid0(SALU_CYCLE_1)
	s_or_b32 s22, s22, s14
	s_sub_nc_u64 s[14:15], s[24:25], s[16:17]
	s_and_not1_b32 vcc_lo, exec_lo, s22
	s_mov_b32 s16, -1
	s_cbranch_vccz .LBB59_5
; %bb.1:
	v_min_i64 v[2:3], 0x10000, s[14:15]
	v_dual_mov_b32 v5, 0 :: v_dual_lshlrev_b32 v4, 2, v0
	s_mov_b32 s22, exec_lo
	s_delay_alu instid0(VALU_DEP_1)
	v_cmpx_lt_i64_e64 v[4:5], v[2:3]
	s_cbranch_execz .LBB59_4
; %bb.2:
	s_load_b32 s16, s[0:1], 0xbfc
	v_dual_mov_b32 v1, v5 :: v_dual_lshlrev_b32 v4, 3, v0
	s_mov_b32 s17, 0
	s_wait_kmcnt 0x0
	s_cvt_f32_i32 s23, s21
	s_mov_b32 s24, s17
	v_add_nc_u64_e32 v[4:5], s[18:19], v[4:5]
	v_mov_b64_e32 v[6:7], v[0:1]
	s_mov_b32 s19, s17
	s_and_b32 s16, s16, 0xffff
	s_delay_alu instid0(SALU_CYCLE_1)
	s_lshl_b32 s18, s16, 3
.LBB59_3:                               ; =>This Inner Loop Header: Depth=1
	s_delay_alu instid0(VALU_DEP_2) | instskip(SKIP_1) | instid1(VALU_DEP_3)
	v_add_nc_u64_e32 v[8:9], s[10:11], v[4:5]
	v_add_nc_u64_e32 v[10:11], s[8:9], v[4:5]
	v_add_nc_u64_e32 v[6:7], s[16:17], v[6:7]
	global_load_b64 v[12:13], v[8:9], off
	global_load_b64 v[14:15], v[10:11], off
	s_wait_loadcnt 0x1
	v_bfe_i32 v1, v12, 0, 16
	s_wait_xcnt 0x0
	v_alignbit_b32 v10, v13, v12, 16
	s_wait_loadcnt 0x0
	v_dual_ashrrev_i32 v11, 16, v13 :: v_dual_lshrrev_b32 v8, 16, v14
	s_delay_alu instid0(VALU_DEP_2) | instskip(NEXT) | instid1(VALU_DEP_2)
	v_dual_ashrrev_i32 v9, 16, v12 :: v_dual_ashrrev_i32 v10, 16, v10
	v_xor_b32_e32 v16, s21, v11
	v_xor_b32_e32 v12, s21, v1
	v_cvt_f32_i32_e32 v1, v1
	v_cvt_f32_i32_e32 v11, v11
	s_delay_alu instid0(VALU_DEP_4) | instskip(NEXT) | instid1(VALU_DEP_4)
	v_dual_ashrrev_i32 v16, 30, v16 :: v_dual_bitop2_b32 v13, s21, v9 bitop3:0x14
	v_ashrrev_i32_e32 v12, 30, v12
	v_cvt_f32_i32_e32 v9, v9
	v_rcp_iflag_f32_e32 v17, v1
	s_delay_alu instid0(VALU_DEP_3) | instskip(SKIP_1) | instid1(VALU_DEP_3)
	v_dual_ashrrev_i32 v13, 30, v13 :: v_dual_bitop2_b32 v19, s21, v10 bitop3:0x14
	v_cvt_f32_i32_e32 v10, v10
	v_rcp_iflag_f32_e32 v18, v9
	v_rcp_iflag_f32_e32 v20, v11
	s_delay_alu instid0(TRANS32_DEP_3) | instskip(SKIP_3) | instid1(TRANS32_DEP_3)
	v_mul_f32_e32 v17, s23, v17
	v_or_b32_e32 v13, 1, v13
	v_rcp_iflag_f32_e32 v21, v10
	v_dual_ashrrev_i32 v19, 30, v19 :: v_dual_bitop2_b32 v12, 1, v12 bitop3:0x54
	v_mul_f32_e32 v18, s23, v18
	v_trunc_f32_e32 v17, v17
	v_mul_f32_e32 v20, s23, v20
	s_delay_alu instid0(TRANS32_DEP_1) | instskip(NEXT) | instid1(VALU_DEP_4)
	v_dual_mul_f32 v21, s23, v21 :: v_dual_bitop2_b32 v16, 1, v16 bitop3:0x54
	v_trunc_f32_e32 v18, v18
	s_delay_alu instid0(VALU_DEP_4)
	v_fma_f32 v22, -v17, v1, s23
	v_or_b32_e32 v19, 1, v19
	v_trunc_f32_e32 v20, v20
	v_trunc_f32_e32 v21, v21
	v_fma_f32 v23, -v18, v9, s23
	v_cmp_ge_f32_e64 vcc_lo, |v22|, |v1|
	v_cvt_i32_f32_e32 v17, v17
	v_fma_f32 v24, -v20, v11, s23
	v_cvt_i32_f32_e32 v18, v18
	v_cvt_i32_f32_e32 v20, v20
	v_cndmask_b32_e32 v1, 0, v12, vcc_lo
	v_cmp_ge_f32_e64 vcc_lo, |v23|, |v9|
	v_fma_f32 v12, -v21, v10, s23
	v_cndmask_b32_e32 v9, 0, v13, vcc_lo
	v_cmp_ge_f32_e64 vcc_lo, |v24|, |v11|
	v_cvt_i32_f32_e32 v13, v21
	v_add_nc_u32_e32 v1, v17, v1
	s_delay_alu instid0(VALU_DEP_3) | instskip(SKIP_1) | instid1(VALU_DEP_3)
	v_dual_add_nc_u32 v9, v18, v9 :: v_dual_cndmask_b32 v11, 0, v16, vcc_lo
	v_cmp_ge_f32_e64 vcc_lo, |v12|, |v10|
	v_mad_u16 v1, s20, v1, v14
	v_cndmask_b32_e32 v10, 0, v19, vcc_lo
	v_lshrrev_b32_e32 v12, 16, v15
	s_delay_alu instid0(VALU_DEP_3) | instskip(NEXT) | instid1(VALU_DEP_3)
	v_and_b32_e32 v1, 0xffff, v1
	v_add_nc_u32_e32 v10, v13, v10
	v_mad_u16 v13, s20, v9, v8
	v_add_nc_u32_e32 v11, v20, v11
	v_lshlrev_b64_e32 v[8:9], 2, v[6:7]
	s_delay_alu instid0(VALU_DEP_4) | instskip(NEXT) | instid1(VALU_DEP_3)
	v_mad_u16 v10, s20, v10, v15
	v_mad_u16 v11, s20, v11, v12
	v_lshlrev_b32_e32 v12, 16, v13
	s_delay_alu instid0(VALU_DEP_3) | instskip(SKIP_1) | instid1(VALU_DEP_3)
	v_and_b32_e32 v10, 0xffff, v10
	v_cmp_ge_i64_e32 vcc_lo, v[8:9], v[2:3]
	v_dual_lshlrev_b32 v11, 16, v11 :: v_dual_bitop2_b32 v1, v12, v1 bitop3:0x54
	v_add_nc_u64_e32 v[8:9], s[12:13], v[4:5]
	v_add_nc_u64_e32 v[4:5], s[18:19], v[4:5]
	s_delay_alu instid0(VALU_DEP_3) | instskip(NEXT) | instid1(VALU_DEP_4)
	v_or3_b32 v11, v10, 0, v11
	v_or3_b32 v10, 0, v1, 0
	s_or_b32 s24, vcc_lo, s24
	global_store_b64 v[8:9], v[10:11], off
	s_wait_xcnt 0x0
	s_and_not1_b32 exec_lo, exec_lo, s24
	s_cbranch_execnz .LBB59_3
.LBB59_4:
	s_or_b32 exec_lo, exec_lo, s22
	s_mov_b32 s16, 0
.LBB59_5:
	s_delay_alu instid0(SALU_CYCLE_1)
	s_and_not1_b32 vcc_lo, exec_lo, s16
	s_cbranch_vccnz .LBB59_25
; %bb.6:
	v_cmp_lt_i64_e64 s8, s[14:15], 1
	s_and_b32 vcc_lo, exec_lo, s8
	s_cbranch_vccnz .LBB59_25
; %bb.7:
	v_min_i64 v[2:3], 0x10000, s[14:15]
	v_min_u64 v[4:5], 0x10000, s[14:15]
	s_load_b32 s0, s[0:1], 0xbfc
	v_mov_b32_e32 v1, 0
	s_wait_xcnt 0x0
	s_mov_b32 s1, 0
	s_wait_kmcnt 0x0
	s_cvt_f32_i32 s16, s21
	s_mov_b32 s9, s1
	s_mov_b32 s11, s1
	s_mov_b32 s13, s1
	s_mov_b64 s[14:15], 0
	s_and_b32 s0, s0, 0xffff
	s_delay_alu instid0(SALU_CYCLE_1)
	s_lshl_b32 s8, s0, 1
	s_mul_i32 s10, s0, 3
	s_lshl_b32 s12, s0, 2
	s_branch .LBB59_9
.LBB59_8:                               ;   in Loop: Header=BB59_9 Depth=1
	s_wait_xcnt 0x0
	s_or_b32 exec_lo, exec_lo, s17
	s_add_nc_u64 s[14:15], s[14:15], s[12:13]
	s_delay_alu instid0(SALU_CYCLE_1)
	v_cmp_ge_i64_e32 vcc_lo, s[14:15], v[2:3]
	s_cbranch_vccnz .LBB59_25
.LBB59_9:                               ; =>This Inner Loop Header: Depth=1
	v_add_nc_u64_e32 v[10:11], s[14:15], v[0:1]
	v_mov_b64_e32 v[8:9], 0
	v_mov_b64_e32 v[6:7], 0
	s_mov_b32 s17, exec_lo
	s_delay_alu instid0(VALU_DEP_3)
	v_cmpx_lt_i64_e64 v[10:11], v[2:3]
	s_cbranch_execz .LBB59_11
; %bb.10:                               ;   in Loop: Header=BB59_9 Depth=1
	v_lshlrev_b64_e32 v[6:7], 1, v[10:11]
	s_delay_alu instid0(VALU_DEP_1)
	v_add_nc_u64_e32 v[8:9], s[2:3], v[6:7]
	v_add_nc_u64_e32 v[6:7], s[4:5], v[6:7]
	global_load_u16 v12, v[8:9], off
	global_load_u16 v13, v[6:7], off
	s_wait_xcnt 0x0
	v_dual_mov_b32 v7, s1 :: v_dual_mov_b32 v9, s1
	s_wait_loadcnt 0x1
	v_and_b32_e32 v6, 0xffff, v12
	s_wait_loadcnt 0x0
	v_and_b32_e32 v8, 0xffff, v13
.LBB59_11:                              ;   in Loop: Header=BB59_9 Depth=1
	s_or_b32 exec_lo, exec_lo, s17
	v_add_nc_u64_e32 v[12:13], s[0:1], v[10:11]
	s_mov_b32 s17, exec_lo
	s_delay_alu instid0(VALU_DEP_1)
	v_cmpx_lt_i64_e64 v[12:13], v[2:3]
	s_cbranch_execz .LBB59_13
; %bb.12:                               ;   in Loop: Header=BB59_9 Depth=1
	v_lshlrev_b64_e32 v[14:15], 1, v[12:13]
	s_delay_alu instid0(VALU_DEP_1)
	v_add_nc_u64_e32 v[16:17], s[2:3], v[14:15]
	v_add_nc_u64_e32 v[14:15], s[4:5], v[14:15]
	global_load_u16 v18, v[16:17], off
	global_load_u16 v19, v[14:15], off
	s_wait_loadcnt 0x1
	v_lshl_or_b32 v6, v18, 16, v6
	s_wait_loadcnt 0x0
	v_lshl_or_b32 v8, v19, 16, v8
.LBB59_13:                              ;   in Loop: Header=BB59_9 Depth=1
	s_wait_xcnt 0x0
	s_or_b32 exec_lo, exec_lo, s17
	v_add_nc_u64_e32 v[14:15], s[8:9], v[10:11]
	s_mov_b32 s17, exec_lo
	s_delay_alu instid0(VALU_DEP_1)
	v_cmpx_lt_i64_e64 v[14:15], v[2:3]
	s_cbranch_execz .LBB59_15
; %bb.14:                               ;   in Loop: Header=BB59_9 Depth=1
	v_lshlrev_b64_e32 v[16:17], 1, v[14:15]
	s_delay_alu instid0(VALU_DEP_1)
	v_add_nc_u64_e32 v[18:19], s[2:3], v[16:17]
	v_add_nc_u64_e32 v[16:17], s[4:5], v[16:17]
	global_load_u16 v20, v[18:19], off
	global_load_u16 v21, v[16:17], off
	s_wait_loadcnt 0x1
	v_or_b32_e32 v7, v20, v7
	s_wait_loadcnt 0x0
	v_or_b32_e32 v9, v21, v9
.LBB59_15:                              ;   in Loop: Header=BB59_9 Depth=1
	s_wait_xcnt 0x0
	s_or_b32 exec_lo, exec_lo, s17
	v_add_nc_u64_e32 v[16:17], s[10:11], v[10:11]
	s_mov_b32 s17, exec_lo
	s_delay_alu instid0(VALU_DEP_1)
	v_cmpx_lt_i64_e64 v[16:17], v[2:3]
	s_cbranch_execnz .LBB59_20
; %bb.16:                               ;   in Loop: Header=BB59_9 Depth=1
	s_or_b32 exec_lo, exec_lo, s17
	s_delay_alu instid0(SALU_CYCLE_1)
	s_mov_b32 s17, exec_lo
	v_cmpx_lt_u64_e64 v[10:11], v[4:5]
	s_cbranch_execnz .LBB59_21
.LBB59_17:                              ;   in Loop: Header=BB59_9 Depth=1
	s_or_b32 exec_lo, exec_lo, s17
	s_delay_alu instid0(SALU_CYCLE_1)
	s_mov_b32 s17, exec_lo
	v_cmpx_lt_u64_e64 v[12:13], v[4:5]
	s_cbranch_execnz .LBB59_22
.LBB59_18:                              ;   in Loop: Header=BB59_9 Depth=1
	s_or_b32 exec_lo, exec_lo, s17
	s_delay_alu instid0(SALU_CYCLE_1)
	s_mov_b32 s17, exec_lo
	v_cmpx_lt_u64_e64 v[14:15], v[4:5]
	s_cbranch_execnz .LBB59_23
.LBB59_19:                              ;   in Loop: Header=BB59_9 Depth=1
	s_or_b32 exec_lo, exec_lo, s17
	s_delay_alu instid0(SALU_CYCLE_1)
	s_mov_b32 s17, exec_lo
	v_cmpx_lt_u64_e64 v[16:17], v[4:5]
	s_cbranch_execz .LBB59_8
	s_branch .LBB59_24
.LBB59_20:                              ;   in Loop: Header=BB59_9 Depth=1
	v_lshlrev_b64_e32 v[18:19], 1, v[16:17]
	s_delay_alu instid0(VALU_DEP_1)
	v_add_nc_u64_e32 v[20:21], s[2:3], v[18:19]
	v_add_nc_u64_e32 v[18:19], s[4:5], v[18:19]
	global_load_u16 v22, v[20:21], off
	global_load_u16 v23, v[18:19], off
	s_wait_loadcnt 0x0
	v_dual_lshlrev_b32 v18, 16, v22 :: v_dual_lshlrev_b32 v19, 16, v23
	s_delay_alu instid0(VALU_DEP_1) | instskip(NEXT) | instid1(VALU_DEP_2)
	v_or_b32_e32 v7, v18, v7
	v_or_b32_e32 v9, v19, v9
	s_or_b32 exec_lo, exec_lo, s17
	s_delay_alu instid0(SALU_CYCLE_1)
	s_mov_b32 s17, exec_lo
	v_cmpx_lt_u64_e64 v[10:11], v[4:5]
	s_cbranch_execz .LBB59_17
.LBB59_21:                              ;   in Loop: Header=BB59_9 Depth=1
	v_bfe_i32 v18, v8, 0, 16
	v_lshl_add_u64 v[10:11], v[10:11], 1, s[6:7]
	s_delay_alu instid0(VALU_DEP_2) | instskip(SKIP_1) | instid1(VALU_DEP_2)
	v_cvt_f32_i32_e32 v19, v18
	v_xor_b32_e32 v18, s21, v18
	v_rcp_iflag_f32_e32 v20, v19
	s_delay_alu instid0(VALU_DEP_1)
	v_ashrrev_i32_e32 v18, 30, v18
	s_delay_alu instid0(TRANS32_DEP_1) | instid1(VALU_DEP_1)
	v_dual_mul_f32 v20, s16, v20 :: v_dual_bitop2_b32 v18, 1, v18 bitop3:0x54
	s_delay_alu instid0(VALU_DEP_1) | instskip(NEXT) | instid1(VALU_DEP_1)
	v_trunc_f32_e32 v20, v20
	v_fma_f32 v21, -v20, v19, s16
	v_cvt_i32_f32_e32 v20, v20
	s_delay_alu instid0(VALU_DEP_2) | instskip(SKIP_1) | instid1(VALU_DEP_1)
	v_cmp_ge_f32_e64 vcc_lo, |v21|, |v19|
	v_cndmask_b32_e32 v18, 0, v18, vcc_lo
	v_add_nc_u32_e32 v18, v20, v18
	s_delay_alu instid0(VALU_DEP_1) | instskip(SKIP_3) | instid1(SALU_CYCLE_1)
	v_mad_u16 v18, s20, v18, v6
	global_store_b16 v[10:11], v18, off
	s_wait_xcnt 0x0
	s_or_b32 exec_lo, exec_lo, s17
	s_mov_b32 s17, exec_lo
	v_cmpx_lt_u64_e64 v[12:13], v[4:5]
	s_cbranch_execz .LBB59_18
.LBB59_22:                              ;   in Loop: Header=BB59_9 Depth=1
	v_dual_ashrrev_i32 v10, 16, v8 :: v_dual_lshrrev_b32 v6, 16, v6
	s_delay_alu instid0(VALU_DEP_1) | instskip(NEXT) | instid1(VALU_DEP_1)
	v_cvt_f32_i32_e32 v11, v10
	v_rcp_iflag_f32_e32 v18, v11
	v_nop
	s_delay_alu instid0(TRANS32_DEP_1) | instskip(SKIP_1) | instid1(VALU_DEP_2)
	v_mul_f32_e32 v18, s16, v18
	v_xor_b32_e32 v10, s21, v10
	v_trunc_f32_e32 v18, v18
	s_delay_alu instid0(VALU_DEP_2) | instskip(NEXT) | instid1(VALU_DEP_2)
	v_ashrrev_i32_e32 v10, 30, v10
	v_fma_f32 v19, -v18, v11, s16
	s_delay_alu instid0(VALU_DEP_2) | instskip(SKIP_1) | instid1(VALU_DEP_3)
	v_or_b32_e32 v10, 1, v10
	v_cvt_i32_f32_e32 v18, v18
	v_cmp_ge_f32_e64 vcc_lo, |v19|, |v11|
	s_delay_alu instid0(VALU_DEP_3) | instskip(NEXT) | instid1(VALU_DEP_1)
	v_cndmask_b32_e32 v10, 0, v10, vcc_lo
	v_add_nc_u32_e32 v10, v18, v10
	s_delay_alu instid0(VALU_DEP_1) | instskip(SKIP_4) | instid1(SALU_CYCLE_1)
	v_mad_u16 v6, s20, v10, v6
	v_lshl_add_u64 v[10:11], v[12:13], 1, s[6:7]
	global_store_b16 v[10:11], v6, off
	s_wait_xcnt 0x0
	s_or_b32 exec_lo, exec_lo, s17
	s_mov_b32 s17, exec_lo
	v_cmpx_lt_u64_e64 v[14:15], v[4:5]
	s_cbranch_execz .LBB59_19
.LBB59_23:                              ;   in Loop: Header=BB59_9 Depth=1
	v_alignbit_b32 v6, v9, v8, 16
	s_delay_alu instid0(VALU_DEP_1) | instskip(NEXT) | instid1(VALU_DEP_1)
	v_ashrrev_i32_e32 v6, 16, v6
	v_cvt_f32_i32_e32 v8, v6
	v_xor_b32_e32 v6, s21, v6
	s_delay_alu instid0(VALU_DEP_2) | instskip(NEXT) | instid1(VALU_DEP_1)
	v_rcp_iflag_f32_e32 v10, v8
	v_ashrrev_i32_e32 v6, 30, v6
	s_delay_alu instid0(VALU_DEP_1) | instskip(NEXT) | instid1(TRANS32_DEP_1)
	v_or_b32_e32 v6, 1, v6
	v_mul_f32_e32 v10, s16, v10
	s_delay_alu instid0(VALU_DEP_1) | instskip(NEXT) | instid1(VALU_DEP_1)
	v_trunc_f32_e32 v10, v10
	v_fma_f32 v11, -v10, v8, s16
	v_cvt_i32_f32_e32 v10, v10
	s_delay_alu instid0(VALU_DEP_2) | instskip(SKIP_1) | instid1(VALU_DEP_1)
	v_cmp_ge_f32_e64 vcc_lo, |v11|, |v8|
	v_cndmask_b32_e32 v6, 0, v6, vcc_lo
	v_add_nc_u32_e32 v6, v10, v6
	v_lshl_add_u64 v[10:11], v[14:15], 1, s[6:7]
	s_delay_alu instid0(VALU_DEP_2) | instskip(SKIP_3) | instid1(SALU_CYCLE_1)
	v_mad_u16 v6, s20, v6, v7
	global_store_b16 v[10:11], v6, off
	s_wait_xcnt 0x0
	s_or_b32 exec_lo, exec_lo, s17
	s_mov_b32 s17, exec_lo
	v_cmpx_lt_u64_e64 v[16:17], v[4:5]
	s_cbranch_execz .LBB59_8
.LBB59_24:                              ;   in Loop: Header=BB59_9 Depth=1
	v_dual_ashrrev_i32 v6, 16, v9 :: v_dual_lshrrev_b32 v7, 16, v7
	s_delay_alu instid0(VALU_DEP_1) | instskip(NEXT) | instid1(VALU_DEP_1)
	v_cvt_f32_i32_e32 v8, v6
	v_rcp_iflag_f32_e32 v9, v8
	v_nop
	s_delay_alu instid0(TRANS32_DEP_1) | instskip(NEXT) | instid1(VALU_DEP_1)
	v_dual_mul_f32 v9, s16, v9 :: v_dual_bitop2_b32 v6, s21, v6 bitop3:0x14
	v_trunc_f32_e32 v9, v9
	s_delay_alu instid0(VALU_DEP_2) | instskip(NEXT) | instid1(VALU_DEP_2)
	v_ashrrev_i32_e32 v6, 30, v6
	v_fma_f32 v10, -v9, v8, s16
	s_delay_alu instid0(VALU_DEP_2) | instskip(SKIP_1) | instid1(VALU_DEP_3)
	v_or_b32_e32 v6, 1, v6
	v_cvt_i32_f32_e32 v9, v9
	v_cmp_ge_f32_e64 vcc_lo, |v10|, |v8|
	s_delay_alu instid0(VALU_DEP_3) | instskip(NEXT) | instid1(VALU_DEP_1)
	v_cndmask_b32_e32 v6, 0, v6, vcc_lo
	v_add_nc_u32_e32 v6, v9, v6
	s_delay_alu instid0(VALU_DEP_1)
	v_mad_u16 v8, s20, v6, v7
	v_lshl_add_u64 v[6:7], v[16:17], 1, s[6:7]
	global_store_b16 v[6:7], v8, off
	s_branch .LBB59_8
.LBB59_25:
	s_endpgm
	.section	.rodata,"a",@progbits
	.p2align	6, 0x0
	.amdhsa_kernel _ZN2at6native12_GLOBAL__N_125multi_tensor_apply_kernelINS1_18TensorListMetadataILi4EEENS1_32PointwiseOpScalar0dTensorFunctorIsLi4ELi2ELi3EEEJSt7dividesIsEsEEEvT_T0_DpT1_
		.amdhsa_group_segment_fixed_size 0
		.amdhsa_private_segment_fixed_size 0
		.amdhsa_kernarg_size 3312
		.amdhsa_user_sgpr_count 2
		.amdhsa_user_sgpr_dispatch_ptr 0
		.amdhsa_user_sgpr_queue_ptr 0
		.amdhsa_user_sgpr_kernarg_segment_ptr 1
		.amdhsa_user_sgpr_dispatch_id 0
		.amdhsa_user_sgpr_kernarg_preload_length 0
		.amdhsa_user_sgpr_kernarg_preload_offset 0
		.amdhsa_user_sgpr_private_segment_size 0
		.amdhsa_wavefront_size32 1
		.amdhsa_uses_dynamic_stack 0
		.amdhsa_enable_private_segment 0
		.amdhsa_system_sgpr_workgroup_id_x 1
		.amdhsa_system_sgpr_workgroup_id_y 0
		.amdhsa_system_sgpr_workgroup_id_z 0
		.amdhsa_system_sgpr_workgroup_info 0
		.amdhsa_system_vgpr_workitem_id 0
		.amdhsa_next_free_vgpr 25
		.amdhsa_next_free_sgpr 29
		.amdhsa_named_barrier_count 0
		.amdhsa_reserve_vcc 1
		.amdhsa_float_round_mode_32 0
		.amdhsa_float_round_mode_16_64 0
		.amdhsa_float_denorm_mode_32 3
		.amdhsa_float_denorm_mode_16_64 3
		.amdhsa_fp16_overflow 0
		.amdhsa_memory_ordered 1
		.amdhsa_forward_progress 1
		.amdhsa_inst_pref_size 17
		.amdhsa_round_robin_scheduling 0
		.amdhsa_exception_fp_ieee_invalid_op 0
		.amdhsa_exception_fp_denorm_src 0
		.amdhsa_exception_fp_ieee_div_zero 0
		.amdhsa_exception_fp_ieee_overflow 0
		.amdhsa_exception_fp_ieee_underflow 0
		.amdhsa_exception_fp_ieee_inexact 0
		.amdhsa_exception_int_div_zero 0
	.end_amdhsa_kernel
	.section	.text._ZN2at6native12_GLOBAL__N_125multi_tensor_apply_kernelINS1_18TensorListMetadataILi4EEENS1_32PointwiseOpScalar0dTensorFunctorIsLi4ELi2ELi3EEEJSt7dividesIsEsEEEvT_T0_DpT1_,"axG",@progbits,_ZN2at6native12_GLOBAL__N_125multi_tensor_apply_kernelINS1_18TensorListMetadataILi4EEENS1_32PointwiseOpScalar0dTensorFunctorIsLi4ELi2ELi3EEEJSt7dividesIsEsEEEvT_T0_DpT1_,comdat
.Lfunc_end59:
	.size	_ZN2at6native12_GLOBAL__N_125multi_tensor_apply_kernelINS1_18TensorListMetadataILi4EEENS1_32PointwiseOpScalar0dTensorFunctorIsLi4ELi2ELi3EEEJSt7dividesIsEsEEEvT_T0_DpT1_, .Lfunc_end59-_ZN2at6native12_GLOBAL__N_125multi_tensor_apply_kernelINS1_18TensorListMetadataILi4EEENS1_32PointwiseOpScalar0dTensorFunctorIsLi4ELi2ELi3EEEJSt7dividesIsEsEEEvT_T0_DpT1_
                                        ; -- End function
	.set _ZN2at6native12_GLOBAL__N_125multi_tensor_apply_kernelINS1_18TensorListMetadataILi4EEENS1_32PointwiseOpScalar0dTensorFunctorIsLi4ELi2ELi3EEEJSt7dividesIsEsEEEvT_T0_DpT1_.num_vgpr, 25
	.set _ZN2at6native12_GLOBAL__N_125multi_tensor_apply_kernelINS1_18TensorListMetadataILi4EEENS1_32PointwiseOpScalar0dTensorFunctorIsLi4ELi2ELi3EEEJSt7dividesIsEsEEEvT_T0_DpT1_.num_agpr, 0
	.set _ZN2at6native12_GLOBAL__N_125multi_tensor_apply_kernelINS1_18TensorListMetadataILi4EEENS1_32PointwiseOpScalar0dTensorFunctorIsLi4ELi2ELi3EEEJSt7dividesIsEsEEEvT_T0_DpT1_.numbered_sgpr, 29
	.set _ZN2at6native12_GLOBAL__N_125multi_tensor_apply_kernelINS1_18TensorListMetadataILi4EEENS1_32PointwiseOpScalar0dTensorFunctorIsLi4ELi2ELi3EEEJSt7dividesIsEsEEEvT_T0_DpT1_.num_named_barrier, 0
	.set _ZN2at6native12_GLOBAL__N_125multi_tensor_apply_kernelINS1_18TensorListMetadataILi4EEENS1_32PointwiseOpScalar0dTensorFunctorIsLi4ELi2ELi3EEEJSt7dividesIsEsEEEvT_T0_DpT1_.private_seg_size, 0
	.set _ZN2at6native12_GLOBAL__N_125multi_tensor_apply_kernelINS1_18TensorListMetadataILi4EEENS1_32PointwiseOpScalar0dTensorFunctorIsLi4ELi2ELi3EEEJSt7dividesIsEsEEEvT_T0_DpT1_.uses_vcc, 1
	.set _ZN2at6native12_GLOBAL__N_125multi_tensor_apply_kernelINS1_18TensorListMetadataILi4EEENS1_32PointwiseOpScalar0dTensorFunctorIsLi4ELi2ELi3EEEJSt7dividesIsEsEEEvT_T0_DpT1_.uses_flat_scratch, 0
	.set _ZN2at6native12_GLOBAL__N_125multi_tensor_apply_kernelINS1_18TensorListMetadataILi4EEENS1_32PointwiseOpScalar0dTensorFunctorIsLi4ELi2ELi3EEEJSt7dividesIsEsEEEvT_T0_DpT1_.has_dyn_sized_stack, 0
	.set _ZN2at6native12_GLOBAL__N_125multi_tensor_apply_kernelINS1_18TensorListMetadataILi4EEENS1_32PointwiseOpScalar0dTensorFunctorIsLi4ELi2ELi3EEEJSt7dividesIsEsEEEvT_T0_DpT1_.has_recursion, 0
	.set _ZN2at6native12_GLOBAL__N_125multi_tensor_apply_kernelINS1_18TensorListMetadataILi4EEENS1_32PointwiseOpScalar0dTensorFunctorIsLi4ELi2ELi3EEEJSt7dividesIsEsEEEvT_T0_DpT1_.has_indirect_call, 0
	.section	.AMDGPU.csdata,"",@progbits
; Kernel info:
; codeLenInByte = 2116
; TotalNumSgprs: 31
; NumVgprs: 25
; ScratchSize: 0
; MemoryBound: 0
; FloatMode: 240
; IeeeMode: 1
; LDSByteSize: 0 bytes/workgroup (compile time only)
; SGPRBlocks: 0
; VGPRBlocks: 1
; NumSGPRsForWavesPerEU: 31
; NumVGPRsForWavesPerEU: 25
; NamedBarCnt: 0
; Occupancy: 16
; WaveLimiterHint : 0
; COMPUTE_PGM_RSRC2:SCRATCH_EN: 0
; COMPUTE_PGM_RSRC2:USER_SGPR: 2
; COMPUTE_PGM_RSRC2:TRAP_HANDLER: 0
; COMPUTE_PGM_RSRC2:TGID_X_EN: 1
; COMPUTE_PGM_RSRC2:TGID_Y_EN: 0
; COMPUTE_PGM_RSRC2:TGID_Z_EN: 0
; COMPUTE_PGM_RSRC2:TIDIG_COMP_CNT: 0
	.section	.text._ZN2at6native12_GLOBAL__N_125multi_tensor_apply_kernelINS1_18TensorListMetadataILi4EEENS1_32PointwiseOpScalar0dTensorFunctorIdLi4ELi2ELi3EEEJSt7dividesIdEdEEEvT_T0_DpT1_,"axG",@progbits,_ZN2at6native12_GLOBAL__N_125multi_tensor_apply_kernelINS1_18TensorListMetadataILi4EEENS1_32PointwiseOpScalar0dTensorFunctorIdLi4ELi2ELi3EEEJSt7dividesIdEdEEEvT_T0_DpT1_,comdat
	.globl	_ZN2at6native12_GLOBAL__N_125multi_tensor_apply_kernelINS1_18TensorListMetadataILi4EEENS1_32PointwiseOpScalar0dTensorFunctorIdLi4ELi2ELi3EEEJSt7dividesIdEdEEEvT_T0_DpT1_ ; -- Begin function _ZN2at6native12_GLOBAL__N_125multi_tensor_apply_kernelINS1_18TensorListMetadataILi4EEENS1_32PointwiseOpScalar0dTensorFunctorIdLi4ELi2ELi3EEEJSt7dividesIdEdEEEvT_T0_DpT1_
	.p2align	8
	.type	_ZN2at6native12_GLOBAL__N_125multi_tensor_apply_kernelINS1_18TensorListMetadataILi4EEENS1_32PointwiseOpScalar0dTensorFunctorIdLi4ELi2ELi3EEEJSt7dividesIdEdEEEvT_T0_DpT1_,@function
_ZN2at6native12_GLOBAL__N_125multi_tensor_apply_kernelINS1_18TensorListMetadataILi4EEENS1_32PointwiseOpScalar0dTensorFunctorIdLi4ELi2ELi3EEEJSt7dividesIdEdEEEvT_T0_DpT1_: ; @_ZN2at6native12_GLOBAL__N_125multi_tensor_apply_kernelINS1_18TensorListMetadataILi4EEENS1_32PointwiseOpScalar0dTensorFunctorIdLi4ELi2ELi3EEEJSt7dividesIdEdEEEvT_T0_DpT1_
; %bb.0:
	s_bfe_u32 s2, ttmp6, 0x4000c
	s_and_b32 s3, ttmp6, 15
	s_add_co_i32 s2, s2, 1
	s_getreg_b32 s4, hwreg(HW_REG_IB_STS2, 6, 4)
	s_mul_i32 s2, ttmp9, s2
	s_mov_b32 s13, 0
	s_add_co_i32 s3, s3, s2
	s_cmp_eq_u32 s4, 0
	s_cselect_b32 s12, ttmp9, s3
	s_load_u8 s15, s[0:1], s12 offset:0x5a0
	s_add_nc_u64 s[2:3], s[0:1], s[12:13]
	s_mul_u64 s[4:5], s[12:13], 3
	s_delay_alu instid0(SALU_CYCLE_1)
	s_add_nc_u64 s[2:3], s[2:3], s[4:5]
	s_load_b32 s14, s[2:3], 0x6e0
	s_wait_kmcnt 0x0
	s_clause 0x4
	s_load_b64 s[4:5], s[0:1], s15 offset:0x0 scale_offset
	s_load_b64 s[10:11], s[0:1], s15 offset:0x120 scale_offset
	;; [unrolled: 1-line block ×5, first 2 shown]
	s_wait_xcnt 0x0
	s_ashr_i32 s15, s14, 31
	s_delay_alu instid0(SALU_CYCLE_1)
	s_lshl_b64 s[18:19], s[14:15], 19
	s_wait_kmcnt 0x0
	s_add_nc_u64 s[20:21], s[10:11], s[18:19]
	s_add_nc_u64 s[2:3], s[4:5], s[18:19]
	s_and_b32 s12, s20, 31
	s_and_b64 s[20:21], s[2:3], 31
	s_add_nc_u64 s[4:5], s[6:7], s[18:19]
	s_cmp_lg_u64 s[12:13], 0
	s_add_nc_u64 s[6:7], s[8:9], s[18:19]
	s_cselect_b32 s18, -1, 0
	s_or_b32 s8, s6, s4
	s_load_b64 s[10:11], s[10:11], 0x0
	s_and_b32 s12, s8, 31
	s_load_b64 s[8:9], s[0:1], 0xbf0
	s_cmp_lg_u32 s12, 0
	s_cselect_b32 s19, -1, 0
	s_and_b32 s12, s16, 3
	s_lshl_b64 s[14:15], s[14:15], 16
	s_or_b64 s[12:13], s[20:21], s[12:13]
	s_or_b32 s18, s19, s18
	s_cmp_lg_u64 s[12:13], 0
	s_cselect_b32 s12, -1, 0
	s_delay_alu instid0(SALU_CYCLE_1)
	s_or_b32 s18, s18, s12
	s_sub_nc_u64 s[12:13], s[16:17], s[14:15]
	s_and_not1_b32 vcc_lo, exec_lo, s18
	s_mov_b32 s14, -1
	s_cbranch_vccz .LBB60_21
; %bb.1:
	v_min_i64 v[18:19], 0x10000, s[12:13]
	v_dual_mov_b32 v21, 0 :: v_dual_lshlrev_b32 v20, 2, v0
	s_mov_b32 s24, exec_lo
	s_delay_alu instid0(VALU_DEP_1)
	v_cmpx_lt_i64_e64 v[20:21], v[18:19]
	s_cbranch_execz .LBB60_20
; %bb.2:
	s_wait_kmcnt 0x0
	v_cmp_neq_f64_e64 s25, s[8:9], 1.0
	s_load_b32 s14, s[0:1], 0xc04
	v_dual_mov_b32 v1, v21 :: v_dual_lshlrev_b32 v20, 5, v0
	s_mov_b32 s15, 0
	s_mov_b64 s[16:17], s[4:5]
	s_mov_b64 s[18:19], s[2:3]
	s_delay_alu instid0(VALU_DEP_1)
	v_mov_b64_e32 v[22:23], v[0:1]
	s_mov_b32 s21, s15
	s_mov_b32 s26, s15
	s_mov_b64 s[22:23], s[6:7]
	s_wait_kmcnt 0x0
	s_and_b32 s14, s14, 0xffff
	s_delay_alu instid0(SALU_CYCLE_1)
	s_lshl_b32 s20, s14, 5
	s_branch .LBB60_4
.LBB60_3:                               ;   in Loop: Header=BB60_4 Depth=1
	v_add_nc_u64_e32 v[22:23], s[14:15], v[22:23]
	s_add_nc_u64 s[18:19], s[18:19], s[20:21]
	s_add_nc_u64 s[16:17], s[16:17], s[20:21]
	s_delay_alu instid0(VALU_DEP_1) | instskip(NEXT) | instid1(VALU_DEP_1)
	v_lshlrev_b64_e32 v[6:7], 2, v[22:23]
	v_cmp_ge_i64_e32 vcc_lo, v[6:7], v[18:19]
	v_add_nc_u64_e32 v[6:7], s[22:23], v[20:21]
	s_add_nc_u64 s[22:23], s[22:23], s[20:21]
	s_clause 0x1
	global_store_b128 v[6:7], v[2:5], off
	global_store_b128 v[6:7], v[10:13], off offset:16
	s_or_b32 s26, vcc_lo, s26
	s_wait_xcnt 0x0
	s_and_not1_b32 exec_lo, exec_lo, s26
	s_cbranch_execz .LBB60_20
.LBB60_4:                               ; =>This Inner Loop Header: Depth=1
	v_add_nc_u64_e32 v[24:25], s[16:17], v[20:21]
	v_add_nc_u64_e32 v[26:27], s[18:19], v[20:21]
	s_clause 0x1
	global_load_b128 v[2:5], v[24:25], off
	global_load_b128 v[10:13], v[24:25], off offset:16
	s_clause 0x1
	global_load_b128 v[6:9], v[26:27], off offset:16
	global_load_b128 v[14:17], v[26:27], off
	s_wait_loadcnt 0x3
	v_div_scale_f64 v[28:29], null, v[2:3], v[2:3], s[10:11]
	s_wait_xcnt 0x2
	s_delay_alu instid0(VALU_DEP_1) | instskip(SKIP_2) | instid1(TRANS32_DEP_1)
	v_rcp_f64_e32 v[24:25], v[28:29]
	s_wait_xcnt 0x0
	v_nop
	v_fma_f64 v[26:27], -v[28:29], v[24:25], 1.0
	s_delay_alu instid0(VALU_DEP_1) | instskip(NEXT) | instid1(VALU_DEP_1)
	v_fmac_f64_e32 v[24:25], v[24:25], v[26:27]
	v_fma_f64 v[26:27], -v[28:29], v[24:25], 1.0
	s_delay_alu instid0(VALU_DEP_1) | instskip(SKIP_1) | instid1(VALU_DEP_1)
	v_fmac_f64_e32 v[24:25], v[24:25], v[26:27]
	v_div_scale_f64 v[26:27], vcc_lo, s[10:11], v[2:3], s[10:11]
	v_mul_f64_e32 v[30:31], v[26:27], v[24:25]
	s_delay_alu instid0(VALU_DEP_1) | instskip(NEXT) | instid1(VALU_DEP_1)
	v_fma_f64 v[26:27], -v[28:29], v[30:31], v[26:27]
	v_div_fmas_f64 v[24:25], v[26:27], v[24:25], v[30:31]
	s_and_b32 vcc_lo, exec_lo, s25
	s_delay_alu instid0(VALU_DEP_1)
	v_div_fixup_f64 v[24:25], v[24:25], v[2:3], s[10:11]
	s_cbranch_vccz .LBB60_15
; %bb.5:                                ;   in Loop: Header=BB60_4 Depth=1
	s_wait_loadcnt 0x0
	s_delay_alu instid0(VALU_DEP_1)
	v_fma_f64 v[2:3], s[8:9], v[24:25], v[14:15]
	s_cbranch_execnz .LBB60_7
.LBB60_6:                               ;   in Loop: Header=BB60_4 Depth=1
	s_wait_loadcnt 0x0
	s_delay_alu instid0(VALU_DEP_1)
	v_add_f64_e32 v[2:3], v[14:15], v[24:25]
.LBB60_7:                               ;   in Loop: Header=BB60_4 Depth=1
	s_wait_loadcnt 0x0
	v_div_scale_f64 v[14:15], null, v[4:5], v[4:5], s[10:11]
	s_delay_alu instid0(VALU_DEP_1) | instskip(SKIP_1) | instid1(TRANS32_DEP_1)
	v_rcp_f64_e32 v[24:25], v[14:15]
	v_nop
	v_fma_f64 v[26:27], -v[14:15], v[24:25], 1.0
	s_delay_alu instid0(VALU_DEP_1) | instskip(NEXT) | instid1(VALU_DEP_1)
	v_fmac_f64_e32 v[24:25], v[24:25], v[26:27]
	v_fma_f64 v[26:27], -v[14:15], v[24:25], 1.0
	s_delay_alu instid0(VALU_DEP_1) | instskip(SKIP_1) | instid1(VALU_DEP_1)
	v_fmac_f64_e32 v[24:25], v[24:25], v[26:27]
	v_div_scale_f64 v[26:27], vcc_lo, s[10:11], v[4:5], s[10:11]
	v_mul_f64_e32 v[28:29], v[26:27], v[24:25]
	s_delay_alu instid0(VALU_DEP_1) | instskip(NEXT) | instid1(VALU_DEP_1)
	v_fma_f64 v[14:15], -v[14:15], v[28:29], v[26:27]
	v_div_fmas_f64 v[14:15], v[14:15], v[24:25], v[28:29]
	s_and_not1_b32 vcc_lo, exec_lo, s25
	s_delay_alu instid0(VALU_DEP_1)
	v_div_fixup_f64 v[14:15], v[14:15], v[4:5], s[10:11]
	s_cbranch_vccnz .LBB60_16
; %bb.8:                                ;   in Loop: Header=BB60_4 Depth=1
	s_delay_alu instid0(VALU_DEP_1)
	v_fma_f64 v[4:5], s[8:9], v[14:15], v[16:17]
	s_cbranch_execnz .LBB60_10
.LBB60_9:                               ;   in Loop: Header=BB60_4 Depth=1
	s_delay_alu instid0(VALU_DEP_1)
	v_add_f64_e32 v[4:5], v[16:17], v[14:15]
.LBB60_10:                              ;   in Loop: Header=BB60_4 Depth=1
	v_div_scale_f64 v[14:15], null, v[10:11], v[10:11], s[10:11]
	s_delay_alu instid0(VALU_DEP_1) | instskip(SKIP_1) | instid1(TRANS32_DEP_1)
	v_rcp_f64_e32 v[16:17], v[14:15]
	v_nop
	v_fma_f64 v[24:25], -v[14:15], v[16:17], 1.0
	s_delay_alu instid0(VALU_DEP_1) | instskip(NEXT) | instid1(VALU_DEP_1)
	v_fmac_f64_e32 v[16:17], v[16:17], v[24:25]
	v_fma_f64 v[24:25], -v[14:15], v[16:17], 1.0
	s_delay_alu instid0(VALU_DEP_1) | instskip(SKIP_1) | instid1(VALU_DEP_1)
	v_fmac_f64_e32 v[16:17], v[16:17], v[24:25]
	v_div_scale_f64 v[24:25], vcc_lo, s[10:11], v[10:11], s[10:11]
	v_mul_f64_e32 v[26:27], v[24:25], v[16:17]
	s_delay_alu instid0(VALU_DEP_1) | instskip(NEXT) | instid1(VALU_DEP_1)
	v_fma_f64 v[14:15], -v[14:15], v[26:27], v[24:25]
	v_div_fmas_f64 v[14:15], v[14:15], v[16:17], v[26:27]
	s_and_not1_b32 vcc_lo, exec_lo, s25
	s_delay_alu instid0(VALU_DEP_1)
	v_div_fixup_f64 v[14:15], v[14:15], v[10:11], s[10:11]
	s_cbranch_vccnz .LBB60_17
; %bb.11:                               ;   in Loop: Header=BB60_4 Depth=1
	s_delay_alu instid0(VALU_DEP_1)
	v_fma_f64 v[10:11], s[8:9], v[14:15], v[6:7]
	s_cbranch_execnz .LBB60_13
.LBB60_12:                              ;   in Loop: Header=BB60_4 Depth=1
	s_delay_alu instid0(VALU_DEP_1)
	v_add_f64_e32 v[10:11], v[6:7], v[14:15]
.LBB60_13:                              ;   in Loop: Header=BB60_4 Depth=1
	v_div_scale_f64 v[6:7], null, v[12:13], v[12:13], s[10:11]
	s_delay_alu instid0(VALU_DEP_1) | instskip(SKIP_1) | instid1(TRANS32_DEP_1)
	v_rcp_f64_e32 v[14:15], v[6:7]
	v_nop
	v_fma_f64 v[16:17], -v[6:7], v[14:15], 1.0
	s_delay_alu instid0(VALU_DEP_1) | instskip(NEXT) | instid1(VALU_DEP_1)
	v_fmac_f64_e32 v[14:15], v[14:15], v[16:17]
	v_fma_f64 v[16:17], -v[6:7], v[14:15], 1.0
	s_delay_alu instid0(VALU_DEP_1) | instskip(SKIP_1) | instid1(VALU_DEP_1)
	v_fmac_f64_e32 v[14:15], v[14:15], v[16:17]
	v_div_scale_f64 v[16:17], vcc_lo, s[10:11], v[12:13], s[10:11]
	v_mul_f64_e32 v[24:25], v[16:17], v[14:15]
	s_delay_alu instid0(VALU_DEP_1) | instskip(NEXT) | instid1(VALU_DEP_1)
	v_fma_f64 v[6:7], -v[6:7], v[24:25], v[16:17]
	v_div_fmas_f64 v[6:7], v[6:7], v[14:15], v[24:25]
	s_and_not1_b32 vcc_lo, exec_lo, s25
	s_delay_alu instid0(VALU_DEP_1)
	v_div_fixup_f64 v[6:7], v[6:7], v[12:13], s[10:11]
	s_cbranch_vccnz .LBB60_18
; %bb.14:                               ;   in Loop: Header=BB60_4 Depth=1
	s_delay_alu instid0(VALU_DEP_1)
	v_fma_f64 v[12:13], s[8:9], v[6:7], v[8:9]
	s_cbranch_execnz .LBB60_3
	s_branch .LBB60_19
.LBB60_15:                              ;   in Loop: Header=BB60_4 Depth=1
                                        ; implicit-def: $vgpr2_vgpr3
	s_branch .LBB60_6
.LBB60_16:                              ;   in Loop: Header=BB60_4 Depth=1
	s_branch .LBB60_9
.LBB60_17:                              ;   in Loop: Header=BB60_4 Depth=1
                                        ; implicit-def: $vgpr10_vgpr11
	s_branch .LBB60_12
.LBB60_18:                              ;   in Loop: Header=BB60_4 Depth=1
.LBB60_19:                              ;   in Loop: Header=BB60_4 Depth=1
	s_delay_alu instid0(VALU_DEP_1)
	v_add_f64_e32 v[12:13], v[8:9], v[6:7]
	s_branch .LBB60_3
.LBB60_20:
	s_or_b32 exec_lo, exec_lo, s24
	s_mov_b32 s14, 0
.LBB60_21:
	s_delay_alu instid0(SALU_CYCLE_1)
	s_and_not1_b32 vcc_lo, exec_lo, s14
	s_cbranch_vccnz .LBB60_57
; %bb.22:
	v_cmp_lt_i64_e64 s14, s[12:13], 1
	s_and_b32 vcc_lo, exec_lo, s14
	s_cbranch_vccnz .LBB60_57
; %bb.23:
	v_min_i64 v[2:3], 0x10000, s[12:13]
	s_wait_kmcnt 0x0
	v_cmp_neq_f64_e64 s20, s[8:9], 1.0
	v_min_u64 v[4:5], 0x10000, s[12:13]
	s_wait_xcnt 0x0
	s_load_b32 s0, s[0:1], 0xc04
	v_mov_b32_e32 v1, 0
	s_wait_xcnt 0x0
	s_mov_b32 s1, 0
	s_mov_b64 s[18:19], 0
	s_mov_b32 s13, s1
	s_mov_b32 s15, s1
	;; [unrolled: 1-line block ×3, first 2 shown]
	s_wait_kmcnt 0x0
	s_and_b32 s0, s0, 0xffff
	s_delay_alu instid0(SALU_CYCLE_1)
	s_lshl_b32 s12, s0, 1
	s_mul_i32 s14, s0, 3
	s_lshl_b32 s16, s0, 2
	s_branch .LBB60_25
.LBB60_24:                              ;   in Loop: Header=BB60_25 Depth=1
	s_wait_xcnt 0x0
	s_or_b32 exec_lo, exec_lo, s21
	s_add_nc_u64 s[18:19], s[18:19], s[16:17]
	s_delay_alu instid0(SALU_CYCLE_1)
	v_cmp_ge_i64_e32 vcc_lo, s[18:19], v[2:3]
	s_cbranch_vccnz .LBB60_57
.LBB60_25:                              ; =>This Inner Loop Header: Depth=1
	v_add_nc_u64_e32 v[6:7], s[18:19], v[0:1]
	v_mov_b64_e32 v[22:23], 0
	v_mov_b64_e32 v[20:21], 0
	;; [unrolled: 1-line block ×3, first 2 shown]
	s_mov_b32 s21, exec_lo
	s_delay_alu instid0(VALU_DEP_4)
	v_cmpx_lt_i64_e64 v[6:7], v[2:3]
	s_cbranch_execz .LBB60_27
; %bb.26:                               ;   in Loop: Header=BB60_25 Depth=1
	v_lshlrev_b64_e32 v[8:9], 3, v[6:7]
	s_delay_alu instid0(VALU_DEP_1)
	v_add_nc_u64_e32 v[10:11], s[2:3], v[8:9]
	v_add_nc_u64_e32 v[8:9], s[4:5], v[8:9]
	global_load_b64 v[28:29], v[10:11], off
	global_load_b64 v[20:21], v[8:9], off
.LBB60_27:                              ;   in Loop: Header=BB60_25 Depth=1
	s_wait_xcnt 0x0
	s_or_b32 exec_lo, exec_lo, s21
	v_add_nc_u64_e32 v[8:9], s[0:1], v[6:7]
	v_mov_b64_e32 v[24:25], 0
	s_mov_b32 s21, exec_lo
	s_delay_alu instid0(VALU_DEP_2)
	v_cmpx_lt_i64_e64 v[8:9], v[2:3]
	s_cbranch_execz .LBB60_29
; %bb.28:                               ;   in Loop: Header=BB60_25 Depth=1
	v_lshlrev_b64_e32 v[10:11], 3, v[8:9]
	s_delay_alu instid0(VALU_DEP_1)
	v_add_nc_u64_e32 v[12:13], s[2:3], v[10:11]
	v_add_nc_u64_e32 v[10:11], s[4:5], v[10:11]
	global_load_b64 v[24:25], v[12:13], off
	global_load_b64 v[22:23], v[10:11], off
.LBB60_29:                              ;   in Loop: Header=BB60_25 Depth=1
	s_wait_xcnt 0x0
	s_or_b32 exec_lo, exec_lo, s21
	v_add_nc_u64_e32 v[10:11], s[12:13], v[6:7]
	v_mov_b64_e32 v[14:15], 0
	v_mov_b64_e32 v[26:27], 0
	;; [unrolled: 1-line block ×3, first 2 shown]
	s_mov_b32 s21, exec_lo
	s_delay_alu instid0(VALU_DEP_4)
	v_cmpx_lt_i64_e64 v[10:11], v[2:3]
	s_cbranch_execz .LBB60_31
; %bb.30:                               ;   in Loop: Header=BB60_25 Depth=1
	v_lshlrev_b64_e32 v[12:13], 3, v[10:11]
	s_delay_alu instid0(VALU_DEP_1)
	v_add_nc_u64_e32 v[16:17], s[2:3], v[12:13]
	v_add_nc_u64_e32 v[12:13], s[4:5], v[12:13]
	global_load_b64 v[18:19], v[16:17], off
	global_load_b64 v[26:27], v[12:13], off
.LBB60_31:                              ;   in Loop: Header=BB60_25 Depth=1
	s_wait_xcnt 0x0
	s_or_b32 exec_lo, exec_lo, s21
	v_add_nc_u64_e32 v[12:13], s[14:15], v[6:7]
	v_mov_b64_e32 v[16:17], 0
	s_mov_b32 s21, exec_lo
	s_delay_alu instid0(VALU_DEP_2)
	v_cmpx_lt_i64_e64 v[12:13], v[2:3]
	s_cbranch_execz .LBB60_33
; %bb.32:                               ;   in Loop: Header=BB60_25 Depth=1
	v_lshlrev_b64_e32 v[14:15], 3, v[12:13]
	s_delay_alu instid0(VALU_DEP_1)
	v_add_nc_u64_e32 v[30:31], s[2:3], v[14:15]
	v_add_nc_u64_e32 v[32:33], s[4:5], v[14:15]
	global_load_b64 v[16:17], v[30:31], off
	global_load_b64 v[14:15], v[32:33], off
.LBB60_33:                              ;   in Loop: Header=BB60_25 Depth=1
	s_wait_xcnt 0x0
	s_or_b32 exec_lo, exec_lo, s21
	s_wait_loadcnt 0x0
	v_div_scale_f64 v[30:31], null, v[20:21], v[20:21], s[10:11]
	s_delay_alu instid0(VALU_DEP_1) | instskip(SKIP_1) | instid1(TRANS32_DEP_1)
	v_rcp_f64_e32 v[32:33], v[30:31]
	v_nop
	v_fma_f64 v[34:35], -v[30:31], v[32:33], 1.0
	s_delay_alu instid0(VALU_DEP_1) | instskip(NEXT) | instid1(VALU_DEP_1)
	v_fmac_f64_e32 v[32:33], v[32:33], v[34:35]
	v_fma_f64 v[34:35], -v[30:31], v[32:33], 1.0
	s_delay_alu instid0(VALU_DEP_1) | instskip(SKIP_1) | instid1(VALU_DEP_1)
	v_fmac_f64_e32 v[32:33], v[32:33], v[34:35]
	v_div_scale_f64 v[34:35], vcc_lo, s[10:11], v[20:21], s[10:11]
	v_mul_f64_e32 v[36:37], v[34:35], v[32:33]
	s_delay_alu instid0(VALU_DEP_1) | instskip(NEXT) | instid1(VALU_DEP_1)
	v_fma_f64 v[30:31], -v[30:31], v[36:37], v[34:35]
	v_div_fmas_f64 v[30:31], v[30:31], v[32:33], v[36:37]
	s_and_b32 vcc_lo, exec_lo, s20
	s_delay_alu instid0(VALU_DEP_1)
	v_div_fixup_f64 v[30:31], v[30:31], v[20:21], s[10:11]
	s_cbranch_vccz .LBB60_53
; %bb.34:                               ;   in Loop: Header=BB60_25 Depth=1
	s_delay_alu instid0(VALU_DEP_1)
	v_fma_f64 v[20:21], s[8:9], v[30:31], v[28:29]
	s_cbranch_execnz .LBB60_36
.LBB60_35:                              ;   in Loop: Header=BB60_25 Depth=1
	s_delay_alu instid0(VALU_DEP_1)
	v_add_f64_e32 v[20:21], v[28:29], v[30:31]
.LBB60_36:                              ;   in Loop: Header=BB60_25 Depth=1
	v_div_scale_f64 v[28:29], null, v[22:23], v[22:23], s[10:11]
	s_delay_alu instid0(VALU_DEP_1) | instskip(SKIP_1) | instid1(TRANS32_DEP_1)
	v_rcp_f64_e32 v[30:31], v[28:29]
	v_nop
	v_fma_f64 v[32:33], -v[28:29], v[30:31], 1.0
	s_delay_alu instid0(VALU_DEP_1) | instskip(NEXT) | instid1(VALU_DEP_1)
	v_fmac_f64_e32 v[30:31], v[30:31], v[32:33]
	v_fma_f64 v[32:33], -v[28:29], v[30:31], 1.0
	s_delay_alu instid0(VALU_DEP_1) | instskip(SKIP_1) | instid1(VALU_DEP_1)
	v_fmac_f64_e32 v[30:31], v[30:31], v[32:33]
	v_div_scale_f64 v[32:33], vcc_lo, s[10:11], v[22:23], s[10:11]
	v_mul_f64_e32 v[34:35], v[32:33], v[30:31]
	s_delay_alu instid0(VALU_DEP_1) | instskip(NEXT) | instid1(VALU_DEP_1)
	v_fma_f64 v[28:29], -v[28:29], v[34:35], v[32:33]
	v_div_fmas_f64 v[28:29], v[28:29], v[30:31], v[34:35]
	s_and_not1_b32 vcc_lo, exec_lo, s20
	s_delay_alu instid0(VALU_DEP_1)
	v_div_fixup_f64 v[28:29], v[28:29], v[22:23], s[10:11]
	s_cbranch_vccnz .LBB60_54
; %bb.37:                               ;   in Loop: Header=BB60_25 Depth=1
	s_delay_alu instid0(VALU_DEP_1)
	v_fma_f64 v[22:23], s[8:9], v[28:29], v[24:25]
	s_cbranch_execnz .LBB60_39
.LBB60_38:                              ;   in Loop: Header=BB60_25 Depth=1
	s_delay_alu instid0(VALU_DEP_1)
	v_add_f64_e32 v[22:23], v[24:25], v[28:29]
.LBB60_39:                              ;   in Loop: Header=BB60_25 Depth=1
	v_div_scale_f64 v[24:25], null, v[26:27], v[26:27], s[10:11]
	s_delay_alu instid0(VALU_DEP_1) | instskip(SKIP_1) | instid1(TRANS32_DEP_1)
	v_rcp_f64_e32 v[28:29], v[24:25]
	v_nop
	v_fma_f64 v[30:31], -v[24:25], v[28:29], 1.0
	s_delay_alu instid0(VALU_DEP_1) | instskip(NEXT) | instid1(VALU_DEP_1)
	v_fmac_f64_e32 v[28:29], v[28:29], v[30:31]
	v_fma_f64 v[30:31], -v[24:25], v[28:29], 1.0
	s_delay_alu instid0(VALU_DEP_1) | instskip(SKIP_1) | instid1(VALU_DEP_1)
	v_fmac_f64_e32 v[28:29], v[28:29], v[30:31]
	v_div_scale_f64 v[30:31], vcc_lo, s[10:11], v[26:27], s[10:11]
	v_mul_f64_e32 v[32:33], v[30:31], v[28:29]
	s_delay_alu instid0(VALU_DEP_1) | instskip(NEXT) | instid1(VALU_DEP_1)
	v_fma_f64 v[24:25], -v[24:25], v[32:33], v[30:31]
	v_div_fmas_f64 v[24:25], v[24:25], v[28:29], v[32:33]
	s_and_not1_b32 vcc_lo, exec_lo, s20
	s_delay_alu instid0(VALU_DEP_1)
	v_div_fixup_f64 v[26:27], v[24:25], v[26:27], s[10:11]
	s_cbranch_vccnz .LBB60_55
; %bb.40:                               ;   in Loop: Header=BB60_25 Depth=1
	s_delay_alu instid0(VALU_DEP_1)
	v_fma_f64 v[24:25], s[8:9], v[26:27], v[18:19]
	s_cbranch_execnz .LBB60_42
.LBB60_41:                              ;   in Loop: Header=BB60_25 Depth=1
	s_delay_alu instid0(VALU_DEP_1)
	v_add_f64_e32 v[24:25], v[18:19], v[26:27]
.LBB60_42:                              ;   in Loop: Header=BB60_25 Depth=1
	v_div_scale_f64 v[18:19], null, v[14:15], v[14:15], s[10:11]
	s_delay_alu instid0(VALU_DEP_1) | instskip(SKIP_1) | instid1(TRANS32_DEP_1)
	v_rcp_f64_e32 v[26:27], v[18:19]
	v_nop
	v_fma_f64 v[28:29], -v[18:19], v[26:27], 1.0
	s_delay_alu instid0(VALU_DEP_1) | instskip(NEXT) | instid1(VALU_DEP_1)
	v_fmac_f64_e32 v[26:27], v[26:27], v[28:29]
	v_fma_f64 v[28:29], -v[18:19], v[26:27], 1.0
	s_delay_alu instid0(VALU_DEP_1) | instskip(SKIP_1) | instid1(VALU_DEP_1)
	v_fmac_f64_e32 v[26:27], v[26:27], v[28:29]
	v_div_scale_f64 v[28:29], vcc_lo, s[10:11], v[14:15], s[10:11]
	v_mul_f64_e32 v[30:31], v[28:29], v[26:27]
	s_delay_alu instid0(VALU_DEP_1) | instskip(NEXT) | instid1(VALU_DEP_1)
	v_fma_f64 v[18:19], -v[18:19], v[30:31], v[28:29]
	v_div_fmas_f64 v[18:19], v[18:19], v[26:27], v[30:31]
	s_and_not1_b32 vcc_lo, exec_lo, s20
	s_delay_alu instid0(VALU_DEP_1)
	v_div_fixup_f64 v[18:19], v[18:19], v[14:15], s[10:11]
	s_cbranch_vccnz .LBB60_56
; %bb.43:                               ;   in Loop: Header=BB60_25 Depth=1
	s_delay_alu instid0(VALU_DEP_1)
	v_fma_f64 v[14:15], s[8:9], v[18:19], v[16:17]
	s_cbranch_execnz .LBB60_45
.LBB60_44:                              ;   in Loop: Header=BB60_25 Depth=1
	s_delay_alu instid0(VALU_DEP_1)
	v_add_f64_e32 v[14:15], v[16:17], v[18:19]
.LBB60_45:                              ;   in Loop: Header=BB60_25 Depth=1
	s_mov_b32 s21, exec_lo
	v_cmpx_lt_u64_e64 v[6:7], v[4:5]
	s_xor_b32 s21, exec_lo, s21
	s_cbranch_execz .LBB60_47
; %bb.46:                               ;   in Loop: Header=BB60_25 Depth=1
	v_lshl_add_u64 v[6:7], v[6:7], 3, s[6:7]
	global_store_b64 v[6:7], v[20:21], off
.LBB60_47:                              ;   in Loop: Header=BB60_25 Depth=1
	s_wait_xcnt 0x0
	s_or_b32 exec_lo, exec_lo, s21
	s_delay_alu instid0(SALU_CYCLE_1)
	s_mov_b32 s21, exec_lo
	v_cmpx_lt_u64_e64 v[8:9], v[4:5]
	s_cbranch_execnz .LBB60_50
; %bb.48:                               ;   in Loop: Header=BB60_25 Depth=1
	s_or_b32 exec_lo, exec_lo, s21
	s_delay_alu instid0(SALU_CYCLE_1)
	s_mov_b32 s21, exec_lo
	v_cmpx_lt_u64_e64 v[10:11], v[4:5]
	s_cbranch_execnz .LBB60_51
.LBB60_49:                              ;   in Loop: Header=BB60_25 Depth=1
	s_or_b32 exec_lo, exec_lo, s21
	s_delay_alu instid0(SALU_CYCLE_1)
	s_mov_b32 s21, exec_lo
	v_cmpx_lt_u64_e64 v[12:13], v[4:5]
	s_cbranch_execz .LBB60_24
	s_branch .LBB60_52
.LBB60_50:                              ;   in Loop: Header=BB60_25 Depth=1
	v_lshl_add_u64 v[6:7], v[8:9], 3, s[6:7]
	global_store_b64 v[6:7], v[22:23], off
	s_wait_xcnt 0x0
	s_or_b32 exec_lo, exec_lo, s21
	s_delay_alu instid0(SALU_CYCLE_1)
	s_mov_b32 s21, exec_lo
	v_cmpx_lt_u64_e64 v[10:11], v[4:5]
	s_cbranch_execz .LBB60_49
.LBB60_51:                              ;   in Loop: Header=BB60_25 Depth=1
	v_lshl_add_u64 v[6:7], v[10:11], 3, s[6:7]
	global_store_b64 v[6:7], v[24:25], off
	s_wait_xcnt 0x0
	s_or_b32 exec_lo, exec_lo, s21
	s_delay_alu instid0(SALU_CYCLE_1)
	s_mov_b32 s21, exec_lo
	v_cmpx_lt_u64_e64 v[12:13], v[4:5]
	s_cbranch_execz .LBB60_24
.LBB60_52:                              ;   in Loop: Header=BB60_25 Depth=1
	v_lshl_add_u64 v[6:7], v[12:13], 3, s[6:7]
	global_store_b64 v[6:7], v[14:15], off
	s_branch .LBB60_24
.LBB60_53:                              ;   in Loop: Header=BB60_25 Depth=1
                                        ; implicit-def: $vgpr20_vgpr21
	s_branch .LBB60_35
.LBB60_54:                              ;   in Loop: Header=BB60_25 Depth=1
                                        ; implicit-def: $vgpr22_vgpr23
	s_branch .LBB60_38
.LBB60_55:                              ;   in Loop: Header=BB60_25 Depth=1
                                        ; implicit-def: $vgpr24_vgpr25
	s_branch .LBB60_41
.LBB60_56:                              ;   in Loop: Header=BB60_25 Depth=1
                                        ; implicit-def: $vgpr14_vgpr15
	s_branch .LBB60_44
.LBB60_57:
	s_endpgm
	.section	.rodata,"a",@progbits
	.p2align	6, 0x0
	.amdhsa_kernel _ZN2at6native12_GLOBAL__N_125multi_tensor_apply_kernelINS1_18TensorListMetadataILi4EEENS1_32PointwiseOpScalar0dTensorFunctorIdLi4ELi2ELi3EEEJSt7dividesIdEdEEEvT_T0_DpT1_
		.amdhsa_group_segment_fixed_size 0
		.amdhsa_private_segment_fixed_size 0
		.amdhsa_kernarg_size 3320
		.amdhsa_user_sgpr_count 2
		.amdhsa_user_sgpr_dispatch_ptr 0
		.amdhsa_user_sgpr_queue_ptr 0
		.amdhsa_user_sgpr_kernarg_segment_ptr 1
		.amdhsa_user_sgpr_dispatch_id 0
		.amdhsa_user_sgpr_kernarg_preload_length 0
		.amdhsa_user_sgpr_kernarg_preload_offset 0
		.amdhsa_user_sgpr_private_segment_size 0
		.amdhsa_wavefront_size32 1
		.amdhsa_uses_dynamic_stack 0
		.amdhsa_enable_private_segment 0
		.amdhsa_system_sgpr_workgroup_id_x 1
		.amdhsa_system_sgpr_workgroup_id_y 0
		.amdhsa_system_sgpr_workgroup_id_z 0
		.amdhsa_system_sgpr_workgroup_info 0
		.amdhsa_system_vgpr_workitem_id 0
		.amdhsa_next_free_vgpr 38
		.amdhsa_next_free_sgpr 27
		.amdhsa_named_barrier_count 0
		.amdhsa_reserve_vcc 1
		.amdhsa_float_round_mode_32 0
		.amdhsa_float_round_mode_16_64 0
		.amdhsa_float_denorm_mode_32 3
		.amdhsa_float_denorm_mode_16_64 3
		.amdhsa_fp16_overflow 0
		.amdhsa_memory_ordered 1
		.amdhsa_forward_progress 1
		.amdhsa_inst_pref_size 19
		.amdhsa_round_robin_scheduling 0
		.amdhsa_exception_fp_ieee_invalid_op 0
		.amdhsa_exception_fp_denorm_src 0
		.amdhsa_exception_fp_ieee_div_zero 0
		.amdhsa_exception_fp_ieee_overflow 0
		.amdhsa_exception_fp_ieee_underflow 0
		.amdhsa_exception_fp_ieee_inexact 0
		.amdhsa_exception_int_div_zero 0
	.end_amdhsa_kernel
	.section	.text._ZN2at6native12_GLOBAL__N_125multi_tensor_apply_kernelINS1_18TensorListMetadataILi4EEENS1_32PointwiseOpScalar0dTensorFunctorIdLi4ELi2ELi3EEEJSt7dividesIdEdEEEvT_T0_DpT1_,"axG",@progbits,_ZN2at6native12_GLOBAL__N_125multi_tensor_apply_kernelINS1_18TensorListMetadataILi4EEENS1_32PointwiseOpScalar0dTensorFunctorIdLi4ELi2ELi3EEEJSt7dividesIdEdEEEvT_T0_DpT1_,comdat
.Lfunc_end60:
	.size	_ZN2at6native12_GLOBAL__N_125multi_tensor_apply_kernelINS1_18TensorListMetadataILi4EEENS1_32PointwiseOpScalar0dTensorFunctorIdLi4ELi2ELi3EEEJSt7dividesIdEdEEEvT_T0_DpT1_, .Lfunc_end60-_ZN2at6native12_GLOBAL__N_125multi_tensor_apply_kernelINS1_18TensorListMetadataILi4EEENS1_32PointwiseOpScalar0dTensorFunctorIdLi4ELi2ELi3EEEJSt7dividesIdEdEEEvT_T0_DpT1_
                                        ; -- End function
	.set _ZN2at6native12_GLOBAL__N_125multi_tensor_apply_kernelINS1_18TensorListMetadataILi4EEENS1_32PointwiseOpScalar0dTensorFunctorIdLi4ELi2ELi3EEEJSt7dividesIdEdEEEvT_T0_DpT1_.num_vgpr, 38
	.set _ZN2at6native12_GLOBAL__N_125multi_tensor_apply_kernelINS1_18TensorListMetadataILi4EEENS1_32PointwiseOpScalar0dTensorFunctorIdLi4ELi2ELi3EEEJSt7dividesIdEdEEEvT_T0_DpT1_.num_agpr, 0
	.set _ZN2at6native12_GLOBAL__N_125multi_tensor_apply_kernelINS1_18TensorListMetadataILi4EEENS1_32PointwiseOpScalar0dTensorFunctorIdLi4ELi2ELi3EEEJSt7dividesIdEdEEEvT_T0_DpT1_.numbered_sgpr, 27
	.set _ZN2at6native12_GLOBAL__N_125multi_tensor_apply_kernelINS1_18TensorListMetadataILi4EEENS1_32PointwiseOpScalar0dTensorFunctorIdLi4ELi2ELi3EEEJSt7dividesIdEdEEEvT_T0_DpT1_.num_named_barrier, 0
	.set _ZN2at6native12_GLOBAL__N_125multi_tensor_apply_kernelINS1_18TensorListMetadataILi4EEENS1_32PointwiseOpScalar0dTensorFunctorIdLi4ELi2ELi3EEEJSt7dividesIdEdEEEvT_T0_DpT1_.private_seg_size, 0
	.set _ZN2at6native12_GLOBAL__N_125multi_tensor_apply_kernelINS1_18TensorListMetadataILi4EEENS1_32PointwiseOpScalar0dTensorFunctorIdLi4ELi2ELi3EEEJSt7dividesIdEdEEEvT_T0_DpT1_.uses_vcc, 1
	.set _ZN2at6native12_GLOBAL__N_125multi_tensor_apply_kernelINS1_18TensorListMetadataILi4EEENS1_32PointwiseOpScalar0dTensorFunctorIdLi4ELi2ELi3EEEJSt7dividesIdEdEEEvT_T0_DpT1_.uses_flat_scratch, 0
	.set _ZN2at6native12_GLOBAL__N_125multi_tensor_apply_kernelINS1_18TensorListMetadataILi4EEENS1_32PointwiseOpScalar0dTensorFunctorIdLi4ELi2ELi3EEEJSt7dividesIdEdEEEvT_T0_DpT1_.has_dyn_sized_stack, 0
	.set _ZN2at6native12_GLOBAL__N_125multi_tensor_apply_kernelINS1_18TensorListMetadataILi4EEENS1_32PointwiseOpScalar0dTensorFunctorIdLi4ELi2ELi3EEEJSt7dividesIdEdEEEvT_T0_DpT1_.has_recursion, 0
	.set _ZN2at6native12_GLOBAL__N_125multi_tensor_apply_kernelINS1_18TensorListMetadataILi4EEENS1_32PointwiseOpScalar0dTensorFunctorIdLi4ELi2ELi3EEEJSt7dividesIdEdEEEvT_T0_DpT1_.has_indirect_call, 0
	.section	.AMDGPU.csdata,"",@progbits
; Kernel info:
; codeLenInByte = 2336
; TotalNumSgprs: 29
; NumVgprs: 38
; ScratchSize: 0
; MemoryBound: 1
; FloatMode: 240
; IeeeMode: 1
; LDSByteSize: 0 bytes/workgroup (compile time only)
; SGPRBlocks: 0
; VGPRBlocks: 2
; NumSGPRsForWavesPerEU: 29
; NumVGPRsForWavesPerEU: 38
; NamedBarCnt: 0
; Occupancy: 16
; WaveLimiterHint : 0
; COMPUTE_PGM_RSRC2:SCRATCH_EN: 0
; COMPUTE_PGM_RSRC2:USER_SGPR: 2
; COMPUTE_PGM_RSRC2:TRAP_HANDLER: 0
; COMPUTE_PGM_RSRC2:TGID_X_EN: 1
; COMPUTE_PGM_RSRC2:TGID_Y_EN: 0
; COMPUTE_PGM_RSRC2:TGID_Z_EN: 0
; COMPUTE_PGM_RSRC2:TIDIG_COMP_CNT: 0
	.section	.text._ZN2at6native12_GLOBAL__N_125multi_tensor_apply_kernelINS1_18TensorListMetadataILi4EEENS1_32PointwiseOpScalar0dTensorFunctorIfLi4ELi2ELi3EEEJSt7dividesIfEfEEEvT_T0_DpT1_,"axG",@progbits,_ZN2at6native12_GLOBAL__N_125multi_tensor_apply_kernelINS1_18TensorListMetadataILi4EEENS1_32PointwiseOpScalar0dTensorFunctorIfLi4ELi2ELi3EEEJSt7dividesIfEfEEEvT_T0_DpT1_,comdat
	.globl	_ZN2at6native12_GLOBAL__N_125multi_tensor_apply_kernelINS1_18TensorListMetadataILi4EEENS1_32PointwiseOpScalar0dTensorFunctorIfLi4ELi2ELi3EEEJSt7dividesIfEfEEEvT_T0_DpT1_ ; -- Begin function _ZN2at6native12_GLOBAL__N_125multi_tensor_apply_kernelINS1_18TensorListMetadataILi4EEENS1_32PointwiseOpScalar0dTensorFunctorIfLi4ELi2ELi3EEEJSt7dividesIfEfEEEvT_T0_DpT1_
	.p2align	8
	.type	_ZN2at6native12_GLOBAL__N_125multi_tensor_apply_kernelINS1_18TensorListMetadataILi4EEENS1_32PointwiseOpScalar0dTensorFunctorIfLi4ELi2ELi3EEEJSt7dividesIfEfEEEvT_T0_DpT1_,@function
_ZN2at6native12_GLOBAL__N_125multi_tensor_apply_kernelINS1_18TensorListMetadataILi4EEENS1_32PointwiseOpScalar0dTensorFunctorIfLi4ELi2ELi3EEEJSt7dividesIfEfEEEvT_T0_DpT1_: ; @_ZN2at6native12_GLOBAL__N_125multi_tensor_apply_kernelINS1_18TensorListMetadataILi4EEENS1_32PointwiseOpScalar0dTensorFunctorIfLi4ELi2ELi3EEEJSt7dividesIfEfEEEvT_T0_DpT1_
; %bb.0:
	s_bfe_u32 s2, ttmp6, 0x4000c
	s_and_b32 s3, ttmp6, 15
	s_add_co_i32 s2, s2, 1
	s_getreg_b32 s4, hwreg(HW_REG_IB_STS2, 6, 4)
	s_mul_i32 s2, ttmp9, s2
	s_mov_b32 s17, 0
	s_add_co_i32 s3, s3, s2
	s_cmp_eq_u32 s4, 0
	s_cselect_b32 s16, ttmp9, s3
	s_load_u8 s8, s[0:1], s16 offset:0x5a0
	s_add_nc_u64 s[2:3], s[0:1], s[16:17]
	s_mul_u64 s[4:5], s[16:17], 3
	s_delay_alu instid0(SALU_CYCLE_1)
	s_add_nc_u64 s[6:7], s[2:3], s[4:5]
	s_load_b32 s18, s[6:7], 0x6e0
	s_wait_kmcnt 0x0
	s_clause 0x4
	s_load_b64 s[2:3], s[0:1], s8 offset:0x0 scale_offset
	s_load_b64 s[20:21], s[0:1], s8 offset:0x120 scale_offset
	;; [unrolled: 1-line block ×5, first 2 shown]
	s_ashr_i32 s19, s18, 31
	s_delay_alu instid0(SALU_CYCLE_1)
	s_lshl_b64 s[24:25], s[18:19], 18
	s_wait_kmcnt 0x0
	s_load_b32 s26, s[20:21], 0x0
	s_add_nc_u64 s[10:11], s[20:21], s[24:25]
	s_add_nc_u64 s[6:7], s[2:3], s[24:25]
	s_and_b32 s16, s10, 15
	s_and_b64 s[28:29], s[6:7], 15
	s_add_nc_u64 s[8:9], s[4:5], s[24:25]
	s_cmp_lg_u64 s[16:17], 0
	s_add_nc_u64 s[10:11], s[14:15], s[24:25]
	s_cselect_b32 s13, -1, 0
	s_or_b32 s12, s10, s8
	s_delay_alu instid0(SALU_CYCLE_1)
	s_and_b32 s16, s12, 15
	s_load_b32 s12, s[0:1], 0xbec
	s_cmp_lg_u32 s16, 0
	s_wait_xcnt 0x0
	s_cselect_b32 s20, -1, 0
	s_and_b32 s16, s22, 3
	s_lshl_b64 s[18:19], s[18:19], 16
	s_or_b64 s[16:17], s[28:29], s[16:17]
	s_or_b32 s13, s20, s13
	s_cmp_lg_u64 s[16:17], 0
	s_cselect_b32 s16, -1, 0
	s_delay_alu instid0(SALU_CYCLE_1)
	s_or_b32 s13, s13, s16
	s_sub_nc_u64 s[16:17], s[22:23], s[18:19]
	s_and_not1_b32 vcc_lo, exec_lo, s13
	s_mov_b32 s13, -1
	s_cbranch_vccz .LBB61_5
; %bb.1:
	v_min_i64 v[2:3], 0x10000, s[16:17]
	v_dual_mov_b32 v7, 0 :: v_dual_lshlrev_b32 v6, 2, v0
	s_mov_b32 s27, exec_lo
	s_delay_alu instid0(VALU_DEP_1)
	v_cmpx_lt_i64_e64 v[6:7], v[2:3]
	s_cbranch_execz .LBB61_4
; %bb.2:
	s_load_b32 s18, s[0:1], 0xbfc
	v_dual_mov_b32 v1, v7 :: v_dual_lshlrev_b32 v6, 4, v0
	s_wait_kmcnt 0x0
	s_mov_b32 s13, s12
	s_cmp_eq_f32 s12, 1.0
	v_mov_b64_e32 v[4:5], s[12:13]
	v_mov_b64_e32 v[8:9], v[0:1]
	v_add_nc_u64_e32 v[6:7], s[24:25], v[6:7]
	s_mov_b32 s19, 0
	s_add_nc_u64 s[20:21], s[2:3], 8
	s_cselect_b32 s2, -1, 0
	s_mov_b32 s28, s26
	s_add_nc_u64 s[22:23], s[4:5], 8
	s_mov_b32 s25, s19
	s_mov_b32 s13, s19
	s_and_b32 s18, s18, 0xffff
	s_delay_alu instid0(SALU_CYCLE_1)
	s_lshl_b32 s24, s18, 4
.LBB61_3:                               ; =>This Inner Loop Header: Depth=1
	v_add_nc_u64_e32 v[10:11], s[22:23], v[6:7]
	v_add_nc_u64_e32 v[14:15], s[20:21], v[6:7]
	;; [unrolled: 1-line block ×5, first 2 shown]
	global_load_b128 v[10:13], v[10:11], off offset:-8
	global_load_b128 v[14:17], v[14:15], off offset:-8
	v_lshlrev_b64_e32 v[20:21], 2, v[8:9]
	s_wait_loadcnt 0x1
	v_div_scale_f32 v1, null, v11, v11, s28
	v_div_scale_f32 v23, null, v10, v10, s26
	;; [unrolled: 1-line block ×3, first 2 shown]
	s_delay_alu instid0(VALU_DEP_3) | instskip(SKIP_1) | instid1(VALU_DEP_3)
	v_rcp_f32_e32 v29, v1
	v_div_scale_f32 v27, null, v12, v12, s26
	v_rcp_f32_e32 v30, v23
	s_delay_alu instid0(VALU_DEP_2) | instskip(SKIP_1) | instid1(VALU_DEP_2)
	v_rcp_f32_e32 v31, v25
	v_div_scale_f32 v22, vcc_lo, s28, v11, s28
	v_rcp_f32_e32 v32, v27
	v_fma_f32 v33, -v1, v29, 1.0
	v_div_scale_f32 v24, s3, s26, v10, s26
	s_delay_alu instid0(TRANS32_DEP_3) | instskip(NEXT) | instid1(TRANS32_DEP_2)
	v_fma_f32 v34, -v23, v30, 1.0
	v_fma_f32 v35, -v25, v31, 1.0
	s_delay_alu instid0(VALU_DEP_4) | instskip(NEXT) | instid1(TRANS32_DEP_1)
	v_fmac_f32_e32 v29, v33, v29
	v_fma_f32 v36, -v27, v32, 1.0
	v_div_scale_f32 v26, s4, s28, v13, s28
	s_delay_alu instid0(VALU_DEP_4) | instskip(NEXT) | instid1(VALU_DEP_3)
	v_dual_fmac_f32 v30, v34, v30 :: v_dual_fmac_f32 v31, v35, v31
	v_dual_fmac_f32 v32, v36, v32 :: v_dual_mul_f32 v33, v22, v29
	v_div_scale_f32 v28, s5, s26, v12, s26
	s_delay_alu instid0(VALU_DEP_3) | instskip(NEXT) | instid1(VALU_DEP_2)
	v_dual_mul_f32 v34, v24, v30 :: v_dual_mul_f32 v35, v26, v31
	v_dual_fma_f32 v37, -v1, v33, v22 :: v_dual_mul_f32 v36, v28, v32
	s_delay_alu instid0(VALU_DEP_2) | instskip(NEXT) | instid1(VALU_DEP_2)
	v_dual_fma_f32 v38, -v23, v34, v24 :: v_dual_fma_f32 v39, -v25, v35, v26
	v_dual_fmac_f32 v33, v37, v29 :: v_dual_fma_f32 v40, -v27, v36, v28
	s_delay_alu instid0(VALU_DEP_2) | instskip(NEXT) | instid1(VALU_DEP_2)
	v_dual_fmac_f32 v34, v38, v30 :: v_dual_fmac_f32 v35, v39, v31
	v_dual_fma_f32 v1, -v1, v33, v22 :: v_dual_fmac_f32 v36, v40, v32
	s_delay_alu instid0(VALU_DEP_2) | instskip(NEXT) | instid1(VALU_DEP_2)
	v_dual_fma_f32 v22, -v23, v34, v24 :: v_dual_fma_f32 v23, -v25, v35, v26
	v_div_fmas_f32 v1, v1, v29, v33
	s_mov_b32 vcc_lo, s3
	s_delay_alu instid0(VALU_DEP_3) | instskip(NEXT) | instid1(VALU_DEP_3)
	v_fma_f32 v24, -v27, v36, v28
	v_div_fmas_f32 v22, v22, v30, v34
	s_mov_b32 vcc_lo, s4
	s_wait_xcnt 0x1
	v_div_fixup_f32 v11, v1, v11, s28
	v_div_fmas_f32 v23, v23, v31, v35
	s_mov_b32 vcc_lo, s5
	v_div_fixup_f32 v10, v22, v10, s26
	v_div_fmas_f32 v1, v24, v32, v36
	v_cmp_ge_i64_e32 vcc_lo, v[20:21], v[2:3]
	v_div_fixup_f32 v13, v23, v13, s28
	s_wait_loadcnt 0x0
	v_pk_add_f32 v[22:23], v[14:15], v[10:11]
	v_div_fixup_f32 v12, v1, v12, s26
	v_pk_fma_f32 v[10:11], v[4:5], v[10:11], v[14:15]
	s_or_b32 s13, vcc_lo, s13
	s_wait_xcnt 0x0
	s_delay_alu instid0(VALU_DEP_2) | instskip(SKIP_2) | instid1(VALU_DEP_2)
	v_pk_add_f32 v[14:15], v[16:17], v[12:13]
	v_pk_fma_f32 v[12:13], v[4:5], v[12:13], v[16:17]
	v_dual_cndmask_b32 v11, v11, v23, s2 :: v_dual_cndmask_b32 v10, v10, v22, s2
	v_dual_cndmask_b32 v13, v13, v15, s2 :: v_dual_cndmask_b32 v12, v12, v14, s2
	global_store_b128 v[18:19], v[10:13], off
	s_wait_xcnt 0x0
	s_and_not1_b32 exec_lo, exec_lo, s13
	s_cbranch_execnz .LBB61_3
.LBB61_4:
	s_or_b32 exec_lo, exec_lo, s27
	s_mov_b32 s13, 0
.LBB61_5:
	s_delay_alu instid0(SALU_CYCLE_1)
	s_and_not1_b32 vcc_lo, exec_lo, s13
	s_cbranch_vccnz .LBB61_25
; %bb.6:
	v_cmp_lt_i64_e64 s2, s[16:17], 1
	s_and_b32 vcc_lo, exec_lo, s2
	s_cbranch_vccnz .LBB61_25
; %bb.7:
	v_min_i64 v[2:3], 0x10000, s[16:17]
	v_min_u64 v[4:5], 0x10000, s[16:17]
	s_load_b32 s0, s[0:1], 0xbfc
	v_mov_b32_e32 v1, 0
	s_mov_b32 s3, 0
	s_mov_b64 s[18:19], 0
	s_mov_b32 s5, s3
	s_mov_b32 s15, s3
	;; [unrolled: 1-line block ×3, first 2 shown]
	s_wait_kmcnt 0x0
	s_and_b32 s2, s0, 0xffff
	s_cmp_eq_f32 s12, 1.0
	s_mul_i32 s14, s2, 3
	s_cselect_b32 s0, -1, 0
	s_lshl_b32 s4, s2, 1
	s_lshl_b32 s16, s2, 2
	s_branch .LBB61_9
.LBB61_8:                               ;   in Loop: Header=BB61_9 Depth=1
	s_wait_xcnt 0x0
	s_or_b32 exec_lo, exec_lo, s1
	s_add_nc_u64 s[18:19], s[18:19], s[16:17]
	s_delay_alu instid0(SALU_CYCLE_1)
	v_cmp_ge_i64_e32 vcc_lo, s[18:19], v[2:3]
	s_cbranch_vccnz .LBB61_25
.LBB61_9:                               ; =>This Inner Loop Header: Depth=1
	v_add_nc_u64_e32 v[12:13], s[18:19], v[0:1]
	s_wait_loadcnt 0x0
	v_dual_mov_b32 v21, 0 :: v_dual_mov_b32 v20, 0
	s_mov_b32 s1, exec_lo
	s_delay_alu instid0(VALU_DEP_2)
	v_cmpx_lt_i64_e64 v[12:13], v[2:3]
	s_cbranch_execz .LBB61_11
; %bb.10:                               ;   in Loop: Header=BB61_9 Depth=1
	v_lshlrev_b64_e32 v[6:7], 2, v[12:13]
	s_delay_alu instid0(VALU_DEP_1)
	v_add_nc_u64_e32 v[8:9], s[6:7], v[6:7]
	v_add_nc_u64_e32 v[6:7], s[8:9], v[6:7]
	global_load_b32 v20, v[8:9], off
	global_load_b32 v21, v[6:7], off
.LBB61_11:                              ;   in Loop: Header=BB61_9 Depth=1
	s_wait_xcnt 0x0
	s_or_b32 exec_lo, exec_lo, s1
	v_add_nc_u64_e32 v[10:11], s[2:3], v[12:13]
	v_dual_mov_b32 v14, 0 :: v_dual_mov_b32 v19, 0
	v_mov_b32_e32 v18, 0
	s_mov_b32 s1, exec_lo
	s_delay_alu instid0(VALU_DEP_3)
	v_cmpx_lt_i64_e64 v[10:11], v[2:3]
	s_cbranch_execz .LBB61_13
; %bb.12:                               ;   in Loop: Header=BB61_9 Depth=1
	v_lshlrev_b64_e32 v[6:7], 2, v[10:11]
	s_delay_alu instid0(VALU_DEP_1)
	v_add_nc_u64_e32 v[8:9], s[6:7], v[6:7]
	v_add_nc_u64_e32 v[6:7], s[8:9], v[6:7]
	global_load_b32 v18, v[8:9], off
	global_load_b32 v19, v[6:7], off
.LBB61_13:                              ;   in Loop: Header=BB61_9 Depth=1
	s_wait_xcnt 0x0
	s_or_b32 exec_lo, exec_lo, s1
	v_add_nc_u64_e32 v[8:9], s[4:5], v[12:13]
	v_mov_b32_e32 v17, 0
	s_mov_b32 s1, exec_lo
	s_delay_alu instid0(VALU_DEP_2)
	v_cmpx_lt_i64_e64 v[8:9], v[2:3]
	s_cbranch_execz .LBB61_15
; %bb.14:                               ;   in Loop: Header=BB61_9 Depth=1
	v_lshlrev_b64_e32 v[6:7], 2, v[8:9]
	s_delay_alu instid0(VALU_DEP_1)
	v_add_nc_u64_e32 v[22:23], s[6:7], v[6:7]
	v_add_nc_u64_e32 v[6:7], s[8:9], v[6:7]
	global_load_b32 v17, v[22:23], off
	global_load_b32 v14, v[6:7], off
.LBB61_15:                              ;   in Loop: Header=BB61_9 Depth=1
	s_wait_xcnt 0x0
	s_or_b32 exec_lo, exec_lo, s1
	v_add_nc_u64_e32 v[6:7], s[14:15], v[12:13]
	v_dual_mov_b32 v16, 0 :: v_dual_mov_b32 v15, 0
	s_mov_b32 s1, exec_lo
	s_delay_alu instid0(VALU_DEP_2)
	v_cmpx_lt_i64_e64 v[6:7], v[2:3]
	s_cbranch_execnz .LBB61_20
; %bb.16:                               ;   in Loop: Header=BB61_9 Depth=1
	s_or_b32 exec_lo, exec_lo, s1
	s_delay_alu instid0(SALU_CYCLE_1)
	s_mov_b32 s1, exec_lo
	v_cmpx_lt_u64_e64 v[12:13], v[4:5]
	s_cbranch_execnz .LBB61_21
.LBB61_17:                              ;   in Loop: Header=BB61_9 Depth=1
	s_or_b32 exec_lo, exec_lo, s1
	s_delay_alu instid0(SALU_CYCLE_1)
	s_mov_b32 s1, exec_lo
	v_cmpx_lt_u64_e64 v[10:11], v[4:5]
	s_cbranch_execnz .LBB61_22
.LBB61_18:                              ;   in Loop: Header=BB61_9 Depth=1
	s_or_b32 exec_lo, exec_lo, s1
	s_delay_alu instid0(SALU_CYCLE_1)
	s_mov_b32 s1, exec_lo
	v_cmpx_lt_u64_e64 v[8:9], v[4:5]
	s_cbranch_execnz .LBB61_23
.LBB61_19:                              ;   in Loop: Header=BB61_9 Depth=1
	s_or_b32 exec_lo, exec_lo, s1
	s_delay_alu instid0(SALU_CYCLE_1)
	s_mov_b32 s1, exec_lo
	v_cmpx_lt_u64_e64 v[6:7], v[4:5]
	s_cbranch_execz .LBB61_8
	s_branch .LBB61_24
.LBB61_20:                              ;   in Loop: Header=BB61_9 Depth=1
	v_lshlrev_b64_e32 v[22:23], 2, v[6:7]
	s_delay_alu instid0(VALU_DEP_1)
	v_add_nc_u64_e32 v[24:25], s[6:7], v[22:23]
	v_add_nc_u64_e32 v[22:23], s[8:9], v[22:23]
	global_load_b32 v15, v[24:25], off
	global_load_b32 v16, v[22:23], off
	s_wait_xcnt 0x0
	s_or_b32 exec_lo, exec_lo, s1
	s_delay_alu instid0(SALU_CYCLE_1)
	s_mov_b32 s1, exec_lo
	v_cmpx_lt_u64_e64 v[12:13], v[4:5]
	s_cbranch_execz .LBB61_17
.LBB61_21:                              ;   in Loop: Header=BB61_9 Depth=1
	s_wait_loadcnt 0x0
	v_div_scale_f32 v22, null, v21, v21, s26
	v_div_scale_f32 v25, vcc_lo, s26, v21, s26
	v_lshl_add_u64 v[12:13], v[12:13], 2, s[10:11]
	s_delay_alu instid0(VALU_DEP_3) | instskip(SKIP_1) | instid1(TRANS32_DEP_1)
	v_rcp_f32_e32 v23, v22
	v_nop
	v_fma_f32 v24, -v22, v23, 1.0
	s_delay_alu instid0(VALU_DEP_1) | instskip(NEXT) | instid1(VALU_DEP_1)
	v_fmac_f32_e32 v23, v24, v23
	v_mul_f32_e32 v24, v25, v23
	s_delay_alu instid0(VALU_DEP_1) | instskip(NEXT) | instid1(VALU_DEP_1)
	v_fma_f32 v26, -v22, v24, v25
	v_fmac_f32_e32 v24, v26, v23
	s_delay_alu instid0(VALU_DEP_1) | instskip(NEXT) | instid1(VALU_DEP_1)
	v_fma_f32 v22, -v22, v24, v25
	v_div_fmas_f32 v22, v22, v23, v24
	s_delay_alu instid0(VALU_DEP_1) | instskip(NEXT) | instid1(VALU_DEP_1)
	v_div_fixup_f32 v21, v22, v21, s26
	v_dual_add_f32 v22, v20, v21 :: v_dual_fmac_f32 v20, s12, v21
	s_delay_alu instid0(VALU_DEP_1) | instskip(SKIP_3) | instid1(SALU_CYCLE_1)
	v_cndmask_b32_e64 v20, v20, v22, s0
	global_store_b32 v[12:13], v20, off
	s_wait_xcnt 0x0
	s_or_b32 exec_lo, exec_lo, s1
	s_mov_b32 s1, exec_lo
	v_cmpx_lt_u64_e64 v[10:11], v[4:5]
	s_cbranch_execz .LBB61_18
.LBB61_22:                              ;   in Loop: Header=BB61_9 Depth=1
	s_wait_loadcnt 0x0
	v_div_scale_f32 v12, null, v19, v19, s26
	v_div_scale_f32 v21, vcc_lo, s26, v19, s26
	v_lshl_add_u64 v[10:11], v[10:11], 2, s[10:11]
	s_delay_alu instid0(VALU_DEP_3) | instskip(SKIP_1) | instid1(TRANS32_DEP_1)
	v_rcp_f32_e32 v13, v12
	v_nop
	v_fma_f32 v20, -v12, v13, 1.0
	s_delay_alu instid0(VALU_DEP_1) | instskip(NEXT) | instid1(VALU_DEP_1)
	v_fmac_f32_e32 v13, v20, v13
	v_mul_f32_e32 v20, v21, v13
	s_delay_alu instid0(VALU_DEP_1) | instskip(NEXT) | instid1(VALU_DEP_1)
	v_fma_f32 v22, -v12, v20, v21
	v_fmac_f32_e32 v20, v22, v13
	s_delay_alu instid0(VALU_DEP_1) | instskip(NEXT) | instid1(VALU_DEP_1)
	v_fma_f32 v12, -v12, v20, v21
	v_div_fmas_f32 v12, v12, v13, v20
	s_delay_alu instid0(VALU_DEP_1) | instskip(NEXT) | instid1(VALU_DEP_1)
	v_div_fixup_f32 v12, v12, v19, s26
	v_dual_add_f32 v13, v18, v12 :: v_dual_fmac_f32 v18, s12, v12
	s_delay_alu instid0(VALU_DEP_1) | instskip(SKIP_3) | instid1(SALU_CYCLE_1)
	v_cndmask_b32_e64 v12, v18, v13, s0
	global_store_b32 v[10:11], v12, off
	s_wait_xcnt 0x0
	s_or_b32 exec_lo, exec_lo, s1
	s_mov_b32 s1, exec_lo
	v_cmpx_lt_u64_e64 v[8:9], v[4:5]
	s_cbranch_execz .LBB61_19
.LBB61_23:                              ;   in Loop: Header=BB61_9 Depth=1
	s_wait_loadcnt 0x0
	v_div_scale_f32 v10, null, v14, v14, s26
	v_div_scale_f32 v13, vcc_lo, s26, v14, s26
	v_lshl_add_u64 v[8:9], v[8:9], 2, s[10:11]
	s_delay_alu instid0(VALU_DEP_3) | instskip(SKIP_1) | instid1(TRANS32_DEP_1)
	v_rcp_f32_e32 v11, v10
	v_nop
	v_fma_f32 v12, -v10, v11, 1.0
	s_delay_alu instid0(VALU_DEP_1) | instskip(NEXT) | instid1(VALU_DEP_1)
	v_fmac_f32_e32 v11, v12, v11
	v_mul_f32_e32 v12, v13, v11
	s_delay_alu instid0(VALU_DEP_1) | instskip(NEXT) | instid1(VALU_DEP_1)
	v_fma_f32 v18, -v10, v12, v13
	v_fmac_f32_e32 v12, v18, v11
	s_delay_alu instid0(VALU_DEP_1) | instskip(NEXT) | instid1(VALU_DEP_1)
	v_fma_f32 v10, -v10, v12, v13
	v_div_fmas_f32 v10, v10, v11, v12
	s_delay_alu instid0(VALU_DEP_1) | instskip(NEXT) | instid1(VALU_DEP_1)
	v_div_fixup_f32 v10, v10, v14, s26
	v_dual_add_f32 v11, v17, v10 :: v_dual_fmac_f32 v17, s12, v10
	s_delay_alu instid0(VALU_DEP_1) | instskip(SKIP_3) | instid1(SALU_CYCLE_1)
	v_cndmask_b32_e64 v10, v17, v11, s0
	global_store_b32 v[8:9], v10, off
	s_wait_xcnt 0x0
	s_or_b32 exec_lo, exec_lo, s1
	s_mov_b32 s1, exec_lo
	v_cmpx_lt_u64_e64 v[6:7], v[4:5]
	s_cbranch_execz .LBB61_8
.LBB61_24:                              ;   in Loop: Header=BB61_9 Depth=1
	s_wait_loadcnt 0x0
	v_div_scale_f32 v8, null, v16, v16, s26
	v_div_scale_f32 v11, vcc_lo, s26, v16, s26
	v_lshl_add_u64 v[6:7], v[6:7], 2, s[10:11]
	s_delay_alu instid0(VALU_DEP_3) | instskip(SKIP_1) | instid1(TRANS32_DEP_1)
	v_rcp_f32_e32 v9, v8
	v_nop
	v_fma_f32 v10, -v8, v9, 1.0
	s_delay_alu instid0(VALU_DEP_1) | instskip(NEXT) | instid1(VALU_DEP_1)
	v_fmac_f32_e32 v9, v10, v9
	v_mul_f32_e32 v10, v11, v9
	s_delay_alu instid0(VALU_DEP_1) | instskip(NEXT) | instid1(VALU_DEP_1)
	v_fma_f32 v12, -v8, v10, v11
	v_fmac_f32_e32 v10, v12, v9
	s_delay_alu instid0(VALU_DEP_1) | instskip(NEXT) | instid1(VALU_DEP_1)
	v_fma_f32 v8, -v8, v10, v11
	v_div_fmas_f32 v8, v8, v9, v10
	s_delay_alu instid0(VALU_DEP_1) | instskip(NEXT) | instid1(VALU_DEP_1)
	v_div_fixup_f32 v8, v8, v16, s26
	v_dual_add_f32 v9, v15, v8 :: v_dual_fmac_f32 v15, s12, v8
	s_delay_alu instid0(VALU_DEP_1)
	v_cndmask_b32_e64 v8, v15, v9, s0
	global_store_b32 v[6:7], v8, off
	s_branch .LBB61_8
.LBB61_25:
	s_endpgm
	.section	.rodata,"a",@progbits
	.p2align	6, 0x0
	.amdhsa_kernel _ZN2at6native12_GLOBAL__N_125multi_tensor_apply_kernelINS1_18TensorListMetadataILi4EEENS1_32PointwiseOpScalar0dTensorFunctorIfLi4ELi2ELi3EEEJSt7dividesIfEfEEEvT_T0_DpT1_
		.amdhsa_group_segment_fixed_size 0
		.amdhsa_private_segment_fixed_size 0
		.amdhsa_kernarg_size 3312
		.amdhsa_user_sgpr_count 2
		.amdhsa_user_sgpr_dispatch_ptr 0
		.amdhsa_user_sgpr_queue_ptr 0
		.amdhsa_user_sgpr_kernarg_segment_ptr 1
		.amdhsa_user_sgpr_dispatch_id 0
		.amdhsa_user_sgpr_kernarg_preload_length 0
		.amdhsa_user_sgpr_kernarg_preload_offset 0
		.amdhsa_user_sgpr_private_segment_size 0
		.amdhsa_wavefront_size32 1
		.amdhsa_uses_dynamic_stack 0
		.amdhsa_enable_private_segment 0
		.amdhsa_system_sgpr_workgroup_id_x 1
		.amdhsa_system_sgpr_workgroup_id_y 0
		.amdhsa_system_sgpr_workgroup_id_z 0
		.amdhsa_system_sgpr_workgroup_info 0
		.amdhsa_system_vgpr_workitem_id 0
		.amdhsa_next_free_vgpr 41
		.amdhsa_next_free_sgpr 30
		.amdhsa_named_barrier_count 0
		.amdhsa_reserve_vcc 1
		.amdhsa_float_round_mode_32 0
		.amdhsa_float_round_mode_16_64 0
		.amdhsa_float_denorm_mode_32 3
		.amdhsa_float_denorm_mode_16_64 3
		.amdhsa_fp16_overflow 0
		.amdhsa_memory_ordered 1
		.amdhsa_forward_progress 1
		.amdhsa_inst_pref_size 17
		.amdhsa_round_robin_scheduling 0
		.amdhsa_exception_fp_ieee_invalid_op 0
		.amdhsa_exception_fp_denorm_src 0
		.amdhsa_exception_fp_ieee_div_zero 0
		.amdhsa_exception_fp_ieee_overflow 0
		.amdhsa_exception_fp_ieee_underflow 0
		.amdhsa_exception_fp_ieee_inexact 0
		.amdhsa_exception_int_div_zero 0
	.end_amdhsa_kernel
	.section	.text._ZN2at6native12_GLOBAL__N_125multi_tensor_apply_kernelINS1_18TensorListMetadataILi4EEENS1_32PointwiseOpScalar0dTensorFunctorIfLi4ELi2ELi3EEEJSt7dividesIfEfEEEvT_T0_DpT1_,"axG",@progbits,_ZN2at6native12_GLOBAL__N_125multi_tensor_apply_kernelINS1_18TensorListMetadataILi4EEENS1_32PointwiseOpScalar0dTensorFunctorIfLi4ELi2ELi3EEEJSt7dividesIfEfEEEvT_T0_DpT1_,comdat
.Lfunc_end61:
	.size	_ZN2at6native12_GLOBAL__N_125multi_tensor_apply_kernelINS1_18TensorListMetadataILi4EEENS1_32PointwiseOpScalar0dTensorFunctorIfLi4ELi2ELi3EEEJSt7dividesIfEfEEEvT_T0_DpT1_, .Lfunc_end61-_ZN2at6native12_GLOBAL__N_125multi_tensor_apply_kernelINS1_18TensorListMetadataILi4EEENS1_32PointwiseOpScalar0dTensorFunctorIfLi4ELi2ELi3EEEJSt7dividesIfEfEEEvT_T0_DpT1_
                                        ; -- End function
	.set _ZN2at6native12_GLOBAL__N_125multi_tensor_apply_kernelINS1_18TensorListMetadataILi4EEENS1_32PointwiseOpScalar0dTensorFunctorIfLi4ELi2ELi3EEEJSt7dividesIfEfEEEvT_T0_DpT1_.num_vgpr, 41
	.set _ZN2at6native12_GLOBAL__N_125multi_tensor_apply_kernelINS1_18TensorListMetadataILi4EEENS1_32PointwiseOpScalar0dTensorFunctorIfLi4ELi2ELi3EEEJSt7dividesIfEfEEEvT_T0_DpT1_.num_agpr, 0
	.set _ZN2at6native12_GLOBAL__N_125multi_tensor_apply_kernelINS1_18TensorListMetadataILi4EEENS1_32PointwiseOpScalar0dTensorFunctorIfLi4ELi2ELi3EEEJSt7dividesIfEfEEEvT_T0_DpT1_.numbered_sgpr, 30
	.set _ZN2at6native12_GLOBAL__N_125multi_tensor_apply_kernelINS1_18TensorListMetadataILi4EEENS1_32PointwiseOpScalar0dTensorFunctorIfLi4ELi2ELi3EEEJSt7dividesIfEfEEEvT_T0_DpT1_.num_named_barrier, 0
	.set _ZN2at6native12_GLOBAL__N_125multi_tensor_apply_kernelINS1_18TensorListMetadataILi4EEENS1_32PointwiseOpScalar0dTensorFunctorIfLi4ELi2ELi3EEEJSt7dividesIfEfEEEvT_T0_DpT1_.private_seg_size, 0
	.set _ZN2at6native12_GLOBAL__N_125multi_tensor_apply_kernelINS1_18TensorListMetadataILi4EEENS1_32PointwiseOpScalar0dTensorFunctorIfLi4ELi2ELi3EEEJSt7dividesIfEfEEEvT_T0_DpT1_.uses_vcc, 1
	.set _ZN2at6native12_GLOBAL__N_125multi_tensor_apply_kernelINS1_18TensorListMetadataILi4EEENS1_32PointwiseOpScalar0dTensorFunctorIfLi4ELi2ELi3EEEJSt7dividesIfEfEEEvT_T0_DpT1_.uses_flat_scratch, 0
	.set _ZN2at6native12_GLOBAL__N_125multi_tensor_apply_kernelINS1_18TensorListMetadataILi4EEENS1_32PointwiseOpScalar0dTensorFunctorIfLi4ELi2ELi3EEEJSt7dividesIfEfEEEvT_T0_DpT1_.has_dyn_sized_stack, 0
	.set _ZN2at6native12_GLOBAL__N_125multi_tensor_apply_kernelINS1_18TensorListMetadataILi4EEENS1_32PointwiseOpScalar0dTensorFunctorIfLi4ELi2ELi3EEEJSt7dividesIfEfEEEvT_T0_DpT1_.has_recursion, 0
	.set _ZN2at6native12_GLOBAL__N_125multi_tensor_apply_kernelINS1_18TensorListMetadataILi4EEENS1_32PointwiseOpScalar0dTensorFunctorIfLi4ELi2ELi3EEEJSt7dividesIfEfEEEvT_T0_DpT1_.has_indirect_call, 0
	.section	.AMDGPU.csdata,"",@progbits
; Kernel info:
; codeLenInByte = 2116
; TotalNumSgprs: 32
; NumVgprs: 41
; ScratchSize: 0
; MemoryBound: 0
; FloatMode: 240
; IeeeMode: 1
; LDSByteSize: 0 bytes/workgroup (compile time only)
; SGPRBlocks: 0
; VGPRBlocks: 2
; NumSGPRsForWavesPerEU: 32
; NumVGPRsForWavesPerEU: 41
; NamedBarCnt: 0
; Occupancy: 16
; WaveLimiterHint : 0
; COMPUTE_PGM_RSRC2:SCRATCH_EN: 0
; COMPUTE_PGM_RSRC2:USER_SGPR: 2
; COMPUTE_PGM_RSRC2:TRAP_HANDLER: 0
; COMPUTE_PGM_RSRC2:TGID_X_EN: 1
; COMPUTE_PGM_RSRC2:TGID_Y_EN: 0
; COMPUTE_PGM_RSRC2:TGID_Z_EN: 0
; COMPUTE_PGM_RSRC2:TIDIG_COMP_CNT: 0
	.section	.text._ZN2at6native12_GLOBAL__N_125multi_tensor_apply_kernelINS1_18TensorListMetadataILi4EEENS1_32PointwiseOpScalar0dTensorFunctorIN3c107complexIdEELi4ELi2ELi3EEEJSt7dividesIS8_ES8_EEEvT_T0_DpT1_,"axG",@progbits,_ZN2at6native12_GLOBAL__N_125multi_tensor_apply_kernelINS1_18TensorListMetadataILi4EEENS1_32PointwiseOpScalar0dTensorFunctorIN3c107complexIdEELi4ELi2ELi3EEEJSt7dividesIS8_ES8_EEEvT_T0_DpT1_,comdat
	.globl	_ZN2at6native12_GLOBAL__N_125multi_tensor_apply_kernelINS1_18TensorListMetadataILi4EEENS1_32PointwiseOpScalar0dTensorFunctorIN3c107complexIdEELi4ELi2ELi3EEEJSt7dividesIS8_ES8_EEEvT_T0_DpT1_ ; -- Begin function _ZN2at6native12_GLOBAL__N_125multi_tensor_apply_kernelINS1_18TensorListMetadataILi4EEENS1_32PointwiseOpScalar0dTensorFunctorIN3c107complexIdEELi4ELi2ELi3EEEJSt7dividesIS8_ES8_EEEvT_T0_DpT1_
	.p2align	8
	.type	_ZN2at6native12_GLOBAL__N_125multi_tensor_apply_kernelINS1_18TensorListMetadataILi4EEENS1_32PointwiseOpScalar0dTensorFunctorIN3c107complexIdEELi4ELi2ELi3EEEJSt7dividesIS8_ES8_EEEvT_T0_DpT1_,@function
_ZN2at6native12_GLOBAL__N_125multi_tensor_apply_kernelINS1_18TensorListMetadataILi4EEENS1_32PointwiseOpScalar0dTensorFunctorIN3c107complexIdEELi4ELi2ELi3EEEJSt7dividesIS8_ES8_EEEvT_T0_DpT1_: ; @_ZN2at6native12_GLOBAL__N_125multi_tensor_apply_kernelINS1_18TensorListMetadataILi4EEENS1_32PointwiseOpScalar0dTensorFunctorIN3c107complexIdEELi4ELi2ELi3EEEJSt7dividesIS8_ES8_EEEvT_T0_DpT1_
; %bb.0:
	s_bfe_u32 s2, ttmp6, 0x4000c
	s_and_b32 s3, ttmp6, 15
	s_add_co_i32 s2, s2, 1
	s_getreg_b32 s4, hwreg(HW_REG_IB_STS2, 6, 4)
	s_mul_i32 s2, ttmp9, s2
	s_delay_alu instid0(SALU_CYCLE_1)
	s_add_co_i32 s3, s3, s2
	s_cmp_eq_u32 s4, 0
	s_cselect_b32 s2, ttmp9, s3
	s_mov_b32 s3, 0
	s_load_u8 s12, s[0:1], s2 offset:0x5a0
	s_add_nc_u64 s[4:5], s[0:1], s[2:3]
	s_mul_u64 s[6:7], s[2:3], 3
	s_delay_alu instid0(SALU_CYCLE_1)
	s_add_nc_u64 s[4:5], s[4:5], s[6:7]
	s_load_b32 s6, s[4:5], 0x6e0
	s_wait_kmcnt 0x0
	s_clause 0x4
	s_load_b64 s[8:9], s[0:1], s12 offset:0x240 scale_offset
	s_load_b64 s[10:11], s[0:1], s12 offset:0x360 scale_offset
	;; [unrolled: 1-line block ×5, first 2 shown]
	s_ashr_i32 s7, s6, 31
	s_delay_alu instid0(SALU_CYCLE_1)
	s_lshl_b64 s[4:5], s[6:7], 20
	s_wait_kmcnt 0x0
	s_add_nc_u64 s[12:13], s[8:9], s[4:5]
	s_add_nc_u64 s[14:15], s[10:11], s[4:5]
	;; [unrolled: 1-line block ×3, first 2 shown]
	s_or_b32 s2, s14, s12
	s_add_nc_u64 s[16:17], s[16:17], s[4:5]
	s_and_b32 s9, s2, 63
	s_and_b32 s2, s8, 63
	s_cmp_lg_u32 s9, 0
	s_load_b128 s[8:11], s[18:19], 0x0
	s_cselect_b32 s26, -1, 0
	s_lshl_b64 s[22:23], s[6:7], 16
	s_load_b128 s[4:7], s[0:1], 0xbf0
	s_and_b64 s[24:25], s[16:17], 63
	s_cmp_lg_u64 s[2:3], 0
	s_cselect_b32 s27, -1, 0
	s_and_b32 s2, s20, 3
	s_wait_xcnt 0x0
	s_or_b32 s18, s26, s27
	s_or_b64 s[2:3], s[24:25], s[2:3]
	s_delay_alu instid0(SALU_CYCLE_1) | instskip(SKIP_1) | instid1(SALU_CYCLE_1)
	s_cmp_lg_u64 s[2:3], 0
	s_cselect_b32 s2, -1, 0
	s_or_b32 s2, s18, s2
	s_sub_nc_u64 s[18:19], s[20:21], s[22:23]
	s_and_not1_b32 vcc_lo, exec_lo, s2
	s_mov_b32 s2, -1
	s_cbranch_vccz .LBB62_85
; %bb.1:
	v_min_i64 v[34:35], 0x10000, s[18:19]
	v_dual_mov_b32 v37, 0 :: v_dual_lshlrev_b32 v36, 2, v0
	s_mov_b32 s30, exec_lo
	s_delay_alu instid0(VALU_DEP_1)
	v_cmpx_lt_i64_e64 v[36:37], v[34:35]
	s_cbranch_execz .LBB62_84
; %bb.2:
	s_wait_kmcnt 0x0
	v_cmp_neq_f64_e64 s2, s[4:5], 1.0
	v_cmp_neq_f64_e64 s3, s[6:7], 0
	s_load_b32 s20, s[0:1], 0xc0c
	v_dual_mov_b32 v1, v37 :: v_dual_lshlrev_b32 v36, 6, v0
	s_mov_b32 s21, 0
	s_mov_b64 s[22:23], s[12:13]
	s_mov_b64 s[24:25], s[16:17]
	s_delay_alu instid0(VALU_DEP_1)
	v_mov_b64_e32 v[38:39], v[0:1]
	s_mov_b32 s27, s21
	s_mov_b32 s31, s21
	s_mov_b64 s[28:29], s[14:15]
	s_wait_kmcnt 0x0
	s_and_b32 s20, s20, 0xffff
	s_delay_alu instid0(SALU_CYCLE_1)
	s_lshl_b32 s26, s20, 6
	s_or_b32 s33, s2, s3
	s_branch .LBB62_5
.LBB62_3:                               ;   in Loop: Header=BB62_5 Depth=1
	s_or_b32 exec_lo, exec_lo, s2
.LBB62_4:                               ;   in Loop: Header=BB62_5 Depth=1
	v_add_f64_e32 v[12:13], v[12:13], v[40:41]
	v_add_f64_e32 v[10:11], v[10:11], v[42:43]
	;; [unrolled: 1-line block ×8, first 2 shown]
	v_add_nc_u64_e32 v[38:39], s[20:21], v[38:39]
	s_add_nc_u64 s[24:25], s[24:25], s[26:27]
	s_add_nc_u64 s[22:23], s[22:23], s[26:27]
	s_delay_alu instid0(VALU_DEP_1) | instskip(NEXT) | instid1(VALU_DEP_1)
	v_lshlrev_b64_e32 v[18:19], 2, v[38:39]
	v_cmp_ge_i64_e32 vcc_lo, v[18:19], v[34:35]
	v_add_nc_u64_e32 v[18:19], s[28:29], v[36:37]
	s_add_nc_u64 s[28:29], s[28:29], s[26:27]
	s_clause 0x3
	global_store_b128 v[18:19], v[10:13], off
	global_store_b128 v[18:19], v[6:9], off offset:16
	global_store_b128 v[18:19], v[14:17], off offset:32
	;; [unrolled: 1-line block ×3, first 2 shown]
	s_or_b32 s31, vcc_lo, s31
	s_wait_xcnt 0x0
	s_and_not1_b32 exec_lo, exec_lo, s31
	s_cbranch_execz .LBB62_84
.LBB62_5:                               ; =>This Inner Loop Header: Depth=1
	v_add_nc_u64_e32 v[40:41], s[22:23], v[36:37]
	v_add_nc_u64_e32 v[42:43], s[24:25], v[36:37]
	s_mov_b32 s3, -1
	s_clause 0x1
	global_load_b128 v[30:33], v[40:41], off
	global_load_b128 v[26:29], v[40:41], off offset:16
	s_clause 0x3
	global_load_b128 v[2:5], v[42:43], off offset:48
	global_load_b128 v[14:17], v[42:43], off offset:32
	global_load_b128 v[6:9], v[42:43], off offset:16
	global_load_b128 v[10:13], v[42:43], off
	s_clause 0x1
	global_load_b128 v[18:21], v[40:41], off offset:48
	global_load_b128 v[22:25], v[40:41], off offset:32
                                        ; implicit-def: $vgpr42_vgpr43
	s_wait_loadcnt 0x7
	v_cmp_gt_f64_e32 vcc_lo, 0, v[30:31]
	v_xor_b32_e32 v1, 0x80000000, v31
	v_mov_b32_e32 v44, v30
	s_wait_xcnt 0x0
	v_xor_b32_e32 v40, 0x80000000, v33
	s_delay_alu instid0(VALU_DEP_3) | instskip(SKIP_1) | instid1(VALU_DEP_3)
	v_dual_mov_b32 v46, v32 :: v_dual_cndmask_b32 v45, v31, v1
	v_cmp_gt_f64_e32 vcc_lo, 0, v[32:33]
	v_cndmask_b32_e32 v47, v33, v40, vcc_lo
	s_and_b32 vcc_lo, exec_lo, s33
                                        ; implicit-def: $vgpr40_vgpr41
	s_delay_alu instid0(VALU_DEP_1)
	v_cmp_ge_f64_e64 s2, v[44:45], v[46:47]
	s_cbranch_vccz .LBB62_15
; %bb.6:                                ;   in Loop: Header=BB62_5 Depth=1
                                        ; implicit-def: $vgpr40_vgpr41
                                        ; implicit-def: $vgpr48_vgpr49
	s_and_saveexec_b32 s3, s2
	s_delay_alu instid0(SALU_CYCLE_1)
	s_xor_b32 s34, exec_lo, s3
	s_cbranch_execz .LBB62_12
; %bb.7:                                ;   in Loop: Header=BB62_5 Depth=1
	v_cmp_neq_f64_e32 vcc_lo, 0, v[30:31]
	v_cmp_neq_f64_e64 s3, 0, v[32:33]
                                        ; implicit-def: $vgpr40_vgpr41
                                        ; implicit-def: $vgpr48_vgpr49
	s_or_b32 s3, vcc_lo, s3
	s_delay_alu instid0(SALU_CYCLE_1) | instskip(NEXT) | instid1(SALU_CYCLE_1)
	s_and_saveexec_b32 s35, s3
	s_xor_b32 s3, exec_lo, s35
	s_cbranch_execz .LBB62_9
; %bb.8:                                ;   in Loop: Header=BB62_5 Depth=1
	v_div_scale_f64 v[40:41], null, v[30:31], v[30:31], v[32:33]
	v_div_scale_f64 v[50:51], vcc_lo, v[32:33], v[30:31], v[32:33]
	s_delay_alu instid0(VALU_DEP_2) | instskip(SKIP_1) | instid1(TRANS32_DEP_1)
	v_rcp_f64_e32 v[42:43], v[40:41]
	v_nop
	v_fma_f64 v[48:49], -v[40:41], v[42:43], 1.0
	s_delay_alu instid0(VALU_DEP_1) | instskip(NEXT) | instid1(VALU_DEP_1)
	v_fmac_f64_e32 v[42:43], v[42:43], v[48:49]
	v_fma_f64 v[48:49], -v[40:41], v[42:43], 1.0
	s_delay_alu instid0(VALU_DEP_1) | instskip(NEXT) | instid1(VALU_DEP_1)
	v_fmac_f64_e32 v[42:43], v[42:43], v[48:49]
	v_mul_f64_e32 v[48:49], v[50:51], v[42:43]
	s_delay_alu instid0(VALU_DEP_1) | instskip(NEXT) | instid1(VALU_DEP_1)
	v_fma_f64 v[40:41], -v[40:41], v[48:49], v[50:51]
	v_div_fmas_f64 v[40:41], v[40:41], v[42:43], v[48:49]
	s_delay_alu instid0(VALU_DEP_1) | instskip(NEXT) | instid1(VALU_DEP_1)
	v_div_fixup_f64 v[40:41], v[40:41], v[30:31], v[32:33]
	v_fma_f64 v[42:43], v[32:33], v[40:41], v[30:31]
	s_delay_alu instid0(VALU_DEP_1) | instskip(SKIP_1) | instid1(VALU_DEP_2)
	v_div_scale_f64 v[48:49], null, v[42:43], v[42:43], 1.0
	v_div_scale_f64 v[54:55], vcc_lo, 1.0, v[42:43], 1.0
	v_rcp_f64_e32 v[50:51], v[48:49]
	v_nop
	s_delay_alu instid0(TRANS32_DEP_1) | instskip(NEXT) | instid1(VALU_DEP_1)
	v_fma_f64 v[52:53], -v[48:49], v[50:51], 1.0
	v_fmac_f64_e32 v[50:51], v[50:51], v[52:53]
	s_delay_alu instid0(VALU_DEP_1) | instskip(NEXT) | instid1(VALU_DEP_1)
	v_fma_f64 v[52:53], -v[48:49], v[50:51], 1.0
	v_fmac_f64_e32 v[50:51], v[50:51], v[52:53]
	s_delay_alu instid0(VALU_DEP_1) | instskip(NEXT) | instid1(VALU_DEP_1)
	v_mul_f64_e32 v[52:53], v[54:55], v[50:51]
	v_fma_f64 v[48:49], -v[48:49], v[52:53], v[54:55]
	s_delay_alu instid0(VALU_DEP_1) | instskip(SKIP_2) | instid1(VALU_DEP_3)
	v_div_fmas_f64 v[48:49], v[48:49], v[50:51], v[52:53]
	v_fma_f64 v[50:51], s[10:11], v[40:41], s[8:9]
	v_fma_f64 v[40:41], -s[8:9], v[40:41], s[10:11]
	v_div_fixup_f64 v[42:43], v[48:49], v[42:43], 1.0
	s_delay_alu instid0(VALU_DEP_1) | instskip(NEXT) | instid1(VALU_DEP_3)
	v_mul_f64_e32 v[48:49], v[50:51], v[42:43]
	v_mul_f64_e32 v[40:41], v[40:41], v[42:43]
.LBB62_9:                               ;   in Loop: Header=BB62_5 Depth=1
	s_and_not1_saveexec_b32 s35, s3
	s_cbranch_execz .LBB62_11
; %bb.10:                               ;   in Loop: Header=BB62_5 Depth=1
	v_div_scale_f64 v[40:41], null, v[44:45], v[44:45], s[8:9]
	v_div_scale_f64 v[42:43], null, v[46:47], v[46:47], s[10:11]
	v_div_scale_f64 v[56:57], vcc_lo, s[8:9], v[44:45], s[8:9]
	s_delay_alu instid0(VALU_DEP_3) | instskip(NEXT) | instid1(VALU_DEP_2)
	v_rcp_f64_e32 v[48:49], v[40:41]
	v_rcp_f64_e32 v[50:51], v[42:43]
	s_delay_alu instid0(TRANS32_DEP_2) | instskip(NEXT) | instid1(TRANS32_DEP_1)
	v_fma_f64 v[52:53], -v[40:41], v[48:49], 1.0
	v_fma_f64 v[54:55], -v[42:43], v[50:51], 1.0
	s_delay_alu instid0(VALU_DEP_2) | instskip(NEXT) | instid1(VALU_DEP_2)
	v_fmac_f64_e32 v[48:49], v[48:49], v[52:53]
	v_fmac_f64_e32 v[50:51], v[50:51], v[54:55]
	s_delay_alu instid0(VALU_DEP_2) | instskip(NEXT) | instid1(VALU_DEP_2)
	v_fma_f64 v[52:53], -v[40:41], v[48:49], 1.0
	v_fma_f64 v[54:55], -v[42:43], v[50:51], 1.0
	s_delay_alu instid0(VALU_DEP_2) | instskip(SKIP_1) | instid1(VALU_DEP_3)
	v_fmac_f64_e32 v[48:49], v[48:49], v[52:53]
	v_div_scale_f64 v[52:53], s3, s[10:11], v[46:47], s[10:11]
	v_fmac_f64_e32 v[50:51], v[50:51], v[54:55]
	s_delay_alu instid0(VALU_DEP_3) | instskip(NEXT) | instid1(VALU_DEP_2)
	v_mul_f64_e32 v[54:55], v[56:57], v[48:49]
	v_mul_f64_e32 v[58:59], v[52:53], v[50:51]
	s_delay_alu instid0(VALU_DEP_2) | instskip(NEXT) | instid1(VALU_DEP_2)
	v_fma_f64 v[40:41], -v[40:41], v[54:55], v[56:57]
	v_fma_f64 v[42:43], -v[42:43], v[58:59], v[52:53]
	s_delay_alu instid0(VALU_DEP_2) | instskip(SKIP_1) | instid1(VALU_DEP_2)
	v_div_fmas_f64 v[40:41], v[40:41], v[48:49], v[54:55]
	s_mov_b32 vcc_lo, s3
	v_div_fmas_f64 v[42:43], v[42:43], v[50:51], v[58:59]
	s_delay_alu instid0(VALU_DEP_2) | instskip(NEXT) | instid1(VALU_DEP_2)
	v_div_fixup_f64 v[48:49], v[40:41], v[44:45], s[8:9]
	v_div_fixup_f64 v[40:41], v[42:43], v[46:47], s[10:11]
.LBB62_11:                              ;   in Loop: Header=BB62_5 Depth=1
	s_or_b32 exec_lo, exec_lo, s35
.LBB62_12:                              ;   in Loop: Header=BB62_5 Depth=1
	s_and_not1_saveexec_b32 s3, s34
	s_cbranch_execz .LBB62_14
; %bb.13:                               ;   in Loop: Header=BB62_5 Depth=1
	v_div_scale_f64 v[40:41], null, v[32:33], v[32:33], v[30:31]
	v_div_scale_f64 v[50:51], vcc_lo, v[30:31], v[32:33], v[30:31]
	s_delay_alu instid0(VALU_DEP_2) | instskip(SKIP_1) | instid1(TRANS32_DEP_1)
	v_rcp_f64_e32 v[42:43], v[40:41]
	v_nop
	v_fma_f64 v[48:49], -v[40:41], v[42:43], 1.0
	s_delay_alu instid0(VALU_DEP_1) | instskip(NEXT) | instid1(VALU_DEP_1)
	v_fmac_f64_e32 v[42:43], v[42:43], v[48:49]
	v_fma_f64 v[48:49], -v[40:41], v[42:43], 1.0
	s_delay_alu instid0(VALU_DEP_1) | instskip(NEXT) | instid1(VALU_DEP_1)
	v_fmac_f64_e32 v[42:43], v[42:43], v[48:49]
	v_mul_f64_e32 v[48:49], v[50:51], v[42:43]
	s_delay_alu instid0(VALU_DEP_1) | instskip(NEXT) | instid1(VALU_DEP_1)
	v_fma_f64 v[40:41], -v[40:41], v[48:49], v[50:51]
	v_div_fmas_f64 v[40:41], v[40:41], v[42:43], v[48:49]
	s_delay_alu instid0(VALU_DEP_1) | instskip(NEXT) | instid1(VALU_DEP_1)
	v_div_fixup_f64 v[40:41], v[40:41], v[32:33], v[30:31]
	v_fma_f64 v[42:43], v[30:31], v[40:41], v[32:33]
	s_delay_alu instid0(VALU_DEP_1) | instskip(SKIP_1) | instid1(VALU_DEP_2)
	v_div_scale_f64 v[48:49], null, v[42:43], v[42:43], 1.0
	v_div_scale_f64 v[54:55], vcc_lo, 1.0, v[42:43], 1.0
	v_rcp_f64_e32 v[50:51], v[48:49]
	v_nop
	s_delay_alu instid0(TRANS32_DEP_1) | instskip(NEXT) | instid1(VALU_DEP_1)
	v_fma_f64 v[52:53], -v[48:49], v[50:51], 1.0
	v_fmac_f64_e32 v[50:51], v[50:51], v[52:53]
	s_delay_alu instid0(VALU_DEP_1) | instskip(NEXT) | instid1(VALU_DEP_1)
	v_fma_f64 v[52:53], -v[48:49], v[50:51], 1.0
	v_fmac_f64_e32 v[50:51], v[50:51], v[52:53]
	s_delay_alu instid0(VALU_DEP_1) | instskip(NEXT) | instid1(VALU_DEP_1)
	v_mul_f64_e32 v[52:53], v[54:55], v[50:51]
	v_fma_f64 v[48:49], -v[48:49], v[52:53], v[54:55]
	s_delay_alu instid0(VALU_DEP_1) | instskip(SKIP_2) | instid1(VALU_DEP_3)
	v_div_fmas_f64 v[48:49], v[48:49], v[50:51], v[52:53]
	v_fma_f64 v[50:51], s[8:9], v[40:41], s[10:11]
	v_fma_f64 v[40:41], s[10:11], v[40:41], -s[8:9]
	v_div_fixup_f64 v[42:43], v[48:49], v[42:43], 1.0
	s_delay_alu instid0(VALU_DEP_1) | instskip(NEXT) | instid1(VALU_DEP_3)
	v_mul_f64_e32 v[48:49], v[50:51], v[42:43]
	v_mul_f64_e32 v[40:41], v[40:41], v[42:43]
.LBB62_14:                              ;   in Loop: Header=BB62_5 Depth=1
	s_or_b32 exec_lo, exec_lo, s3
	s_delay_alu instid0(VALU_DEP_1) | instskip(SKIP_2) | instid1(VALU_DEP_2)
	v_mul_f64_e32 v[42:43], s[6:7], v[40:41]
	v_mul_f64_e32 v[40:41], s[4:5], v[40:41]
	s_mov_b32 s3, 0
	v_fma_f64 v[42:43], s[4:5], v[48:49], -v[42:43]
	s_delay_alu instid0(VALU_DEP_2)
	v_fmac_f64_e32 v[40:41], s[6:7], v[48:49]
.LBB62_15:                              ;   in Loop: Header=BB62_5 Depth=1
	s_and_b32 vcc_lo, exec_lo, s3
	s_cbranch_vccz .LBB62_25
; %bb.16:                               ;   in Loop: Header=BB62_5 Depth=1
                                        ; implicit-def: $vgpr40_vgpr41
                                        ; implicit-def: $vgpr42_vgpr43
	s_and_saveexec_b32 s3, s2
	s_delay_alu instid0(SALU_CYCLE_1)
	s_xor_b32 s3, exec_lo, s3
	s_cbranch_execz .LBB62_22
; %bb.17:                               ;   in Loop: Header=BB62_5 Depth=1
	v_cmp_neq_f64_e32 vcc_lo, 0, v[30:31]
	v_cmp_neq_f64_e64 s2, 0, v[32:33]
                                        ; implicit-def: $vgpr40_vgpr41
                                        ; implicit-def: $vgpr42_vgpr43
	s_or_b32 s2, vcc_lo, s2
	s_delay_alu instid0(SALU_CYCLE_1) | instskip(NEXT) | instid1(SALU_CYCLE_1)
	s_and_saveexec_b32 s34, s2
	s_xor_b32 s2, exec_lo, s34
	s_cbranch_execz .LBB62_19
; %bb.18:                               ;   in Loop: Header=BB62_5 Depth=1
	v_div_scale_f64 v[40:41], null, v[30:31], v[30:31], v[32:33]
	v_div_scale_f64 v[46:47], vcc_lo, v[32:33], v[30:31], v[32:33]
	s_delay_alu instid0(VALU_DEP_2) | instskip(SKIP_1) | instid1(TRANS32_DEP_1)
	v_rcp_f64_e32 v[42:43], v[40:41]
	v_nop
	v_fma_f64 v[44:45], -v[40:41], v[42:43], 1.0
	s_delay_alu instid0(VALU_DEP_1) | instskip(NEXT) | instid1(VALU_DEP_1)
	v_fmac_f64_e32 v[42:43], v[42:43], v[44:45]
	v_fma_f64 v[44:45], -v[40:41], v[42:43], 1.0
	s_delay_alu instid0(VALU_DEP_1) | instskip(NEXT) | instid1(VALU_DEP_1)
	v_fmac_f64_e32 v[42:43], v[42:43], v[44:45]
	v_mul_f64_e32 v[44:45], v[46:47], v[42:43]
	s_delay_alu instid0(VALU_DEP_1) | instskip(NEXT) | instid1(VALU_DEP_1)
	v_fma_f64 v[40:41], -v[40:41], v[44:45], v[46:47]
	v_div_fmas_f64 v[40:41], v[40:41], v[42:43], v[44:45]
	s_delay_alu instid0(VALU_DEP_1) | instskip(NEXT) | instid1(VALU_DEP_1)
	v_div_fixup_f64 v[40:41], v[40:41], v[30:31], v[32:33]
	v_fmac_f64_e32 v[30:31], v[32:33], v[40:41]
	s_delay_alu instid0(VALU_DEP_1) | instskip(SKIP_1) | instid1(VALU_DEP_2)
	v_div_scale_f64 v[32:33], null, v[30:31], v[30:31], 1.0
	v_div_scale_f64 v[46:47], vcc_lo, 1.0, v[30:31], 1.0
	v_rcp_f64_e32 v[42:43], v[32:33]
	v_nop
	s_delay_alu instid0(TRANS32_DEP_1) | instskip(NEXT) | instid1(VALU_DEP_1)
	v_fma_f64 v[44:45], -v[32:33], v[42:43], 1.0
	v_fmac_f64_e32 v[42:43], v[42:43], v[44:45]
	s_delay_alu instid0(VALU_DEP_1) | instskip(NEXT) | instid1(VALU_DEP_1)
	v_fma_f64 v[44:45], -v[32:33], v[42:43], 1.0
	v_fmac_f64_e32 v[42:43], v[42:43], v[44:45]
	s_delay_alu instid0(VALU_DEP_1) | instskip(NEXT) | instid1(VALU_DEP_1)
	v_mul_f64_e32 v[44:45], v[46:47], v[42:43]
	v_fma_f64 v[32:33], -v[32:33], v[44:45], v[46:47]
                                        ; implicit-def: $vgpr46_vgpr47
	s_delay_alu instid0(VALU_DEP_1) | instskip(SKIP_1) | instid1(VALU_DEP_2)
	v_div_fmas_f64 v[32:33], v[32:33], v[42:43], v[44:45]
	v_fma_f64 v[42:43], s[10:11], v[40:41], s[8:9]
                                        ; implicit-def: $vgpr44_vgpr45
	v_div_fixup_f64 v[30:31], v[32:33], v[30:31], 1.0
	v_fma_f64 v[32:33], -s[8:9], v[40:41], s[10:11]
	s_delay_alu instid0(VALU_DEP_2) | instskip(NEXT) | instid1(VALU_DEP_2)
	v_mul_f64_e32 v[42:43], v[42:43], v[30:31]
	v_mul_f64_e32 v[40:41], v[32:33], v[30:31]
.LBB62_19:                              ;   in Loop: Header=BB62_5 Depth=1
	s_and_not1_saveexec_b32 s34, s2
	s_cbranch_execz .LBB62_21
; %bb.20:                               ;   in Loop: Header=BB62_5 Depth=1
	v_div_scale_f64 v[30:31], null, v[44:45], v[44:45], s[8:9]
	v_div_scale_f64 v[32:33], null, v[46:47], v[46:47], s[10:11]
	v_div_scale_f64 v[52:53], vcc_lo, s[8:9], v[44:45], s[8:9]
	s_delay_alu instid0(VALU_DEP_3) | instskip(NEXT) | instid1(VALU_DEP_2)
	v_rcp_f64_e32 v[40:41], v[30:31]
	v_rcp_f64_e32 v[42:43], v[32:33]
	s_delay_alu instid0(TRANS32_DEP_2) | instskip(NEXT) | instid1(TRANS32_DEP_1)
	v_fma_f64 v[48:49], -v[30:31], v[40:41], 1.0
	v_fma_f64 v[50:51], -v[32:33], v[42:43], 1.0
	s_delay_alu instid0(VALU_DEP_2) | instskip(NEXT) | instid1(VALU_DEP_2)
	v_fmac_f64_e32 v[40:41], v[40:41], v[48:49]
	v_fmac_f64_e32 v[42:43], v[42:43], v[50:51]
	s_delay_alu instid0(VALU_DEP_2) | instskip(NEXT) | instid1(VALU_DEP_2)
	v_fma_f64 v[48:49], -v[30:31], v[40:41], 1.0
	v_fma_f64 v[50:51], -v[32:33], v[42:43], 1.0
	s_delay_alu instid0(VALU_DEP_2) | instskip(SKIP_1) | instid1(VALU_DEP_3)
	v_fmac_f64_e32 v[40:41], v[40:41], v[48:49]
	v_div_scale_f64 v[48:49], s2, s[10:11], v[46:47], s[10:11]
	v_fmac_f64_e32 v[42:43], v[42:43], v[50:51]
	s_delay_alu instid0(VALU_DEP_3) | instskip(NEXT) | instid1(VALU_DEP_2)
	v_mul_f64_e32 v[50:51], v[52:53], v[40:41]
	v_mul_f64_e32 v[54:55], v[48:49], v[42:43]
	s_delay_alu instid0(VALU_DEP_2) | instskip(NEXT) | instid1(VALU_DEP_2)
	v_fma_f64 v[30:31], -v[30:31], v[50:51], v[52:53]
	v_fma_f64 v[32:33], -v[32:33], v[54:55], v[48:49]
	s_delay_alu instid0(VALU_DEP_2) | instskip(SKIP_1) | instid1(VALU_DEP_2)
	v_div_fmas_f64 v[30:31], v[30:31], v[40:41], v[50:51]
	s_mov_b32 vcc_lo, s2
	v_div_fmas_f64 v[32:33], v[32:33], v[42:43], v[54:55]
	s_delay_alu instid0(VALU_DEP_2) | instskip(NEXT) | instid1(VALU_DEP_2)
	v_div_fixup_f64 v[42:43], v[30:31], v[44:45], s[8:9]
	v_div_fixup_f64 v[40:41], v[32:33], v[46:47], s[10:11]
.LBB62_21:                              ;   in Loop: Header=BB62_5 Depth=1
	s_or_b32 exec_lo, exec_lo, s34
                                        ; implicit-def: $vgpr32_vgpr33
.LBB62_22:                              ;   in Loop: Header=BB62_5 Depth=1
	s_and_not1_saveexec_b32 s2, s3
	s_cbranch_execz .LBB62_24
; %bb.23:                               ;   in Loop: Header=BB62_5 Depth=1
	v_div_scale_f64 v[40:41], null, v[32:33], v[32:33], v[30:31]
	v_div_scale_f64 v[46:47], vcc_lo, v[30:31], v[32:33], v[30:31]
	s_delay_alu instid0(VALU_DEP_2) | instskip(SKIP_1) | instid1(TRANS32_DEP_1)
	v_rcp_f64_e32 v[42:43], v[40:41]
	v_nop
	v_fma_f64 v[44:45], -v[40:41], v[42:43], 1.0
	s_delay_alu instid0(VALU_DEP_1) | instskip(NEXT) | instid1(VALU_DEP_1)
	v_fmac_f64_e32 v[42:43], v[42:43], v[44:45]
	v_fma_f64 v[44:45], -v[40:41], v[42:43], 1.0
	s_delay_alu instid0(VALU_DEP_1) | instskip(NEXT) | instid1(VALU_DEP_1)
	v_fmac_f64_e32 v[42:43], v[42:43], v[44:45]
	v_mul_f64_e32 v[44:45], v[46:47], v[42:43]
	s_delay_alu instid0(VALU_DEP_1) | instskip(NEXT) | instid1(VALU_DEP_1)
	v_fma_f64 v[40:41], -v[40:41], v[44:45], v[46:47]
	v_div_fmas_f64 v[40:41], v[40:41], v[42:43], v[44:45]
	s_delay_alu instid0(VALU_DEP_1) | instskip(NEXT) | instid1(VALU_DEP_1)
	v_div_fixup_f64 v[40:41], v[40:41], v[32:33], v[30:31]
	v_fmac_f64_e32 v[32:33], v[30:31], v[40:41]
	s_delay_alu instid0(VALU_DEP_1) | instskip(SKIP_1) | instid1(VALU_DEP_2)
	v_div_scale_f64 v[30:31], null, v[32:33], v[32:33], 1.0
	v_div_scale_f64 v[46:47], vcc_lo, 1.0, v[32:33], 1.0
	v_rcp_f64_e32 v[42:43], v[30:31]
	v_nop
	s_delay_alu instid0(TRANS32_DEP_1) | instskip(NEXT) | instid1(VALU_DEP_1)
	v_fma_f64 v[44:45], -v[30:31], v[42:43], 1.0
	v_fmac_f64_e32 v[42:43], v[42:43], v[44:45]
	s_delay_alu instid0(VALU_DEP_1) | instskip(NEXT) | instid1(VALU_DEP_1)
	v_fma_f64 v[44:45], -v[30:31], v[42:43], 1.0
	v_fmac_f64_e32 v[42:43], v[42:43], v[44:45]
	s_delay_alu instid0(VALU_DEP_1) | instskip(NEXT) | instid1(VALU_DEP_1)
	v_mul_f64_e32 v[44:45], v[46:47], v[42:43]
	v_fma_f64 v[30:31], -v[30:31], v[44:45], v[46:47]
	s_delay_alu instid0(VALU_DEP_1) | instskip(SKIP_1) | instid1(VALU_DEP_2)
	v_div_fmas_f64 v[30:31], v[30:31], v[42:43], v[44:45]
	v_fma_f64 v[42:43], s[8:9], v[40:41], s[10:11]
	v_div_fixup_f64 v[30:31], v[30:31], v[32:33], 1.0
	v_fma_f64 v[32:33], s[10:11], v[40:41], -s[8:9]
	s_delay_alu instid0(VALU_DEP_2) | instskip(NEXT) | instid1(VALU_DEP_2)
	v_mul_f64_e32 v[42:43], v[42:43], v[30:31]
	v_mul_f64_e32 v[40:41], v[32:33], v[30:31]
.LBB62_24:                              ;   in Loop: Header=BB62_5 Depth=1
	s_or_b32 exec_lo, exec_lo, s2
.LBB62_25:                              ;   in Loop: Header=BB62_5 Depth=1
	s_wait_loadcnt 0x6
	v_cmp_gt_f64_e32 vcc_lo, 0, v[26:27]
	v_xor_b32_e32 v1, 0x80000000, v27
	v_mov_b32_e32 v44, v26
	v_xor_b32_e32 v30, 0x80000000, v29
	s_mov_b32 s3, -1
                                        ; implicit-def: $vgpr32_vgpr33
	s_delay_alu instid0(VALU_DEP_3) | instskip(SKIP_1) | instid1(VALU_DEP_3)
	v_dual_mov_b32 v46, v28 :: v_dual_cndmask_b32 v45, v27, v1
	v_cmp_gt_f64_e32 vcc_lo, 0, v[28:29]
	v_cndmask_b32_e32 v47, v29, v30, vcc_lo
	s_and_not1_b32 vcc_lo, exec_lo, s33
                                        ; implicit-def: $vgpr30_vgpr31
	s_delay_alu instid0(VALU_DEP_1)
	v_cmp_ge_f64_e64 s2, v[44:45], v[46:47]
	s_cbranch_vccnz .LBB62_35
; %bb.26:                               ;   in Loop: Header=BB62_5 Depth=1
                                        ; implicit-def: $vgpr30_vgpr31
                                        ; implicit-def: $vgpr48_vgpr49
	s_and_saveexec_b32 s3, s2
	s_delay_alu instid0(SALU_CYCLE_1)
	s_xor_b32 s34, exec_lo, s3
	s_cbranch_execz .LBB62_32
; %bb.27:                               ;   in Loop: Header=BB62_5 Depth=1
	v_cmp_neq_f64_e32 vcc_lo, 0, v[26:27]
	v_cmp_neq_f64_e64 s3, 0, v[28:29]
                                        ; implicit-def: $vgpr30_vgpr31
                                        ; implicit-def: $vgpr48_vgpr49
	s_or_b32 s3, vcc_lo, s3
	s_delay_alu instid0(SALU_CYCLE_1) | instskip(NEXT) | instid1(SALU_CYCLE_1)
	s_and_saveexec_b32 s35, s3
	s_xor_b32 s3, exec_lo, s35
	s_cbranch_execz .LBB62_29
; %bb.28:                               ;   in Loop: Header=BB62_5 Depth=1
	v_div_scale_f64 v[30:31], null, v[26:27], v[26:27], v[28:29]
	v_div_scale_f64 v[50:51], vcc_lo, v[28:29], v[26:27], v[28:29]
	s_delay_alu instid0(VALU_DEP_2) | instskip(SKIP_1) | instid1(TRANS32_DEP_1)
	v_rcp_f64_e32 v[32:33], v[30:31]
	v_nop
	v_fma_f64 v[48:49], -v[30:31], v[32:33], 1.0
	s_delay_alu instid0(VALU_DEP_1) | instskip(NEXT) | instid1(VALU_DEP_1)
	v_fmac_f64_e32 v[32:33], v[32:33], v[48:49]
	v_fma_f64 v[48:49], -v[30:31], v[32:33], 1.0
	s_delay_alu instid0(VALU_DEP_1) | instskip(NEXT) | instid1(VALU_DEP_1)
	v_fmac_f64_e32 v[32:33], v[32:33], v[48:49]
	v_mul_f64_e32 v[48:49], v[50:51], v[32:33]
	s_delay_alu instid0(VALU_DEP_1) | instskip(NEXT) | instid1(VALU_DEP_1)
	v_fma_f64 v[30:31], -v[30:31], v[48:49], v[50:51]
	v_div_fmas_f64 v[30:31], v[30:31], v[32:33], v[48:49]
	s_delay_alu instid0(VALU_DEP_1) | instskip(NEXT) | instid1(VALU_DEP_1)
	v_div_fixup_f64 v[30:31], v[30:31], v[26:27], v[28:29]
	v_fma_f64 v[32:33], v[28:29], v[30:31], v[26:27]
	s_delay_alu instid0(VALU_DEP_1) | instskip(SKIP_1) | instid1(VALU_DEP_2)
	v_div_scale_f64 v[48:49], null, v[32:33], v[32:33], 1.0
	v_div_scale_f64 v[54:55], vcc_lo, 1.0, v[32:33], 1.0
	v_rcp_f64_e32 v[50:51], v[48:49]
	v_nop
	s_delay_alu instid0(TRANS32_DEP_1) | instskip(NEXT) | instid1(VALU_DEP_1)
	v_fma_f64 v[52:53], -v[48:49], v[50:51], 1.0
	v_fmac_f64_e32 v[50:51], v[50:51], v[52:53]
	s_delay_alu instid0(VALU_DEP_1) | instskip(NEXT) | instid1(VALU_DEP_1)
	v_fma_f64 v[52:53], -v[48:49], v[50:51], 1.0
	v_fmac_f64_e32 v[50:51], v[50:51], v[52:53]
	s_delay_alu instid0(VALU_DEP_1) | instskip(NEXT) | instid1(VALU_DEP_1)
	v_mul_f64_e32 v[52:53], v[54:55], v[50:51]
	v_fma_f64 v[48:49], -v[48:49], v[52:53], v[54:55]
	s_delay_alu instid0(VALU_DEP_1) | instskip(SKIP_2) | instid1(VALU_DEP_3)
	v_div_fmas_f64 v[48:49], v[48:49], v[50:51], v[52:53]
	v_fma_f64 v[50:51], s[10:11], v[30:31], s[8:9]
	v_fma_f64 v[30:31], -s[8:9], v[30:31], s[10:11]
	v_div_fixup_f64 v[32:33], v[48:49], v[32:33], 1.0
	s_delay_alu instid0(VALU_DEP_1) | instskip(NEXT) | instid1(VALU_DEP_3)
	v_mul_f64_e32 v[48:49], v[50:51], v[32:33]
	v_mul_f64_e32 v[30:31], v[30:31], v[32:33]
.LBB62_29:                              ;   in Loop: Header=BB62_5 Depth=1
	s_and_not1_saveexec_b32 s35, s3
	s_cbranch_execz .LBB62_31
; %bb.30:                               ;   in Loop: Header=BB62_5 Depth=1
	v_div_scale_f64 v[30:31], null, v[44:45], v[44:45], s[8:9]
	v_div_scale_f64 v[32:33], null, v[46:47], v[46:47], s[10:11]
	v_div_scale_f64 v[56:57], vcc_lo, s[8:9], v[44:45], s[8:9]
	s_delay_alu instid0(VALU_DEP_3) | instskip(NEXT) | instid1(VALU_DEP_2)
	v_rcp_f64_e32 v[48:49], v[30:31]
	v_rcp_f64_e32 v[50:51], v[32:33]
	s_delay_alu instid0(TRANS32_DEP_2) | instskip(NEXT) | instid1(TRANS32_DEP_1)
	v_fma_f64 v[52:53], -v[30:31], v[48:49], 1.0
	v_fma_f64 v[54:55], -v[32:33], v[50:51], 1.0
	s_delay_alu instid0(VALU_DEP_2) | instskip(NEXT) | instid1(VALU_DEP_2)
	v_fmac_f64_e32 v[48:49], v[48:49], v[52:53]
	v_fmac_f64_e32 v[50:51], v[50:51], v[54:55]
	s_delay_alu instid0(VALU_DEP_2) | instskip(NEXT) | instid1(VALU_DEP_2)
	v_fma_f64 v[52:53], -v[30:31], v[48:49], 1.0
	v_fma_f64 v[54:55], -v[32:33], v[50:51], 1.0
	s_delay_alu instid0(VALU_DEP_2) | instskip(SKIP_1) | instid1(VALU_DEP_3)
	v_fmac_f64_e32 v[48:49], v[48:49], v[52:53]
	v_div_scale_f64 v[52:53], s3, s[10:11], v[46:47], s[10:11]
	v_fmac_f64_e32 v[50:51], v[50:51], v[54:55]
	s_delay_alu instid0(VALU_DEP_3) | instskip(NEXT) | instid1(VALU_DEP_2)
	v_mul_f64_e32 v[54:55], v[56:57], v[48:49]
	v_mul_f64_e32 v[58:59], v[52:53], v[50:51]
	s_delay_alu instid0(VALU_DEP_2) | instskip(NEXT) | instid1(VALU_DEP_2)
	v_fma_f64 v[30:31], -v[30:31], v[54:55], v[56:57]
	v_fma_f64 v[32:33], -v[32:33], v[58:59], v[52:53]
	s_delay_alu instid0(VALU_DEP_2) | instskip(SKIP_1) | instid1(VALU_DEP_2)
	v_div_fmas_f64 v[30:31], v[30:31], v[48:49], v[54:55]
	s_mov_b32 vcc_lo, s3
	v_div_fmas_f64 v[32:33], v[32:33], v[50:51], v[58:59]
	s_delay_alu instid0(VALU_DEP_2) | instskip(NEXT) | instid1(VALU_DEP_2)
	v_div_fixup_f64 v[48:49], v[30:31], v[44:45], s[8:9]
	v_div_fixup_f64 v[30:31], v[32:33], v[46:47], s[10:11]
.LBB62_31:                              ;   in Loop: Header=BB62_5 Depth=1
	s_or_b32 exec_lo, exec_lo, s35
.LBB62_32:                              ;   in Loop: Header=BB62_5 Depth=1
	s_and_not1_saveexec_b32 s3, s34
	s_cbranch_execz .LBB62_34
; %bb.33:                               ;   in Loop: Header=BB62_5 Depth=1
	v_div_scale_f64 v[30:31], null, v[28:29], v[28:29], v[26:27]
	v_div_scale_f64 v[50:51], vcc_lo, v[26:27], v[28:29], v[26:27]
	s_delay_alu instid0(VALU_DEP_2) | instskip(SKIP_1) | instid1(TRANS32_DEP_1)
	v_rcp_f64_e32 v[32:33], v[30:31]
	v_nop
	v_fma_f64 v[48:49], -v[30:31], v[32:33], 1.0
	s_delay_alu instid0(VALU_DEP_1) | instskip(NEXT) | instid1(VALU_DEP_1)
	v_fmac_f64_e32 v[32:33], v[32:33], v[48:49]
	v_fma_f64 v[48:49], -v[30:31], v[32:33], 1.0
	s_delay_alu instid0(VALU_DEP_1) | instskip(NEXT) | instid1(VALU_DEP_1)
	v_fmac_f64_e32 v[32:33], v[32:33], v[48:49]
	v_mul_f64_e32 v[48:49], v[50:51], v[32:33]
	s_delay_alu instid0(VALU_DEP_1) | instskip(NEXT) | instid1(VALU_DEP_1)
	v_fma_f64 v[30:31], -v[30:31], v[48:49], v[50:51]
	v_div_fmas_f64 v[30:31], v[30:31], v[32:33], v[48:49]
	s_delay_alu instid0(VALU_DEP_1) | instskip(NEXT) | instid1(VALU_DEP_1)
	v_div_fixup_f64 v[30:31], v[30:31], v[28:29], v[26:27]
	v_fma_f64 v[32:33], v[26:27], v[30:31], v[28:29]
	s_delay_alu instid0(VALU_DEP_1) | instskip(SKIP_1) | instid1(VALU_DEP_2)
	v_div_scale_f64 v[48:49], null, v[32:33], v[32:33], 1.0
	v_div_scale_f64 v[54:55], vcc_lo, 1.0, v[32:33], 1.0
	v_rcp_f64_e32 v[50:51], v[48:49]
	v_nop
	s_delay_alu instid0(TRANS32_DEP_1) | instskip(NEXT) | instid1(VALU_DEP_1)
	v_fma_f64 v[52:53], -v[48:49], v[50:51], 1.0
	v_fmac_f64_e32 v[50:51], v[50:51], v[52:53]
	s_delay_alu instid0(VALU_DEP_1) | instskip(NEXT) | instid1(VALU_DEP_1)
	v_fma_f64 v[52:53], -v[48:49], v[50:51], 1.0
	v_fmac_f64_e32 v[50:51], v[50:51], v[52:53]
	s_delay_alu instid0(VALU_DEP_1) | instskip(NEXT) | instid1(VALU_DEP_1)
	v_mul_f64_e32 v[52:53], v[54:55], v[50:51]
	v_fma_f64 v[48:49], -v[48:49], v[52:53], v[54:55]
	s_delay_alu instid0(VALU_DEP_1) | instskip(SKIP_2) | instid1(VALU_DEP_3)
	v_div_fmas_f64 v[48:49], v[48:49], v[50:51], v[52:53]
	v_fma_f64 v[50:51], s[8:9], v[30:31], s[10:11]
	v_fma_f64 v[30:31], s[10:11], v[30:31], -s[8:9]
	v_div_fixup_f64 v[32:33], v[48:49], v[32:33], 1.0
	s_delay_alu instid0(VALU_DEP_1) | instskip(NEXT) | instid1(VALU_DEP_3)
	v_mul_f64_e32 v[48:49], v[50:51], v[32:33]
	v_mul_f64_e32 v[30:31], v[30:31], v[32:33]
.LBB62_34:                              ;   in Loop: Header=BB62_5 Depth=1
	s_or_b32 exec_lo, exec_lo, s3
	s_delay_alu instid0(VALU_DEP_1) | instskip(SKIP_2) | instid1(VALU_DEP_2)
	v_mul_f64_e32 v[50:51], s[6:7], v[30:31]
	v_mul_f64_e32 v[32:33], s[4:5], v[30:31]
	s_mov_b32 s3, 0
	v_fma_f64 v[30:31], s[4:5], v[48:49], -v[50:51]
	s_delay_alu instid0(VALU_DEP_2)
	v_fmac_f64_e32 v[32:33], s[6:7], v[48:49]
.LBB62_35:                              ;   in Loop: Header=BB62_5 Depth=1
	s_and_b32 vcc_lo, exec_lo, s3
	s_cbranch_vccz .LBB62_45
; %bb.36:                               ;   in Loop: Header=BB62_5 Depth=1
                                        ; implicit-def: $vgpr32_vgpr33
                                        ; implicit-def: $vgpr30_vgpr31
	s_and_saveexec_b32 s3, s2
	s_delay_alu instid0(SALU_CYCLE_1)
	s_xor_b32 s3, exec_lo, s3
	s_cbranch_execz .LBB62_42
; %bb.37:                               ;   in Loop: Header=BB62_5 Depth=1
	v_cmp_neq_f64_e32 vcc_lo, 0, v[26:27]
	v_cmp_neq_f64_e64 s2, 0, v[28:29]
                                        ; implicit-def: $vgpr32_vgpr33
                                        ; implicit-def: $vgpr30_vgpr31
	s_or_b32 s2, vcc_lo, s2
	s_delay_alu instid0(SALU_CYCLE_1) | instskip(NEXT) | instid1(SALU_CYCLE_1)
	s_and_saveexec_b32 s34, s2
	s_xor_b32 s2, exec_lo, s34
	s_cbranch_execz .LBB62_39
; %bb.38:                               ;   in Loop: Header=BB62_5 Depth=1
	v_div_scale_f64 v[30:31], null, v[26:27], v[26:27], v[28:29]
	v_div_scale_f64 v[46:47], vcc_lo, v[28:29], v[26:27], v[28:29]
	s_delay_alu instid0(VALU_DEP_2) | instskip(SKIP_1) | instid1(TRANS32_DEP_1)
	v_rcp_f64_e32 v[32:33], v[30:31]
	v_nop
	v_fma_f64 v[44:45], -v[30:31], v[32:33], 1.0
	s_delay_alu instid0(VALU_DEP_1) | instskip(NEXT) | instid1(VALU_DEP_1)
	v_fmac_f64_e32 v[32:33], v[32:33], v[44:45]
	v_fma_f64 v[44:45], -v[30:31], v[32:33], 1.0
	s_delay_alu instid0(VALU_DEP_1) | instskip(NEXT) | instid1(VALU_DEP_1)
	v_fmac_f64_e32 v[32:33], v[32:33], v[44:45]
	v_mul_f64_e32 v[44:45], v[46:47], v[32:33]
	s_delay_alu instid0(VALU_DEP_1) | instskip(NEXT) | instid1(VALU_DEP_1)
	v_fma_f64 v[30:31], -v[30:31], v[44:45], v[46:47]
	v_div_fmas_f64 v[30:31], v[30:31], v[32:33], v[44:45]
	s_delay_alu instid0(VALU_DEP_1) | instskip(NEXT) | instid1(VALU_DEP_1)
	v_div_fixup_f64 v[30:31], v[30:31], v[26:27], v[28:29]
	v_fmac_f64_e32 v[26:27], v[28:29], v[30:31]
	s_delay_alu instid0(VALU_DEP_1) | instskip(SKIP_1) | instid1(VALU_DEP_2)
	v_div_scale_f64 v[28:29], null, v[26:27], v[26:27], 1.0
	v_div_scale_f64 v[46:47], vcc_lo, 1.0, v[26:27], 1.0
	v_rcp_f64_e32 v[32:33], v[28:29]
	v_nop
	s_delay_alu instid0(TRANS32_DEP_1) | instskip(NEXT) | instid1(VALU_DEP_1)
	v_fma_f64 v[44:45], -v[28:29], v[32:33], 1.0
	v_fmac_f64_e32 v[32:33], v[32:33], v[44:45]
	s_delay_alu instid0(VALU_DEP_1) | instskip(NEXT) | instid1(VALU_DEP_1)
	v_fma_f64 v[44:45], -v[28:29], v[32:33], 1.0
	v_fmac_f64_e32 v[32:33], v[32:33], v[44:45]
	s_delay_alu instid0(VALU_DEP_1) | instskip(NEXT) | instid1(VALU_DEP_1)
	v_mul_f64_e32 v[44:45], v[46:47], v[32:33]
	v_fma_f64 v[28:29], -v[28:29], v[44:45], v[46:47]
                                        ; implicit-def: $vgpr46_vgpr47
	s_delay_alu instid0(VALU_DEP_1) | instskip(SKIP_1) | instid1(VALU_DEP_2)
	v_div_fmas_f64 v[28:29], v[28:29], v[32:33], v[44:45]
	v_fma_f64 v[32:33], s[10:11], v[30:31], s[8:9]
                                        ; implicit-def: $vgpr44_vgpr45
	v_div_fixup_f64 v[26:27], v[28:29], v[26:27], 1.0
	v_fma_f64 v[28:29], -s[8:9], v[30:31], s[10:11]
	s_delay_alu instid0(VALU_DEP_2) | instskip(NEXT) | instid1(VALU_DEP_2)
	v_mul_f64_e32 v[30:31], v[32:33], v[26:27]
	v_mul_f64_e32 v[32:33], v[28:29], v[26:27]
.LBB62_39:                              ;   in Loop: Header=BB62_5 Depth=1
	s_and_not1_saveexec_b32 s34, s2
	s_cbranch_execz .LBB62_41
; %bb.40:                               ;   in Loop: Header=BB62_5 Depth=1
	v_div_scale_f64 v[26:27], null, v[44:45], v[44:45], s[8:9]
	v_div_scale_f64 v[28:29], null, v[46:47], v[46:47], s[10:11]
	v_div_scale_f64 v[52:53], vcc_lo, s[8:9], v[44:45], s[8:9]
	s_delay_alu instid0(VALU_DEP_3) | instskip(NEXT) | instid1(VALU_DEP_2)
	v_rcp_f64_e32 v[30:31], v[26:27]
	v_rcp_f64_e32 v[32:33], v[28:29]
	s_delay_alu instid0(TRANS32_DEP_2) | instskip(NEXT) | instid1(TRANS32_DEP_1)
	v_fma_f64 v[48:49], -v[26:27], v[30:31], 1.0
	v_fma_f64 v[50:51], -v[28:29], v[32:33], 1.0
	s_delay_alu instid0(VALU_DEP_2) | instskip(NEXT) | instid1(VALU_DEP_2)
	v_fmac_f64_e32 v[30:31], v[30:31], v[48:49]
	v_fmac_f64_e32 v[32:33], v[32:33], v[50:51]
	s_delay_alu instid0(VALU_DEP_2) | instskip(NEXT) | instid1(VALU_DEP_2)
	v_fma_f64 v[48:49], -v[26:27], v[30:31], 1.0
	v_fma_f64 v[50:51], -v[28:29], v[32:33], 1.0
	s_delay_alu instid0(VALU_DEP_2) | instskip(SKIP_1) | instid1(VALU_DEP_3)
	v_fmac_f64_e32 v[30:31], v[30:31], v[48:49]
	v_div_scale_f64 v[48:49], s2, s[10:11], v[46:47], s[10:11]
	v_fmac_f64_e32 v[32:33], v[32:33], v[50:51]
	s_delay_alu instid0(VALU_DEP_3) | instskip(NEXT) | instid1(VALU_DEP_2)
	v_mul_f64_e32 v[50:51], v[52:53], v[30:31]
	v_mul_f64_e32 v[54:55], v[48:49], v[32:33]
	s_delay_alu instid0(VALU_DEP_2) | instskip(NEXT) | instid1(VALU_DEP_2)
	v_fma_f64 v[26:27], -v[26:27], v[50:51], v[52:53]
	v_fma_f64 v[28:29], -v[28:29], v[54:55], v[48:49]
	s_delay_alu instid0(VALU_DEP_2) | instskip(SKIP_1) | instid1(VALU_DEP_2)
	v_div_fmas_f64 v[26:27], v[26:27], v[30:31], v[50:51]
	s_mov_b32 vcc_lo, s2
	v_div_fmas_f64 v[28:29], v[28:29], v[32:33], v[54:55]
	s_delay_alu instid0(VALU_DEP_2) | instskip(NEXT) | instid1(VALU_DEP_2)
	v_div_fixup_f64 v[30:31], v[26:27], v[44:45], s[8:9]
	v_div_fixup_f64 v[32:33], v[28:29], v[46:47], s[10:11]
.LBB62_41:                              ;   in Loop: Header=BB62_5 Depth=1
	s_or_b32 exec_lo, exec_lo, s34
                                        ; implicit-def: $vgpr28_vgpr29
.LBB62_42:                              ;   in Loop: Header=BB62_5 Depth=1
	s_and_not1_saveexec_b32 s2, s3
	s_cbranch_execz .LBB62_44
; %bb.43:                               ;   in Loop: Header=BB62_5 Depth=1
	v_div_scale_f64 v[30:31], null, v[28:29], v[28:29], v[26:27]
	v_div_scale_f64 v[46:47], vcc_lo, v[26:27], v[28:29], v[26:27]
	s_delay_alu instid0(VALU_DEP_2) | instskip(SKIP_1) | instid1(TRANS32_DEP_1)
	v_rcp_f64_e32 v[32:33], v[30:31]
	v_nop
	v_fma_f64 v[44:45], -v[30:31], v[32:33], 1.0
	s_delay_alu instid0(VALU_DEP_1) | instskip(NEXT) | instid1(VALU_DEP_1)
	v_fmac_f64_e32 v[32:33], v[32:33], v[44:45]
	v_fma_f64 v[44:45], -v[30:31], v[32:33], 1.0
	s_delay_alu instid0(VALU_DEP_1) | instskip(NEXT) | instid1(VALU_DEP_1)
	v_fmac_f64_e32 v[32:33], v[32:33], v[44:45]
	v_mul_f64_e32 v[44:45], v[46:47], v[32:33]
	s_delay_alu instid0(VALU_DEP_1) | instskip(NEXT) | instid1(VALU_DEP_1)
	v_fma_f64 v[30:31], -v[30:31], v[44:45], v[46:47]
	v_div_fmas_f64 v[30:31], v[30:31], v[32:33], v[44:45]
	s_delay_alu instid0(VALU_DEP_1) | instskip(NEXT) | instid1(VALU_DEP_1)
	v_div_fixup_f64 v[30:31], v[30:31], v[28:29], v[26:27]
	v_fmac_f64_e32 v[28:29], v[26:27], v[30:31]
	s_delay_alu instid0(VALU_DEP_1) | instskip(SKIP_1) | instid1(VALU_DEP_2)
	v_div_scale_f64 v[26:27], null, v[28:29], v[28:29], 1.0
	v_div_scale_f64 v[46:47], vcc_lo, 1.0, v[28:29], 1.0
	v_rcp_f64_e32 v[32:33], v[26:27]
	v_nop
	s_delay_alu instid0(TRANS32_DEP_1) | instskip(NEXT) | instid1(VALU_DEP_1)
	v_fma_f64 v[44:45], -v[26:27], v[32:33], 1.0
	v_fmac_f64_e32 v[32:33], v[32:33], v[44:45]
	s_delay_alu instid0(VALU_DEP_1) | instskip(NEXT) | instid1(VALU_DEP_1)
	v_fma_f64 v[44:45], -v[26:27], v[32:33], 1.0
	v_fmac_f64_e32 v[32:33], v[32:33], v[44:45]
	s_delay_alu instid0(VALU_DEP_1) | instskip(NEXT) | instid1(VALU_DEP_1)
	v_mul_f64_e32 v[44:45], v[46:47], v[32:33]
	v_fma_f64 v[26:27], -v[26:27], v[44:45], v[46:47]
	s_delay_alu instid0(VALU_DEP_1) | instskip(SKIP_1) | instid1(VALU_DEP_2)
	v_div_fmas_f64 v[26:27], v[26:27], v[32:33], v[44:45]
	v_fma_f64 v[32:33], s[8:9], v[30:31], s[10:11]
	v_div_fixup_f64 v[26:27], v[26:27], v[28:29], 1.0
	v_fma_f64 v[28:29], s[10:11], v[30:31], -s[8:9]
	s_delay_alu instid0(VALU_DEP_2) | instskip(NEXT) | instid1(VALU_DEP_2)
	v_mul_f64_e32 v[30:31], v[32:33], v[26:27]
	v_mul_f64_e32 v[32:33], v[28:29], v[26:27]
.LBB62_44:                              ;   in Loop: Header=BB62_5 Depth=1
	s_or_b32 exec_lo, exec_lo, s2
.LBB62_45:                              ;   in Loop: Header=BB62_5 Depth=1
	s_wait_loadcnt 0x0
	v_cmp_gt_f64_e32 vcc_lo, 0, v[22:23]
	v_xor_b32_e32 v1, 0x80000000, v23
	v_mov_b32_e32 v44, v22
	v_xor_b32_e32 v26, 0x80000000, v25
	s_mov_b32 s3, -1
                                        ; implicit-def: $vgpr28_vgpr29
	s_delay_alu instid0(VALU_DEP_3) | instskip(SKIP_1) | instid1(VALU_DEP_3)
	v_dual_mov_b32 v46, v24 :: v_dual_cndmask_b32 v45, v23, v1
	v_cmp_gt_f64_e32 vcc_lo, 0, v[24:25]
	v_cndmask_b32_e32 v47, v25, v26, vcc_lo
	s_and_not1_b32 vcc_lo, exec_lo, s33
                                        ; implicit-def: $vgpr26_vgpr27
	s_delay_alu instid0(VALU_DEP_1)
	v_cmp_ge_f64_e64 s2, v[44:45], v[46:47]
	s_cbranch_vccnz .LBB62_55
; %bb.46:                               ;   in Loop: Header=BB62_5 Depth=1
                                        ; implicit-def: $vgpr26_vgpr27
                                        ; implicit-def: $vgpr48_vgpr49
	s_and_saveexec_b32 s3, s2
	s_delay_alu instid0(SALU_CYCLE_1)
	s_xor_b32 s34, exec_lo, s3
	s_cbranch_execz .LBB62_52
; %bb.47:                               ;   in Loop: Header=BB62_5 Depth=1
	v_cmp_neq_f64_e32 vcc_lo, 0, v[22:23]
	v_cmp_neq_f64_e64 s3, 0, v[24:25]
                                        ; implicit-def: $vgpr26_vgpr27
                                        ; implicit-def: $vgpr48_vgpr49
	s_or_b32 s3, vcc_lo, s3
	s_delay_alu instid0(SALU_CYCLE_1) | instskip(NEXT) | instid1(SALU_CYCLE_1)
	s_and_saveexec_b32 s35, s3
	s_xor_b32 s3, exec_lo, s35
	s_cbranch_execz .LBB62_49
; %bb.48:                               ;   in Loop: Header=BB62_5 Depth=1
	v_div_scale_f64 v[26:27], null, v[22:23], v[22:23], v[24:25]
	v_div_scale_f64 v[50:51], vcc_lo, v[24:25], v[22:23], v[24:25]
	s_delay_alu instid0(VALU_DEP_2) | instskip(SKIP_1) | instid1(TRANS32_DEP_1)
	v_rcp_f64_e32 v[28:29], v[26:27]
	v_nop
	v_fma_f64 v[48:49], -v[26:27], v[28:29], 1.0
	s_delay_alu instid0(VALU_DEP_1) | instskip(NEXT) | instid1(VALU_DEP_1)
	v_fmac_f64_e32 v[28:29], v[28:29], v[48:49]
	v_fma_f64 v[48:49], -v[26:27], v[28:29], 1.0
	s_delay_alu instid0(VALU_DEP_1) | instskip(NEXT) | instid1(VALU_DEP_1)
	v_fmac_f64_e32 v[28:29], v[28:29], v[48:49]
	v_mul_f64_e32 v[48:49], v[50:51], v[28:29]
	s_delay_alu instid0(VALU_DEP_1) | instskip(NEXT) | instid1(VALU_DEP_1)
	v_fma_f64 v[26:27], -v[26:27], v[48:49], v[50:51]
	v_div_fmas_f64 v[26:27], v[26:27], v[28:29], v[48:49]
	s_delay_alu instid0(VALU_DEP_1) | instskip(NEXT) | instid1(VALU_DEP_1)
	v_div_fixup_f64 v[26:27], v[26:27], v[22:23], v[24:25]
	v_fma_f64 v[28:29], v[24:25], v[26:27], v[22:23]
	s_delay_alu instid0(VALU_DEP_1) | instskip(SKIP_1) | instid1(VALU_DEP_2)
	v_div_scale_f64 v[48:49], null, v[28:29], v[28:29], 1.0
	v_div_scale_f64 v[54:55], vcc_lo, 1.0, v[28:29], 1.0
	v_rcp_f64_e32 v[50:51], v[48:49]
	v_nop
	s_delay_alu instid0(TRANS32_DEP_1) | instskip(NEXT) | instid1(VALU_DEP_1)
	v_fma_f64 v[52:53], -v[48:49], v[50:51], 1.0
	v_fmac_f64_e32 v[50:51], v[50:51], v[52:53]
	s_delay_alu instid0(VALU_DEP_1) | instskip(NEXT) | instid1(VALU_DEP_1)
	v_fma_f64 v[52:53], -v[48:49], v[50:51], 1.0
	v_fmac_f64_e32 v[50:51], v[50:51], v[52:53]
	s_delay_alu instid0(VALU_DEP_1) | instskip(NEXT) | instid1(VALU_DEP_1)
	v_mul_f64_e32 v[52:53], v[54:55], v[50:51]
	v_fma_f64 v[48:49], -v[48:49], v[52:53], v[54:55]
	s_delay_alu instid0(VALU_DEP_1) | instskip(SKIP_2) | instid1(VALU_DEP_3)
	v_div_fmas_f64 v[48:49], v[48:49], v[50:51], v[52:53]
	v_fma_f64 v[50:51], s[10:11], v[26:27], s[8:9]
	v_fma_f64 v[26:27], -s[8:9], v[26:27], s[10:11]
	v_div_fixup_f64 v[28:29], v[48:49], v[28:29], 1.0
	s_delay_alu instid0(VALU_DEP_1) | instskip(NEXT) | instid1(VALU_DEP_3)
	v_mul_f64_e32 v[48:49], v[50:51], v[28:29]
	v_mul_f64_e32 v[26:27], v[26:27], v[28:29]
.LBB62_49:                              ;   in Loop: Header=BB62_5 Depth=1
	s_and_not1_saveexec_b32 s35, s3
	s_cbranch_execz .LBB62_51
; %bb.50:                               ;   in Loop: Header=BB62_5 Depth=1
	v_div_scale_f64 v[26:27], null, v[44:45], v[44:45], s[8:9]
	v_div_scale_f64 v[28:29], null, v[46:47], v[46:47], s[10:11]
	v_div_scale_f64 v[56:57], vcc_lo, s[8:9], v[44:45], s[8:9]
	s_delay_alu instid0(VALU_DEP_3) | instskip(NEXT) | instid1(VALU_DEP_2)
	v_rcp_f64_e32 v[48:49], v[26:27]
	v_rcp_f64_e32 v[50:51], v[28:29]
	s_delay_alu instid0(TRANS32_DEP_2) | instskip(NEXT) | instid1(TRANS32_DEP_1)
	v_fma_f64 v[52:53], -v[26:27], v[48:49], 1.0
	v_fma_f64 v[54:55], -v[28:29], v[50:51], 1.0
	s_delay_alu instid0(VALU_DEP_2) | instskip(NEXT) | instid1(VALU_DEP_2)
	v_fmac_f64_e32 v[48:49], v[48:49], v[52:53]
	v_fmac_f64_e32 v[50:51], v[50:51], v[54:55]
	s_delay_alu instid0(VALU_DEP_2) | instskip(NEXT) | instid1(VALU_DEP_2)
	v_fma_f64 v[52:53], -v[26:27], v[48:49], 1.0
	v_fma_f64 v[54:55], -v[28:29], v[50:51], 1.0
	s_delay_alu instid0(VALU_DEP_2) | instskip(SKIP_1) | instid1(VALU_DEP_3)
	v_fmac_f64_e32 v[48:49], v[48:49], v[52:53]
	v_div_scale_f64 v[52:53], s3, s[10:11], v[46:47], s[10:11]
	v_fmac_f64_e32 v[50:51], v[50:51], v[54:55]
	s_delay_alu instid0(VALU_DEP_3) | instskip(NEXT) | instid1(VALU_DEP_2)
	v_mul_f64_e32 v[54:55], v[56:57], v[48:49]
	v_mul_f64_e32 v[58:59], v[52:53], v[50:51]
	s_delay_alu instid0(VALU_DEP_2) | instskip(NEXT) | instid1(VALU_DEP_2)
	v_fma_f64 v[26:27], -v[26:27], v[54:55], v[56:57]
	v_fma_f64 v[28:29], -v[28:29], v[58:59], v[52:53]
	s_delay_alu instid0(VALU_DEP_2) | instskip(SKIP_1) | instid1(VALU_DEP_2)
	v_div_fmas_f64 v[26:27], v[26:27], v[48:49], v[54:55]
	s_mov_b32 vcc_lo, s3
	v_div_fmas_f64 v[28:29], v[28:29], v[50:51], v[58:59]
	s_delay_alu instid0(VALU_DEP_2) | instskip(NEXT) | instid1(VALU_DEP_2)
	v_div_fixup_f64 v[48:49], v[26:27], v[44:45], s[8:9]
	v_div_fixup_f64 v[26:27], v[28:29], v[46:47], s[10:11]
.LBB62_51:                              ;   in Loop: Header=BB62_5 Depth=1
	s_or_b32 exec_lo, exec_lo, s35
.LBB62_52:                              ;   in Loop: Header=BB62_5 Depth=1
	s_and_not1_saveexec_b32 s3, s34
	s_cbranch_execz .LBB62_54
; %bb.53:                               ;   in Loop: Header=BB62_5 Depth=1
	v_div_scale_f64 v[26:27], null, v[24:25], v[24:25], v[22:23]
	v_div_scale_f64 v[50:51], vcc_lo, v[22:23], v[24:25], v[22:23]
	s_delay_alu instid0(VALU_DEP_2) | instskip(SKIP_1) | instid1(TRANS32_DEP_1)
	v_rcp_f64_e32 v[28:29], v[26:27]
	v_nop
	v_fma_f64 v[48:49], -v[26:27], v[28:29], 1.0
	s_delay_alu instid0(VALU_DEP_1) | instskip(NEXT) | instid1(VALU_DEP_1)
	v_fmac_f64_e32 v[28:29], v[28:29], v[48:49]
	v_fma_f64 v[48:49], -v[26:27], v[28:29], 1.0
	s_delay_alu instid0(VALU_DEP_1) | instskip(NEXT) | instid1(VALU_DEP_1)
	v_fmac_f64_e32 v[28:29], v[28:29], v[48:49]
	v_mul_f64_e32 v[48:49], v[50:51], v[28:29]
	s_delay_alu instid0(VALU_DEP_1) | instskip(NEXT) | instid1(VALU_DEP_1)
	v_fma_f64 v[26:27], -v[26:27], v[48:49], v[50:51]
	v_div_fmas_f64 v[26:27], v[26:27], v[28:29], v[48:49]
	s_delay_alu instid0(VALU_DEP_1) | instskip(NEXT) | instid1(VALU_DEP_1)
	v_div_fixup_f64 v[26:27], v[26:27], v[24:25], v[22:23]
	v_fma_f64 v[28:29], v[22:23], v[26:27], v[24:25]
	s_delay_alu instid0(VALU_DEP_1) | instskip(SKIP_1) | instid1(VALU_DEP_2)
	v_div_scale_f64 v[48:49], null, v[28:29], v[28:29], 1.0
	v_div_scale_f64 v[54:55], vcc_lo, 1.0, v[28:29], 1.0
	v_rcp_f64_e32 v[50:51], v[48:49]
	v_nop
	s_delay_alu instid0(TRANS32_DEP_1) | instskip(NEXT) | instid1(VALU_DEP_1)
	v_fma_f64 v[52:53], -v[48:49], v[50:51], 1.0
	v_fmac_f64_e32 v[50:51], v[50:51], v[52:53]
	s_delay_alu instid0(VALU_DEP_1) | instskip(NEXT) | instid1(VALU_DEP_1)
	v_fma_f64 v[52:53], -v[48:49], v[50:51], 1.0
	v_fmac_f64_e32 v[50:51], v[50:51], v[52:53]
	s_delay_alu instid0(VALU_DEP_1) | instskip(NEXT) | instid1(VALU_DEP_1)
	v_mul_f64_e32 v[52:53], v[54:55], v[50:51]
	v_fma_f64 v[48:49], -v[48:49], v[52:53], v[54:55]
	s_delay_alu instid0(VALU_DEP_1) | instskip(SKIP_2) | instid1(VALU_DEP_3)
	v_div_fmas_f64 v[48:49], v[48:49], v[50:51], v[52:53]
	v_fma_f64 v[50:51], s[8:9], v[26:27], s[10:11]
	v_fma_f64 v[26:27], s[10:11], v[26:27], -s[8:9]
	v_div_fixup_f64 v[28:29], v[48:49], v[28:29], 1.0
	s_delay_alu instid0(VALU_DEP_1) | instskip(NEXT) | instid1(VALU_DEP_3)
	v_mul_f64_e32 v[48:49], v[50:51], v[28:29]
	v_mul_f64_e32 v[26:27], v[26:27], v[28:29]
.LBB62_54:                              ;   in Loop: Header=BB62_5 Depth=1
	s_or_b32 exec_lo, exec_lo, s3
	s_delay_alu instid0(VALU_DEP_1) | instskip(SKIP_2) | instid1(VALU_DEP_2)
	v_mul_f64_e32 v[28:29], s[6:7], v[26:27]
	v_mul_f64_e32 v[26:27], s[4:5], v[26:27]
	s_mov_b32 s3, 0
	v_fma_f64 v[28:29], s[4:5], v[48:49], -v[28:29]
	s_delay_alu instid0(VALU_DEP_2)
	v_fmac_f64_e32 v[26:27], s[6:7], v[48:49]
.LBB62_55:                              ;   in Loop: Header=BB62_5 Depth=1
	s_and_b32 vcc_lo, exec_lo, s3
	s_cbranch_vccz .LBB62_65
; %bb.56:                               ;   in Loop: Header=BB62_5 Depth=1
                                        ; implicit-def: $vgpr26_vgpr27
                                        ; implicit-def: $vgpr28_vgpr29
	s_and_saveexec_b32 s3, s2
	s_delay_alu instid0(SALU_CYCLE_1)
	s_xor_b32 s3, exec_lo, s3
	s_cbranch_execz .LBB62_62
; %bb.57:                               ;   in Loop: Header=BB62_5 Depth=1
	v_cmp_neq_f64_e32 vcc_lo, 0, v[22:23]
	v_cmp_neq_f64_e64 s2, 0, v[24:25]
                                        ; implicit-def: $vgpr26_vgpr27
                                        ; implicit-def: $vgpr28_vgpr29
	s_or_b32 s2, vcc_lo, s2
	s_delay_alu instid0(SALU_CYCLE_1) | instskip(NEXT) | instid1(SALU_CYCLE_1)
	s_and_saveexec_b32 s34, s2
	s_xor_b32 s2, exec_lo, s34
	s_cbranch_execz .LBB62_59
; %bb.58:                               ;   in Loop: Header=BB62_5 Depth=1
	v_div_scale_f64 v[26:27], null, v[22:23], v[22:23], v[24:25]
	v_div_scale_f64 v[46:47], vcc_lo, v[24:25], v[22:23], v[24:25]
	s_delay_alu instid0(VALU_DEP_2) | instskip(SKIP_1) | instid1(TRANS32_DEP_1)
	v_rcp_f64_e32 v[28:29], v[26:27]
	v_nop
	v_fma_f64 v[44:45], -v[26:27], v[28:29], 1.0
	s_delay_alu instid0(VALU_DEP_1) | instskip(NEXT) | instid1(VALU_DEP_1)
	v_fmac_f64_e32 v[28:29], v[28:29], v[44:45]
	v_fma_f64 v[44:45], -v[26:27], v[28:29], 1.0
	s_delay_alu instid0(VALU_DEP_1) | instskip(NEXT) | instid1(VALU_DEP_1)
	v_fmac_f64_e32 v[28:29], v[28:29], v[44:45]
	v_mul_f64_e32 v[44:45], v[46:47], v[28:29]
	s_delay_alu instid0(VALU_DEP_1) | instskip(NEXT) | instid1(VALU_DEP_1)
	v_fma_f64 v[26:27], -v[26:27], v[44:45], v[46:47]
	v_div_fmas_f64 v[26:27], v[26:27], v[28:29], v[44:45]
	s_delay_alu instid0(VALU_DEP_1) | instskip(NEXT) | instid1(VALU_DEP_1)
	v_div_fixup_f64 v[26:27], v[26:27], v[22:23], v[24:25]
	v_fmac_f64_e32 v[22:23], v[24:25], v[26:27]
	s_delay_alu instid0(VALU_DEP_1) | instskip(SKIP_1) | instid1(VALU_DEP_2)
	v_div_scale_f64 v[24:25], null, v[22:23], v[22:23], 1.0
	v_div_scale_f64 v[46:47], vcc_lo, 1.0, v[22:23], 1.0
	v_rcp_f64_e32 v[28:29], v[24:25]
	v_nop
	s_delay_alu instid0(TRANS32_DEP_1) | instskip(NEXT) | instid1(VALU_DEP_1)
	v_fma_f64 v[44:45], -v[24:25], v[28:29], 1.0
	v_fmac_f64_e32 v[28:29], v[28:29], v[44:45]
	s_delay_alu instid0(VALU_DEP_1) | instskip(NEXT) | instid1(VALU_DEP_1)
	v_fma_f64 v[44:45], -v[24:25], v[28:29], 1.0
	v_fmac_f64_e32 v[28:29], v[28:29], v[44:45]
	s_delay_alu instid0(VALU_DEP_1) | instskip(NEXT) | instid1(VALU_DEP_1)
	v_mul_f64_e32 v[44:45], v[46:47], v[28:29]
	v_fma_f64 v[24:25], -v[24:25], v[44:45], v[46:47]
                                        ; implicit-def: $vgpr46_vgpr47
	s_delay_alu instid0(VALU_DEP_1) | instskip(SKIP_1) | instid1(VALU_DEP_2)
	v_div_fmas_f64 v[24:25], v[24:25], v[28:29], v[44:45]
	v_fma_f64 v[28:29], s[10:11], v[26:27], s[8:9]
                                        ; implicit-def: $vgpr44_vgpr45
	v_div_fixup_f64 v[22:23], v[24:25], v[22:23], 1.0
	v_fma_f64 v[24:25], -s[8:9], v[26:27], s[10:11]
	s_delay_alu instid0(VALU_DEP_2) | instskip(NEXT) | instid1(VALU_DEP_2)
	v_mul_f64_e32 v[28:29], v[28:29], v[22:23]
	v_mul_f64_e32 v[26:27], v[24:25], v[22:23]
.LBB62_59:                              ;   in Loop: Header=BB62_5 Depth=1
	s_and_not1_saveexec_b32 s34, s2
	s_cbranch_execz .LBB62_61
; %bb.60:                               ;   in Loop: Header=BB62_5 Depth=1
	v_div_scale_f64 v[22:23], null, v[44:45], v[44:45], s[8:9]
	v_div_scale_f64 v[24:25], null, v[46:47], v[46:47], s[10:11]
	v_div_scale_f64 v[52:53], vcc_lo, s[8:9], v[44:45], s[8:9]
	s_delay_alu instid0(VALU_DEP_3) | instskip(NEXT) | instid1(VALU_DEP_2)
	v_rcp_f64_e32 v[26:27], v[22:23]
	v_rcp_f64_e32 v[28:29], v[24:25]
	s_delay_alu instid0(TRANS32_DEP_2) | instskip(NEXT) | instid1(TRANS32_DEP_1)
	v_fma_f64 v[48:49], -v[22:23], v[26:27], 1.0
	v_fma_f64 v[50:51], -v[24:25], v[28:29], 1.0
	s_delay_alu instid0(VALU_DEP_2) | instskip(NEXT) | instid1(VALU_DEP_2)
	v_fmac_f64_e32 v[26:27], v[26:27], v[48:49]
	v_fmac_f64_e32 v[28:29], v[28:29], v[50:51]
	s_delay_alu instid0(VALU_DEP_2) | instskip(NEXT) | instid1(VALU_DEP_2)
	v_fma_f64 v[48:49], -v[22:23], v[26:27], 1.0
	v_fma_f64 v[50:51], -v[24:25], v[28:29], 1.0
	s_delay_alu instid0(VALU_DEP_2) | instskip(SKIP_1) | instid1(VALU_DEP_3)
	v_fmac_f64_e32 v[26:27], v[26:27], v[48:49]
	v_div_scale_f64 v[48:49], s2, s[10:11], v[46:47], s[10:11]
	v_fmac_f64_e32 v[28:29], v[28:29], v[50:51]
	s_delay_alu instid0(VALU_DEP_3) | instskip(NEXT) | instid1(VALU_DEP_2)
	v_mul_f64_e32 v[50:51], v[52:53], v[26:27]
	v_mul_f64_e32 v[54:55], v[48:49], v[28:29]
	s_delay_alu instid0(VALU_DEP_2) | instskip(NEXT) | instid1(VALU_DEP_2)
	v_fma_f64 v[22:23], -v[22:23], v[50:51], v[52:53]
	v_fma_f64 v[24:25], -v[24:25], v[54:55], v[48:49]
	s_delay_alu instid0(VALU_DEP_2) | instskip(SKIP_1) | instid1(VALU_DEP_2)
	v_div_fmas_f64 v[22:23], v[22:23], v[26:27], v[50:51]
	s_mov_b32 vcc_lo, s2
	v_div_fmas_f64 v[24:25], v[24:25], v[28:29], v[54:55]
	s_delay_alu instid0(VALU_DEP_2) | instskip(NEXT) | instid1(VALU_DEP_2)
	v_div_fixup_f64 v[28:29], v[22:23], v[44:45], s[8:9]
	v_div_fixup_f64 v[26:27], v[24:25], v[46:47], s[10:11]
.LBB62_61:                              ;   in Loop: Header=BB62_5 Depth=1
	s_or_b32 exec_lo, exec_lo, s34
                                        ; implicit-def: $vgpr24_vgpr25
.LBB62_62:                              ;   in Loop: Header=BB62_5 Depth=1
	s_and_not1_saveexec_b32 s2, s3
	s_cbranch_execz .LBB62_64
; %bb.63:                               ;   in Loop: Header=BB62_5 Depth=1
	v_div_scale_f64 v[26:27], null, v[24:25], v[24:25], v[22:23]
	v_div_scale_f64 v[46:47], vcc_lo, v[22:23], v[24:25], v[22:23]
	s_delay_alu instid0(VALU_DEP_2) | instskip(SKIP_1) | instid1(TRANS32_DEP_1)
	v_rcp_f64_e32 v[28:29], v[26:27]
	v_nop
	v_fma_f64 v[44:45], -v[26:27], v[28:29], 1.0
	s_delay_alu instid0(VALU_DEP_1) | instskip(NEXT) | instid1(VALU_DEP_1)
	v_fmac_f64_e32 v[28:29], v[28:29], v[44:45]
	v_fma_f64 v[44:45], -v[26:27], v[28:29], 1.0
	s_delay_alu instid0(VALU_DEP_1) | instskip(NEXT) | instid1(VALU_DEP_1)
	v_fmac_f64_e32 v[28:29], v[28:29], v[44:45]
	v_mul_f64_e32 v[44:45], v[46:47], v[28:29]
	s_delay_alu instid0(VALU_DEP_1) | instskip(NEXT) | instid1(VALU_DEP_1)
	v_fma_f64 v[26:27], -v[26:27], v[44:45], v[46:47]
	v_div_fmas_f64 v[26:27], v[26:27], v[28:29], v[44:45]
	s_delay_alu instid0(VALU_DEP_1) | instskip(NEXT) | instid1(VALU_DEP_1)
	v_div_fixup_f64 v[26:27], v[26:27], v[24:25], v[22:23]
	v_fmac_f64_e32 v[24:25], v[22:23], v[26:27]
	s_delay_alu instid0(VALU_DEP_1) | instskip(SKIP_1) | instid1(VALU_DEP_2)
	v_div_scale_f64 v[22:23], null, v[24:25], v[24:25], 1.0
	v_div_scale_f64 v[46:47], vcc_lo, 1.0, v[24:25], 1.0
	v_rcp_f64_e32 v[28:29], v[22:23]
	v_nop
	s_delay_alu instid0(TRANS32_DEP_1) | instskip(NEXT) | instid1(VALU_DEP_1)
	v_fma_f64 v[44:45], -v[22:23], v[28:29], 1.0
	v_fmac_f64_e32 v[28:29], v[28:29], v[44:45]
	s_delay_alu instid0(VALU_DEP_1) | instskip(NEXT) | instid1(VALU_DEP_1)
	v_fma_f64 v[44:45], -v[22:23], v[28:29], 1.0
	v_fmac_f64_e32 v[28:29], v[28:29], v[44:45]
	s_delay_alu instid0(VALU_DEP_1) | instskip(NEXT) | instid1(VALU_DEP_1)
	v_mul_f64_e32 v[44:45], v[46:47], v[28:29]
	v_fma_f64 v[22:23], -v[22:23], v[44:45], v[46:47]
	s_delay_alu instid0(VALU_DEP_1) | instskip(SKIP_1) | instid1(VALU_DEP_2)
	v_div_fmas_f64 v[22:23], v[22:23], v[28:29], v[44:45]
	v_fma_f64 v[28:29], s[8:9], v[26:27], s[10:11]
	v_div_fixup_f64 v[22:23], v[22:23], v[24:25], 1.0
	v_fma_f64 v[24:25], s[10:11], v[26:27], -s[8:9]
	s_delay_alu instid0(VALU_DEP_2) | instskip(NEXT) | instid1(VALU_DEP_2)
	v_mul_f64_e32 v[28:29], v[28:29], v[22:23]
	v_mul_f64_e32 v[26:27], v[24:25], v[22:23]
.LBB62_64:                              ;   in Loop: Header=BB62_5 Depth=1
	s_or_b32 exec_lo, exec_lo, s2
.LBB62_65:                              ;   in Loop: Header=BB62_5 Depth=1
	v_cmp_gt_f64_e32 vcc_lo, 0, v[18:19]
	v_xor_b32_e32 v1, 0x80000000, v19
	v_mov_b32_e32 v22, v18
	v_xor_b32_e32 v24, 0x80000000, v21
	s_mov_b32 s3, -1
                                        ; implicit-def: $vgpr44_vgpr45
                                        ; implicit-def: $vgpr46_vgpr47
	s_delay_alu instid0(VALU_DEP_3) | instskip(SKIP_1) | instid1(VALU_DEP_3)
	v_cndmask_b32_e32 v23, v19, v1, vcc_lo
	v_cmp_gt_f64_e32 vcc_lo, 0, v[20:21]
	v_dual_cndmask_b32 v25, v21, v24 :: v_dual_mov_b32 v24, v20
	s_and_not1_b32 vcc_lo, exec_lo, s33
	s_delay_alu instid0(VALU_DEP_1)
	v_cmp_ge_f64_e64 s2, v[22:23], v[24:25]
	s_cbranch_vccnz .LBB62_75
; %bb.66:                               ;   in Loop: Header=BB62_5 Depth=1
                                        ; implicit-def: $vgpr44_vgpr45
                                        ; implicit-def: $vgpr48_vgpr49
	s_and_saveexec_b32 s3, s2
	s_delay_alu instid0(SALU_CYCLE_1)
	s_xor_b32 s34, exec_lo, s3
	s_cbranch_execz .LBB62_72
; %bb.67:                               ;   in Loop: Header=BB62_5 Depth=1
	v_cmp_neq_f64_e32 vcc_lo, 0, v[18:19]
	v_cmp_neq_f64_e64 s3, 0, v[20:21]
                                        ; implicit-def: $vgpr44_vgpr45
                                        ; implicit-def: $vgpr48_vgpr49
	s_or_b32 s3, vcc_lo, s3
	s_delay_alu instid0(SALU_CYCLE_1) | instskip(NEXT) | instid1(SALU_CYCLE_1)
	s_and_saveexec_b32 s35, s3
	s_xor_b32 s3, exec_lo, s35
	s_cbranch_execz .LBB62_69
; %bb.68:                               ;   in Loop: Header=BB62_5 Depth=1
	v_div_scale_f64 v[44:45], null, v[18:19], v[18:19], v[20:21]
	v_div_scale_f64 v[50:51], vcc_lo, v[20:21], v[18:19], v[20:21]
	s_delay_alu instid0(VALU_DEP_2) | instskip(SKIP_1) | instid1(TRANS32_DEP_1)
	v_rcp_f64_e32 v[46:47], v[44:45]
	v_nop
	v_fma_f64 v[48:49], -v[44:45], v[46:47], 1.0
	s_delay_alu instid0(VALU_DEP_1) | instskip(NEXT) | instid1(VALU_DEP_1)
	v_fmac_f64_e32 v[46:47], v[46:47], v[48:49]
	v_fma_f64 v[48:49], -v[44:45], v[46:47], 1.0
	s_delay_alu instid0(VALU_DEP_1) | instskip(NEXT) | instid1(VALU_DEP_1)
	v_fmac_f64_e32 v[46:47], v[46:47], v[48:49]
	v_mul_f64_e32 v[48:49], v[50:51], v[46:47]
	s_delay_alu instid0(VALU_DEP_1) | instskip(NEXT) | instid1(VALU_DEP_1)
	v_fma_f64 v[44:45], -v[44:45], v[48:49], v[50:51]
	v_div_fmas_f64 v[44:45], v[44:45], v[46:47], v[48:49]
	s_delay_alu instid0(VALU_DEP_1) | instskip(NEXT) | instid1(VALU_DEP_1)
	v_div_fixup_f64 v[44:45], v[44:45], v[18:19], v[20:21]
	v_fma_f64 v[46:47], v[20:21], v[44:45], v[18:19]
	s_delay_alu instid0(VALU_DEP_1) | instskip(SKIP_1) | instid1(VALU_DEP_2)
	v_div_scale_f64 v[48:49], null, v[46:47], v[46:47], 1.0
	v_div_scale_f64 v[54:55], vcc_lo, 1.0, v[46:47], 1.0
	v_rcp_f64_e32 v[50:51], v[48:49]
	v_nop
	s_delay_alu instid0(TRANS32_DEP_1) | instskip(NEXT) | instid1(VALU_DEP_1)
	v_fma_f64 v[52:53], -v[48:49], v[50:51], 1.0
	v_fmac_f64_e32 v[50:51], v[50:51], v[52:53]
	s_delay_alu instid0(VALU_DEP_1) | instskip(NEXT) | instid1(VALU_DEP_1)
	v_fma_f64 v[52:53], -v[48:49], v[50:51], 1.0
	v_fmac_f64_e32 v[50:51], v[50:51], v[52:53]
	s_delay_alu instid0(VALU_DEP_1) | instskip(NEXT) | instid1(VALU_DEP_1)
	v_mul_f64_e32 v[52:53], v[54:55], v[50:51]
	v_fma_f64 v[48:49], -v[48:49], v[52:53], v[54:55]
	s_delay_alu instid0(VALU_DEP_1) | instskip(SKIP_2) | instid1(VALU_DEP_3)
	v_div_fmas_f64 v[48:49], v[48:49], v[50:51], v[52:53]
	v_fma_f64 v[50:51], s[10:11], v[44:45], s[8:9]
	v_fma_f64 v[44:45], -s[8:9], v[44:45], s[10:11]
	v_div_fixup_f64 v[46:47], v[48:49], v[46:47], 1.0
	s_delay_alu instid0(VALU_DEP_1) | instskip(NEXT) | instid1(VALU_DEP_3)
	v_mul_f64_e32 v[48:49], v[50:51], v[46:47]
	v_mul_f64_e32 v[44:45], v[44:45], v[46:47]
.LBB62_69:                              ;   in Loop: Header=BB62_5 Depth=1
	s_and_not1_saveexec_b32 s35, s3
	s_cbranch_execz .LBB62_71
; %bb.70:                               ;   in Loop: Header=BB62_5 Depth=1
	v_div_scale_f64 v[44:45], null, v[22:23], v[22:23], s[8:9]
	v_div_scale_f64 v[46:47], null, v[24:25], v[24:25], s[10:11]
	v_div_scale_f64 v[56:57], vcc_lo, s[8:9], v[22:23], s[8:9]
	s_delay_alu instid0(VALU_DEP_3) | instskip(NEXT) | instid1(VALU_DEP_2)
	v_rcp_f64_e32 v[48:49], v[44:45]
	v_rcp_f64_e32 v[50:51], v[46:47]
	s_delay_alu instid0(TRANS32_DEP_2) | instskip(NEXT) | instid1(TRANS32_DEP_1)
	v_fma_f64 v[52:53], -v[44:45], v[48:49], 1.0
	v_fma_f64 v[54:55], -v[46:47], v[50:51], 1.0
	s_delay_alu instid0(VALU_DEP_2) | instskip(NEXT) | instid1(VALU_DEP_2)
	v_fmac_f64_e32 v[48:49], v[48:49], v[52:53]
	v_fmac_f64_e32 v[50:51], v[50:51], v[54:55]
	s_delay_alu instid0(VALU_DEP_2) | instskip(NEXT) | instid1(VALU_DEP_2)
	v_fma_f64 v[52:53], -v[44:45], v[48:49], 1.0
	v_fma_f64 v[54:55], -v[46:47], v[50:51], 1.0
	s_delay_alu instid0(VALU_DEP_2) | instskip(SKIP_1) | instid1(VALU_DEP_3)
	v_fmac_f64_e32 v[48:49], v[48:49], v[52:53]
	v_div_scale_f64 v[52:53], s3, s[10:11], v[24:25], s[10:11]
	v_fmac_f64_e32 v[50:51], v[50:51], v[54:55]
	s_delay_alu instid0(VALU_DEP_3) | instskip(NEXT) | instid1(VALU_DEP_2)
	v_mul_f64_e32 v[54:55], v[56:57], v[48:49]
	v_mul_f64_e32 v[58:59], v[52:53], v[50:51]
	s_delay_alu instid0(VALU_DEP_2) | instskip(NEXT) | instid1(VALU_DEP_2)
	v_fma_f64 v[44:45], -v[44:45], v[54:55], v[56:57]
	v_fma_f64 v[46:47], -v[46:47], v[58:59], v[52:53]
	s_delay_alu instid0(VALU_DEP_2) | instskip(SKIP_1) | instid1(VALU_DEP_2)
	v_div_fmas_f64 v[44:45], v[44:45], v[48:49], v[54:55]
	s_mov_b32 vcc_lo, s3
	v_div_fmas_f64 v[46:47], v[46:47], v[50:51], v[58:59]
	s_delay_alu instid0(VALU_DEP_2) | instskip(NEXT) | instid1(VALU_DEP_2)
	v_div_fixup_f64 v[48:49], v[44:45], v[22:23], s[8:9]
	v_div_fixup_f64 v[44:45], v[46:47], v[24:25], s[10:11]
.LBB62_71:                              ;   in Loop: Header=BB62_5 Depth=1
	s_or_b32 exec_lo, exec_lo, s35
.LBB62_72:                              ;   in Loop: Header=BB62_5 Depth=1
	s_and_not1_saveexec_b32 s3, s34
	s_cbranch_execz .LBB62_74
; %bb.73:                               ;   in Loop: Header=BB62_5 Depth=1
	v_div_scale_f64 v[44:45], null, v[20:21], v[20:21], v[18:19]
	v_div_scale_f64 v[50:51], vcc_lo, v[18:19], v[20:21], v[18:19]
	s_delay_alu instid0(VALU_DEP_2) | instskip(SKIP_1) | instid1(TRANS32_DEP_1)
	v_rcp_f64_e32 v[46:47], v[44:45]
	v_nop
	v_fma_f64 v[48:49], -v[44:45], v[46:47], 1.0
	s_delay_alu instid0(VALU_DEP_1) | instskip(NEXT) | instid1(VALU_DEP_1)
	v_fmac_f64_e32 v[46:47], v[46:47], v[48:49]
	v_fma_f64 v[48:49], -v[44:45], v[46:47], 1.0
	s_delay_alu instid0(VALU_DEP_1) | instskip(NEXT) | instid1(VALU_DEP_1)
	v_fmac_f64_e32 v[46:47], v[46:47], v[48:49]
	v_mul_f64_e32 v[48:49], v[50:51], v[46:47]
	s_delay_alu instid0(VALU_DEP_1) | instskip(NEXT) | instid1(VALU_DEP_1)
	v_fma_f64 v[44:45], -v[44:45], v[48:49], v[50:51]
	v_div_fmas_f64 v[44:45], v[44:45], v[46:47], v[48:49]
	s_delay_alu instid0(VALU_DEP_1) | instskip(NEXT) | instid1(VALU_DEP_1)
	v_div_fixup_f64 v[44:45], v[44:45], v[20:21], v[18:19]
	v_fma_f64 v[46:47], v[18:19], v[44:45], v[20:21]
	s_delay_alu instid0(VALU_DEP_1) | instskip(SKIP_1) | instid1(VALU_DEP_2)
	v_div_scale_f64 v[48:49], null, v[46:47], v[46:47], 1.0
	v_div_scale_f64 v[54:55], vcc_lo, 1.0, v[46:47], 1.0
	v_rcp_f64_e32 v[50:51], v[48:49]
	v_nop
	s_delay_alu instid0(TRANS32_DEP_1) | instskip(NEXT) | instid1(VALU_DEP_1)
	v_fma_f64 v[52:53], -v[48:49], v[50:51], 1.0
	v_fmac_f64_e32 v[50:51], v[50:51], v[52:53]
	s_delay_alu instid0(VALU_DEP_1) | instskip(NEXT) | instid1(VALU_DEP_1)
	v_fma_f64 v[52:53], -v[48:49], v[50:51], 1.0
	v_fmac_f64_e32 v[50:51], v[50:51], v[52:53]
	s_delay_alu instid0(VALU_DEP_1) | instskip(NEXT) | instid1(VALU_DEP_1)
	v_mul_f64_e32 v[52:53], v[54:55], v[50:51]
	v_fma_f64 v[48:49], -v[48:49], v[52:53], v[54:55]
	s_delay_alu instid0(VALU_DEP_1) | instskip(SKIP_2) | instid1(VALU_DEP_3)
	v_div_fmas_f64 v[48:49], v[48:49], v[50:51], v[52:53]
	v_fma_f64 v[50:51], s[8:9], v[44:45], s[10:11]
	v_fma_f64 v[44:45], s[10:11], v[44:45], -s[8:9]
	v_div_fixup_f64 v[46:47], v[48:49], v[46:47], 1.0
	s_delay_alu instid0(VALU_DEP_1) | instskip(NEXT) | instid1(VALU_DEP_3)
	v_mul_f64_e32 v[48:49], v[50:51], v[46:47]
	v_mul_f64_e32 v[44:45], v[44:45], v[46:47]
.LBB62_74:                              ;   in Loop: Header=BB62_5 Depth=1
	s_or_b32 exec_lo, exec_lo, s3
	s_delay_alu instid0(VALU_DEP_1) | instskip(SKIP_2) | instid1(VALU_DEP_2)
	v_mul_f64_e32 v[46:47], s[6:7], v[44:45]
	v_mul_f64_e32 v[44:45], s[4:5], v[44:45]
	s_mov_b32 s3, 0
	v_fma_f64 v[46:47], s[4:5], v[48:49], -v[46:47]
	s_delay_alu instid0(VALU_DEP_2)
	v_fmac_f64_e32 v[44:45], s[6:7], v[48:49]
.LBB62_75:                              ;   in Loop: Header=BB62_5 Depth=1
	s_and_b32 vcc_lo, exec_lo, s3
	s_cbranch_vccz .LBB62_4
; %bb.76:                               ;   in Loop: Header=BB62_5 Depth=1
                                        ; implicit-def: $vgpr44_vgpr45
                                        ; implicit-def: $vgpr46_vgpr47
	s_and_saveexec_b32 s3, s2
	s_delay_alu instid0(SALU_CYCLE_1)
	s_xor_b32 s3, exec_lo, s3
	s_cbranch_execz .LBB62_82
; %bb.77:                               ;   in Loop: Header=BB62_5 Depth=1
	v_cmp_neq_f64_e32 vcc_lo, 0, v[18:19]
	v_cmp_neq_f64_e64 s2, 0, v[20:21]
                                        ; implicit-def: $vgpr44_vgpr45
                                        ; implicit-def: $vgpr46_vgpr47
	s_or_b32 s2, vcc_lo, s2
	s_delay_alu instid0(SALU_CYCLE_1) | instskip(NEXT) | instid1(SALU_CYCLE_1)
	s_and_saveexec_b32 s34, s2
	s_xor_b32 s2, exec_lo, s34
	s_cbranch_execz .LBB62_79
; %bb.78:                               ;   in Loop: Header=BB62_5 Depth=1
	v_div_scale_f64 v[22:23], null, v[18:19], v[18:19], v[20:21]
	v_div_scale_f64 v[46:47], vcc_lo, v[20:21], v[18:19], v[20:21]
	s_delay_alu instid0(VALU_DEP_2) | instskip(SKIP_1) | instid1(TRANS32_DEP_1)
	v_rcp_f64_e32 v[24:25], v[22:23]
	v_nop
	v_fma_f64 v[44:45], -v[22:23], v[24:25], 1.0
	s_delay_alu instid0(VALU_DEP_1) | instskip(NEXT) | instid1(VALU_DEP_1)
	v_fmac_f64_e32 v[24:25], v[24:25], v[44:45]
	v_fma_f64 v[44:45], -v[22:23], v[24:25], 1.0
	s_delay_alu instid0(VALU_DEP_1) | instskip(NEXT) | instid1(VALU_DEP_1)
	v_fmac_f64_e32 v[24:25], v[24:25], v[44:45]
	v_mul_f64_e32 v[44:45], v[46:47], v[24:25]
	s_delay_alu instid0(VALU_DEP_1) | instskip(NEXT) | instid1(VALU_DEP_1)
	v_fma_f64 v[22:23], -v[22:23], v[44:45], v[46:47]
	v_div_fmas_f64 v[22:23], v[22:23], v[24:25], v[44:45]
	s_delay_alu instid0(VALU_DEP_1) | instskip(NEXT) | instid1(VALU_DEP_1)
	v_div_fixup_f64 v[22:23], v[22:23], v[18:19], v[20:21]
	v_fmac_f64_e32 v[18:19], v[20:21], v[22:23]
	s_delay_alu instid0(VALU_DEP_1) | instskip(SKIP_1) | instid1(VALU_DEP_2)
	v_div_scale_f64 v[20:21], null, v[18:19], v[18:19], 1.0
	v_div_scale_f64 v[46:47], vcc_lo, 1.0, v[18:19], 1.0
	v_rcp_f64_e32 v[24:25], v[20:21]
	v_nop
	s_delay_alu instid0(TRANS32_DEP_1) | instskip(NEXT) | instid1(VALU_DEP_1)
	v_fma_f64 v[44:45], -v[20:21], v[24:25], 1.0
	v_fmac_f64_e32 v[24:25], v[24:25], v[44:45]
	s_delay_alu instid0(VALU_DEP_1) | instskip(NEXT) | instid1(VALU_DEP_1)
	v_fma_f64 v[44:45], -v[20:21], v[24:25], 1.0
	v_fmac_f64_e32 v[24:25], v[24:25], v[44:45]
	s_delay_alu instid0(VALU_DEP_1) | instskip(NEXT) | instid1(VALU_DEP_1)
	v_mul_f64_e32 v[44:45], v[46:47], v[24:25]
	v_fma_f64 v[20:21], -v[20:21], v[44:45], v[46:47]
	s_delay_alu instid0(VALU_DEP_1) | instskip(SKIP_1) | instid1(VALU_DEP_2)
	v_div_fmas_f64 v[20:21], v[20:21], v[24:25], v[44:45]
	v_fma_f64 v[24:25], s[10:11], v[22:23], s[8:9]
	v_div_fixup_f64 v[18:19], v[20:21], v[18:19], 1.0
	v_fma_f64 v[20:21], -s[8:9], v[22:23], s[10:11]
                                        ; implicit-def: $vgpr22_vgpr23
	s_delay_alu instid0(VALU_DEP_2) | instskip(NEXT) | instid1(VALU_DEP_2)
	v_mul_f64_e32 v[46:47], v[24:25], v[18:19]
	v_mul_f64_e32 v[44:45], v[20:21], v[18:19]
                                        ; implicit-def: $vgpr24_vgpr25
.LBB62_79:                              ;   in Loop: Header=BB62_5 Depth=1
	s_and_not1_saveexec_b32 s34, s2
	s_cbranch_execz .LBB62_81
; %bb.80:                               ;   in Loop: Header=BB62_5 Depth=1
	v_div_scale_f64 v[18:19], null, v[22:23], v[22:23], s[8:9]
	v_div_scale_f64 v[20:21], null, v[24:25], v[24:25], s[10:11]
	v_div_scale_f64 v[52:53], vcc_lo, s[8:9], v[22:23], s[8:9]
	s_delay_alu instid0(VALU_DEP_3) | instskip(NEXT) | instid1(VALU_DEP_2)
	v_rcp_f64_e32 v[44:45], v[18:19]
	v_rcp_f64_e32 v[46:47], v[20:21]
	s_delay_alu instid0(TRANS32_DEP_2) | instskip(NEXT) | instid1(TRANS32_DEP_1)
	v_fma_f64 v[48:49], -v[18:19], v[44:45], 1.0
	v_fma_f64 v[50:51], -v[20:21], v[46:47], 1.0
	s_delay_alu instid0(VALU_DEP_2) | instskip(NEXT) | instid1(VALU_DEP_2)
	v_fmac_f64_e32 v[44:45], v[44:45], v[48:49]
	v_fmac_f64_e32 v[46:47], v[46:47], v[50:51]
	s_delay_alu instid0(VALU_DEP_2) | instskip(NEXT) | instid1(VALU_DEP_2)
	v_fma_f64 v[48:49], -v[18:19], v[44:45], 1.0
	v_fma_f64 v[50:51], -v[20:21], v[46:47], 1.0
	s_delay_alu instid0(VALU_DEP_2) | instskip(SKIP_1) | instid1(VALU_DEP_3)
	v_fmac_f64_e32 v[44:45], v[44:45], v[48:49]
	v_div_scale_f64 v[48:49], s2, s[10:11], v[24:25], s[10:11]
	v_fmac_f64_e32 v[46:47], v[46:47], v[50:51]
	s_delay_alu instid0(VALU_DEP_3) | instskip(NEXT) | instid1(VALU_DEP_2)
	v_mul_f64_e32 v[50:51], v[52:53], v[44:45]
	v_mul_f64_e32 v[54:55], v[48:49], v[46:47]
	s_delay_alu instid0(VALU_DEP_2) | instskip(NEXT) | instid1(VALU_DEP_2)
	v_fma_f64 v[18:19], -v[18:19], v[50:51], v[52:53]
	v_fma_f64 v[20:21], -v[20:21], v[54:55], v[48:49]
	s_delay_alu instid0(VALU_DEP_2) | instskip(SKIP_1) | instid1(VALU_DEP_2)
	v_div_fmas_f64 v[18:19], v[18:19], v[44:45], v[50:51]
	s_mov_b32 vcc_lo, s2
	v_div_fmas_f64 v[20:21], v[20:21], v[46:47], v[54:55]
	s_delay_alu instid0(VALU_DEP_2) | instskip(NEXT) | instid1(VALU_DEP_2)
	v_div_fixup_f64 v[46:47], v[18:19], v[22:23], s[8:9]
	v_div_fixup_f64 v[44:45], v[20:21], v[24:25], s[10:11]
.LBB62_81:                              ;   in Loop: Header=BB62_5 Depth=1
	s_or_b32 exec_lo, exec_lo, s34
                                        ; implicit-def: $vgpr20_vgpr21
.LBB62_82:                              ;   in Loop: Header=BB62_5 Depth=1
	s_and_not1_saveexec_b32 s2, s3
	s_cbranch_execz .LBB62_3
; %bb.83:                               ;   in Loop: Header=BB62_5 Depth=1
	v_div_scale_f64 v[22:23], null, v[20:21], v[20:21], v[18:19]
	v_div_scale_f64 v[46:47], vcc_lo, v[18:19], v[20:21], v[18:19]
	s_delay_alu instid0(VALU_DEP_2) | instskip(SKIP_1) | instid1(TRANS32_DEP_1)
	v_rcp_f64_e32 v[24:25], v[22:23]
	v_nop
	v_fma_f64 v[44:45], -v[22:23], v[24:25], 1.0
	s_delay_alu instid0(VALU_DEP_1) | instskip(NEXT) | instid1(VALU_DEP_1)
	v_fmac_f64_e32 v[24:25], v[24:25], v[44:45]
	v_fma_f64 v[44:45], -v[22:23], v[24:25], 1.0
	s_delay_alu instid0(VALU_DEP_1) | instskip(NEXT) | instid1(VALU_DEP_1)
	v_fmac_f64_e32 v[24:25], v[24:25], v[44:45]
	v_mul_f64_e32 v[44:45], v[46:47], v[24:25]
	s_delay_alu instid0(VALU_DEP_1) | instskip(NEXT) | instid1(VALU_DEP_1)
	v_fma_f64 v[22:23], -v[22:23], v[44:45], v[46:47]
	v_div_fmas_f64 v[22:23], v[22:23], v[24:25], v[44:45]
	s_delay_alu instid0(VALU_DEP_1) | instskip(NEXT) | instid1(VALU_DEP_1)
	v_div_fixup_f64 v[22:23], v[22:23], v[20:21], v[18:19]
	v_fmac_f64_e32 v[20:21], v[18:19], v[22:23]
	s_delay_alu instid0(VALU_DEP_1) | instskip(SKIP_1) | instid1(VALU_DEP_2)
	v_div_scale_f64 v[18:19], null, v[20:21], v[20:21], 1.0
	v_div_scale_f64 v[46:47], vcc_lo, 1.0, v[20:21], 1.0
	v_rcp_f64_e32 v[24:25], v[18:19]
	v_nop
	s_delay_alu instid0(TRANS32_DEP_1) | instskip(NEXT) | instid1(VALU_DEP_1)
	v_fma_f64 v[44:45], -v[18:19], v[24:25], 1.0
	v_fmac_f64_e32 v[24:25], v[24:25], v[44:45]
	s_delay_alu instid0(VALU_DEP_1) | instskip(NEXT) | instid1(VALU_DEP_1)
	v_fma_f64 v[44:45], -v[18:19], v[24:25], 1.0
	v_fmac_f64_e32 v[24:25], v[24:25], v[44:45]
	s_delay_alu instid0(VALU_DEP_1) | instskip(NEXT) | instid1(VALU_DEP_1)
	v_mul_f64_e32 v[44:45], v[46:47], v[24:25]
	v_fma_f64 v[18:19], -v[18:19], v[44:45], v[46:47]
	s_delay_alu instid0(VALU_DEP_1) | instskip(SKIP_1) | instid1(VALU_DEP_2)
	v_div_fmas_f64 v[18:19], v[18:19], v[24:25], v[44:45]
	v_fma_f64 v[24:25], s[8:9], v[22:23], s[10:11]
	v_div_fixup_f64 v[18:19], v[18:19], v[20:21], 1.0
	v_fma_f64 v[20:21], s[10:11], v[22:23], -s[8:9]
	s_delay_alu instid0(VALU_DEP_2) | instskip(NEXT) | instid1(VALU_DEP_2)
	v_mul_f64_e32 v[46:47], v[24:25], v[18:19]
	v_mul_f64_e32 v[44:45], v[20:21], v[18:19]
	s_branch .LBB62_3
.LBB62_84:
	s_or_b32 exec_lo, exec_lo, s30
	s_mov_b32 s2, 0
.LBB62_85:
	s_delay_alu instid0(SALU_CYCLE_1)
	s_and_not1_b32 vcc_lo, exec_lo, s2
	s_cbranch_vccnz .LBB62_185
; %bb.86:
	v_cmp_lt_i64_e64 s2, s[18:19], 1
	s_and_b32 vcc_lo, exec_lo, s2
	s_cbranch_vccnz .LBB62_185
; %bb.87:
	s_wait_kmcnt 0x0
	v_cmp_neq_f64_e64 s25, s[4:5], 1.0
	v_cmp_neq_f64_e64 s26, s[6:7], 0
	v_min_i64 v[34:35], 0x10000, s[18:19]
	v_min_u64 v[36:37], 0x10000, s[18:19]
	s_load_b32 s0, s[0:1], 0xc0c
	v_mov_b32_e32 v1, 0
	s_mov_b32 s3, 0
	s_mov_b64 s[18:19], 0
	s_mov_b32 s21, s3
	s_mov_b32 s23, s3
	s_wait_kmcnt 0x0
	s_and_b32 s2, s0, 0xffff
	s_delay_alu instid0(SALU_CYCLE_1)
	s_lshl_b32 s20, s2, 1
	s_mul_i32 s22, s2, 3
	s_lshl_b32 s24, s2, 2
	s_or_b32 s26, s25, s26
	s_mov_b32 s25, s3
	s_branch .LBB62_89
.LBB62_88:                              ;   in Loop: Header=BB62_89 Depth=1
	s_wait_xcnt 0x0
	s_or_b32 exec_lo, exec_lo, s0
	s_add_nc_u64 s[18:19], s[18:19], s[24:25]
	s_delay_alu instid0(SALU_CYCLE_1)
	v_cmp_ge_i64_e32 vcc_lo, s[18:19], v[34:35]
	s_cbranch_vccnz .LBB62_185
.LBB62_89:                              ; =>This Inner Loop Header: Depth=1
	v_add_nc_u64_e32 v[38:39], s[18:19], v[0:1]
	v_mov_b64_e32 v[28:29], 0
	v_mov_b64_e32 v[32:33], 0
	;; [unrolled: 1-line block ×5, first 2 shown]
	s_mov_b32 s0, exec_lo
	v_cmpx_lt_i64_e64 v[38:39], v[34:35]
	s_cbranch_execz .LBB62_91
; %bb.90:                               ;   in Loop: Header=BB62_89 Depth=1
	v_lshlrev_b64_e32 v[2:3], 4, v[38:39]
	s_delay_alu instid0(VALU_DEP_1)
	v_add_nc_u64_e32 v[6:7], s[16:17], v[2:3]
	v_add_nc_u64_e32 v[8:9], s[12:13], v[2:3]
	global_load_b128 v[2:5], v[6:7], off
	global_load_b128 v[30:33], v[8:9], off
.LBB62_91:                              ;   in Loop: Header=BB62_89 Depth=1
	s_wait_xcnt 0x0
	s_or_b32 exec_lo, exec_lo, s0
	v_add_nc_u64_e32 v[40:41], s[2:3], v[38:39]
	v_mov_b64_e32 v[26:27], 0
	v_mov_b64_e32 v[8:9], 0
	;; [unrolled: 1-line block ×3, first 2 shown]
	s_mov_b32 s0, exec_lo
	s_delay_alu instid0(VALU_DEP_4)
	v_cmpx_lt_i64_e64 v[40:41], v[34:35]
	s_cbranch_execz .LBB62_93
; %bb.92:                               ;   in Loop: Header=BB62_89 Depth=1
	v_lshlrev_b64_e32 v[6:7], 4, v[40:41]
	s_delay_alu instid0(VALU_DEP_1)
	v_add_nc_u64_e32 v[10:11], s[16:17], v[6:7]
	v_add_nc_u64_e32 v[12:13], s[12:13], v[6:7]
	global_load_b128 v[6:9], v[10:11], off
	global_load_b128 v[26:29], v[12:13], off
.LBB62_93:                              ;   in Loop: Header=BB62_89 Depth=1
	s_wait_xcnt 0x0
	s_or_b32 exec_lo, exec_lo, s0
	v_add_nc_u64_e32 v[42:43], s[20:21], v[38:39]
	v_mov_b64_e32 v[20:21], 0
	v_mov_b64_e32 v[24:25], 0
	v_mov_b64_e32 v[22:23], 0
	v_mov_b64_e32 v[12:13], 0
	v_mov_b64_e32 v[10:11], 0
	s_mov_b32 s0, exec_lo
	v_cmpx_lt_i64_e64 v[42:43], v[34:35]
	s_cbranch_execz .LBB62_95
; %bb.94:                               ;   in Loop: Header=BB62_89 Depth=1
	v_lshlrev_b64_e32 v[10:11], 4, v[42:43]
	s_delay_alu instid0(VALU_DEP_1)
	v_add_nc_u64_e32 v[14:15], s[16:17], v[10:11]
	v_add_nc_u64_e32 v[16:17], s[12:13], v[10:11]
	global_load_b128 v[10:13], v[14:15], off
	global_load_b128 v[22:25], v[16:17], off
.LBB62_95:                              ;   in Loop: Header=BB62_89 Depth=1
	s_wait_xcnt 0x0
	s_or_b32 exec_lo, exec_lo, s0
	v_add_nc_u64_e32 v[44:45], s[22:23], v[38:39]
	v_mov_b64_e32 v[18:19], 0
	v_mov_b64_e32 v[16:17], 0
	;; [unrolled: 1-line block ×3, first 2 shown]
	s_mov_b32 s0, exec_lo
	s_delay_alu instid0(VALU_DEP_4)
	v_cmpx_lt_i64_e64 v[44:45], v[34:35]
	s_cbranch_execz .LBB62_97
; %bb.96:                               ;   in Loop: Header=BB62_89 Depth=1
	v_lshlrev_b64_e32 v[14:15], 4, v[44:45]
	s_delay_alu instid0(VALU_DEP_1)
	v_add_nc_u64_e32 v[46:47], s[16:17], v[14:15]
	v_add_nc_u64_e32 v[48:49], s[12:13], v[14:15]
	global_load_b128 v[14:17], v[46:47], off
	global_load_b128 v[18:21], v[48:49], off
.LBB62_97:                              ;   in Loop: Header=BB62_89 Depth=1
	s_wait_xcnt 0x0
	s_or_b32 exec_lo, exec_lo, s0
	s_wait_loadcnt 0x0
	v_cmp_gt_f64_e32 vcc_lo, 0, v[30:31]
	v_xor_b32_e32 v46, 0x80000000, v31
	v_mov_b32_e32 v50, v30
	v_xor_b32_e32 v47, 0x80000000, v33
	s_mov_b32 s1, -1
                                        ; implicit-def: $vgpr48_vgpr49
	s_delay_alu instid0(VALU_DEP_3) | instskip(SKIP_1) | instid1(VALU_DEP_3)
	v_dual_mov_b32 v52, v32 :: v_dual_cndmask_b32 v51, v31, v46
	v_cmp_gt_f64_e32 vcc_lo, 0, v[32:33]
	v_cndmask_b32_e32 v53, v33, v47, vcc_lo
	s_and_b32 vcc_lo, exec_lo, s26
                                        ; implicit-def: $vgpr46_vgpr47
	s_delay_alu instid0(VALU_DEP_1)
	v_cmp_ge_f64_e64 s0, v[50:51], v[52:53]
	s_cbranch_vccz .LBB62_107
; %bb.98:                               ;   in Loop: Header=BB62_89 Depth=1
                                        ; implicit-def: $vgpr46_vgpr47
                                        ; implicit-def: $vgpr54_vgpr55
	s_and_saveexec_b32 s1, s0
	s_delay_alu instid0(SALU_CYCLE_1)
	s_xor_b32 s27, exec_lo, s1
	s_cbranch_execz .LBB62_104
; %bb.99:                               ;   in Loop: Header=BB62_89 Depth=1
	v_cmp_neq_f64_e32 vcc_lo, 0, v[30:31]
	v_cmp_neq_f64_e64 s1, 0, v[32:33]
                                        ; implicit-def: $vgpr46_vgpr47
                                        ; implicit-def: $vgpr54_vgpr55
	s_or_b32 s1, s1, vcc_lo
	s_delay_alu instid0(SALU_CYCLE_1) | instskip(NEXT) | instid1(SALU_CYCLE_1)
	s_and_saveexec_b32 s28, s1
	s_xor_b32 s1, exec_lo, s28
	s_cbranch_execz .LBB62_101
; %bb.100:                              ;   in Loop: Header=BB62_89 Depth=1
	v_div_scale_f64 v[46:47], null, v[30:31], v[30:31], v[32:33]
	v_div_scale_f64 v[56:57], vcc_lo, v[32:33], v[30:31], v[32:33]
	s_delay_alu instid0(VALU_DEP_2) | instskip(SKIP_1) | instid1(TRANS32_DEP_1)
	v_rcp_f64_e32 v[48:49], v[46:47]
	v_nop
	v_fma_f64 v[54:55], -v[46:47], v[48:49], 1.0
	s_delay_alu instid0(VALU_DEP_1) | instskip(NEXT) | instid1(VALU_DEP_1)
	v_fmac_f64_e32 v[48:49], v[48:49], v[54:55]
	v_fma_f64 v[54:55], -v[46:47], v[48:49], 1.0
	s_delay_alu instid0(VALU_DEP_1) | instskip(NEXT) | instid1(VALU_DEP_1)
	v_fmac_f64_e32 v[48:49], v[48:49], v[54:55]
	v_mul_f64_e32 v[54:55], v[56:57], v[48:49]
	s_delay_alu instid0(VALU_DEP_1) | instskip(NEXT) | instid1(VALU_DEP_1)
	v_fma_f64 v[46:47], -v[46:47], v[54:55], v[56:57]
	v_div_fmas_f64 v[46:47], v[46:47], v[48:49], v[54:55]
	s_delay_alu instid0(VALU_DEP_1) | instskip(NEXT) | instid1(VALU_DEP_1)
	v_div_fixup_f64 v[46:47], v[46:47], v[30:31], v[32:33]
	v_fma_f64 v[48:49], v[32:33], v[46:47], v[30:31]
	s_delay_alu instid0(VALU_DEP_1) | instskip(SKIP_1) | instid1(VALU_DEP_2)
	v_div_scale_f64 v[54:55], null, v[48:49], v[48:49], 1.0
	v_div_scale_f64 v[60:61], vcc_lo, 1.0, v[48:49], 1.0
	v_rcp_f64_e32 v[56:57], v[54:55]
	v_nop
	s_delay_alu instid0(TRANS32_DEP_1) | instskip(NEXT) | instid1(VALU_DEP_1)
	v_fma_f64 v[58:59], -v[54:55], v[56:57], 1.0
	v_fmac_f64_e32 v[56:57], v[56:57], v[58:59]
	s_delay_alu instid0(VALU_DEP_1) | instskip(NEXT) | instid1(VALU_DEP_1)
	v_fma_f64 v[58:59], -v[54:55], v[56:57], 1.0
	v_fmac_f64_e32 v[56:57], v[56:57], v[58:59]
	s_delay_alu instid0(VALU_DEP_1) | instskip(NEXT) | instid1(VALU_DEP_1)
	v_mul_f64_e32 v[58:59], v[60:61], v[56:57]
	v_fma_f64 v[54:55], -v[54:55], v[58:59], v[60:61]
	s_delay_alu instid0(VALU_DEP_1) | instskip(SKIP_2) | instid1(VALU_DEP_3)
	v_div_fmas_f64 v[54:55], v[54:55], v[56:57], v[58:59]
	v_fma_f64 v[56:57], s[10:11], v[46:47], s[8:9]
	v_fma_f64 v[46:47], -s[8:9], v[46:47], s[10:11]
	v_div_fixup_f64 v[48:49], v[54:55], v[48:49], 1.0
	s_delay_alu instid0(VALU_DEP_1) | instskip(NEXT) | instid1(VALU_DEP_3)
	v_mul_f64_e32 v[54:55], v[56:57], v[48:49]
	v_mul_f64_e32 v[46:47], v[46:47], v[48:49]
.LBB62_101:                             ;   in Loop: Header=BB62_89 Depth=1
	s_and_not1_saveexec_b32 s28, s1
	s_cbranch_execz .LBB62_103
; %bb.102:                              ;   in Loop: Header=BB62_89 Depth=1
	v_div_scale_f64 v[46:47], null, v[50:51], v[50:51], s[8:9]
	v_div_scale_f64 v[48:49], null, v[52:53], v[52:53], s[10:11]
	v_div_scale_f64 v[62:63], vcc_lo, s[8:9], v[50:51], s[8:9]
	s_delay_alu instid0(VALU_DEP_3) | instskip(NEXT) | instid1(VALU_DEP_2)
	v_rcp_f64_e32 v[54:55], v[46:47]
	v_rcp_f64_e32 v[56:57], v[48:49]
	s_delay_alu instid0(TRANS32_DEP_2) | instskip(NEXT) | instid1(TRANS32_DEP_1)
	v_fma_f64 v[58:59], -v[46:47], v[54:55], 1.0
	v_fma_f64 v[60:61], -v[48:49], v[56:57], 1.0
	s_delay_alu instid0(VALU_DEP_2) | instskip(NEXT) | instid1(VALU_DEP_2)
	v_fmac_f64_e32 v[54:55], v[54:55], v[58:59]
	v_fmac_f64_e32 v[56:57], v[56:57], v[60:61]
	s_delay_alu instid0(VALU_DEP_2) | instskip(NEXT) | instid1(VALU_DEP_2)
	v_fma_f64 v[58:59], -v[46:47], v[54:55], 1.0
	v_fma_f64 v[60:61], -v[48:49], v[56:57], 1.0
	s_delay_alu instid0(VALU_DEP_2) | instskip(SKIP_1) | instid1(VALU_DEP_3)
	v_fmac_f64_e32 v[54:55], v[54:55], v[58:59]
	v_div_scale_f64 v[58:59], s1, s[10:11], v[52:53], s[10:11]
	v_fmac_f64_e32 v[56:57], v[56:57], v[60:61]
	s_delay_alu instid0(VALU_DEP_3) | instskip(NEXT) | instid1(VALU_DEP_2)
	v_mul_f64_e32 v[60:61], v[62:63], v[54:55]
	v_mul_f64_e32 v[64:65], v[58:59], v[56:57]
	s_delay_alu instid0(VALU_DEP_2) | instskip(NEXT) | instid1(VALU_DEP_2)
	v_fma_f64 v[46:47], -v[46:47], v[60:61], v[62:63]
	v_fma_f64 v[48:49], -v[48:49], v[64:65], v[58:59]
	s_delay_alu instid0(VALU_DEP_2) | instskip(SKIP_1) | instid1(VALU_DEP_2)
	v_div_fmas_f64 v[46:47], v[46:47], v[54:55], v[60:61]
	s_mov_b32 vcc_lo, s1
	v_div_fmas_f64 v[48:49], v[48:49], v[56:57], v[64:65]
	s_delay_alu instid0(VALU_DEP_2) | instskip(NEXT) | instid1(VALU_DEP_2)
	v_div_fixup_f64 v[54:55], v[46:47], v[50:51], s[8:9]
	v_div_fixup_f64 v[46:47], v[48:49], v[52:53], s[10:11]
.LBB62_103:                             ;   in Loop: Header=BB62_89 Depth=1
	s_or_b32 exec_lo, exec_lo, s28
.LBB62_104:                             ;   in Loop: Header=BB62_89 Depth=1
	s_and_not1_saveexec_b32 s1, s27
	s_cbranch_execz .LBB62_106
; %bb.105:                              ;   in Loop: Header=BB62_89 Depth=1
	v_div_scale_f64 v[46:47], null, v[32:33], v[32:33], v[30:31]
	v_div_scale_f64 v[56:57], vcc_lo, v[30:31], v[32:33], v[30:31]
	s_delay_alu instid0(VALU_DEP_2) | instskip(SKIP_1) | instid1(TRANS32_DEP_1)
	v_rcp_f64_e32 v[48:49], v[46:47]
	v_nop
	v_fma_f64 v[54:55], -v[46:47], v[48:49], 1.0
	s_delay_alu instid0(VALU_DEP_1) | instskip(NEXT) | instid1(VALU_DEP_1)
	v_fmac_f64_e32 v[48:49], v[48:49], v[54:55]
	v_fma_f64 v[54:55], -v[46:47], v[48:49], 1.0
	s_delay_alu instid0(VALU_DEP_1) | instskip(NEXT) | instid1(VALU_DEP_1)
	v_fmac_f64_e32 v[48:49], v[48:49], v[54:55]
	v_mul_f64_e32 v[54:55], v[56:57], v[48:49]
	s_delay_alu instid0(VALU_DEP_1) | instskip(NEXT) | instid1(VALU_DEP_1)
	v_fma_f64 v[46:47], -v[46:47], v[54:55], v[56:57]
	v_div_fmas_f64 v[46:47], v[46:47], v[48:49], v[54:55]
	s_delay_alu instid0(VALU_DEP_1) | instskip(NEXT) | instid1(VALU_DEP_1)
	v_div_fixup_f64 v[46:47], v[46:47], v[32:33], v[30:31]
	v_fma_f64 v[48:49], v[30:31], v[46:47], v[32:33]
	s_delay_alu instid0(VALU_DEP_1) | instskip(SKIP_1) | instid1(VALU_DEP_2)
	v_div_scale_f64 v[54:55], null, v[48:49], v[48:49], 1.0
	v_div_scale_f64 v[60:61], vcc_lo, 1.0, v[48:49], 1.0
	v_rcp_f64_e32 v[56:57], v[54:55]
	v_nop
	s_delay_alu instid0(TRANS32_DEP_1) | instskip(NEXT) | instid1(VALU_DEP_1)
	v_fma_f64 v[58:59], -v[54:55], v[56:57], 1.0
	v_fmac_f64_e32 v[56:57], v[56:57], v[58:59]
	s_delay_alu instid0(VALU_DEP_1) | instskip(NEXT) | instid1(VALU_DEP_1)
	v_fma_f64 v[58:59], -v[54:55], v[56:57], 1.0
	v_fmac_f64_e32 v[56:57], v[56:57], v[58:59]
	s_delay_alu instid0(VALU_DEP_1) | instskip(NEXT) | instid1(VALU_DEP_1)
	v_mul_f64_e32 v[58:59], v[60:61], v[56:57]
	v_fma_f64 v[54:55], -v[54:55], v[58:59], v[60:61]
	s_delay_alu instid0(VALU_DEP_1) | instskip(SKIP_2) | instid1(VALU_DEP_3)
	v_div_fmas_f64 v[54:55], v[54:55], v[56:57], v[58:59]
	v_fma_f64 v[56:57], s[8:9], v[46:47], s[10:11]
	v_fma_f64 v[46:47], s[10:11], v[46:47], -s[8:9]
	v_div_fixup_f64 v[48:49], v[54:55], v[48:49], 1.0
	s_delay_alu instid0(VALU_DEP_1) | instskip(NEXT) | instid1(VALU_DEP_3)
	v_mul_f64_e32 v[54:55], v[56:57], v[48:49]
	v_mul_f64_e32 v[46:47], v[46:47], v[48:49]
.LBB62_106:                             ;   in Loop: Header=BB62_89 Depth=1
	s_or_b32 exec_lo, exec_lo, s1
	s_delay_alu instid0(VALU_DEP_1) | instskip(SKIP_2) | instid1(VALU_DEP_2)
	v_mul_f64_e32 v[48:49], s[6:7], v[46:47]
	v_mul_f64_e32 v[46:47], s[4:5], v[46:47]
	s_mov_b32 s1, 0
	v_fma_f64 v[48:49], s[4:5], v[54:55], -v[48:49]
	s_delay_alu instid0(VALU_DEP_2)
	v_fmac_f64_e32 v[46:47], s[6:7], v[54:55]
.LBB62_107:                             ;   in Loop: Header=BB62_89 Depth=1
	s_and_b32 vcc_lo, exec_lo, s1
	s_cbranch_vccz .LBB62_117
; %bb.108:                              ;   in Loop: Header=BB62_89 Depth=1
                                        ; implicit-def: $vgpr46_vgpr47
                                        ; implicit-def: $vgpr48_vgpr49
	s_and_saveexec_b32 s1, s0
	s_delay_alu instid0(SALU_CYCLE_1)
	s_xor_b32 s1, exec_lo, s1
	s_cbranch_execz .LBB62_114
; %bb.109:                              ;   in Loop: Header=BB62_89 Depth=1
	v_cmp_neq_f64_e32 vcc_lo, 0, v[30:31]
	v_cmp_neq_f64_e64 s0, 0, v[32:33]
                                        ; implicit-def: $vgpr46_vgpr47
                                        ; implicit-def: $vgpr48_vgpr49
	s_or_b32 s0, s0, vcc_lo
	s_delay_alu instid0(SALU_CYCLE_1) | instskip(NEXT) | instid1(SALU_CYCLE_1)
	s_and_saveexec_b32 s27, s0
	s_xor_b32 s0, exec_lo, s27
	s_cbranch_execz .LBB62_111
; %bb.110:                              ;   in Loop: Header=BB62_89 Depth=1
	v_div_scale_f64 v[46:47], null, v[30:31], v[30:31], v[32:33]
	v_div_scale_f64 v[52:53], vcc_lo, v[32:33], v[30:31], v[32:33]
	s_delay_alu instid0(VALU_DEP_2) | instskip(SKIP_1) | instid1(TRANS32_DEP_1)
	v_rcp_f64_e32 v[48:49], v[46:47]
	v_nop
	v_fma_f64 v[50:51], -v[46:47], v[48:49], 1.0
	s_delay_alu instid0(VALU_DEP_1) | instskip(NEXT) | instid1(VALU_DEP_1)
	v_fmac_f64_e32 v[48:49], v[48:49], v[50:51]
	v_fma_f64 v[50:51], -v[46:47], v[48:49], 1.0
	s_delay_alu instid0(VALU_DEP_1) | instskip(NEXT) | instid1(VALU_DEP_1)
	v_fmac_f64_e32 v[48:49], v[48:49], v[50:51]
	v_mul_f64_e32 v[50:51], v[52:53], v[48:49]
	s_delay_alu instid0(VALU_DEP_1) | instskip(NEXT) | instid1(VALU_DEP_1)
	v_fma_f64 v[46:47], -v[46:47], v[50:51], v[52:53]
	v_div_fmas_f64 v[46:47], v[46:47], v[48:49], v[50:51]
	s_delay_alu instid0(VALU_DEP_1) | instskip(NEXT) | instid1(VALU_DEP_1)
	v_div_fixup_f64 v[46:47], v[46:47], v[30:31], v[32:33]
	v_fmac_f64_e32 v[30:31], v[32:33], v[46:47]
	s_delay_alu instid0(VALU_DEP_1) | instskip(SKIP_1) | instid1(VALU_DEP_2)
	v_div_scale_f64 v[32:33], null, v[30:31], v[30:31], 1.0
	v_div_scale_f64 v[52:53], vcc_lo, 1.0, v[30:31], 1.0
	v_rcp_f64_e32 v[48:49], v[32:33]
	v_nop
	s_delay_alu instid0(TRANS32_DEP_1) | instskip(NEXT) | instid1(VALU_DEP_1)
	v_fma_f64 v[50:51], -v[32:33], v[48:49], 1.0
	v_fmac_f64_e32 v[48:49], v[48:49], v[50:51]
	s_delay_alu instid0(VALU_DEP_1) | instskip(NEXT) | instid1(VALU_DEP_1)
	v_fma_f64 v[50:51], -v[32:33], v[48:49], 1.0
	v_fmac_f64_e32 v[48:49], v[48:49], v[50:51]
	s_delay_alu instid0(VALU_DEP_1) | instskip(NEXT) | instid1(VALU_DEP_1)
	v_mul_f64_e32 v[50:51], v[52:53], v[48:49]
	v_fma_f64 v[32:33], -v[32:33], v[50:51], v[52:53]
                                        ; implicit-def: $vgpr52_vgpr53
	s_delay_alu instid0(VALU_DEP_1) | instskip(SKIP_1) | instid1(VALU_DEP_2)
	v_div_fmas_f64 v[32:33], v[32:33], v[48:49], v[50:51]
	v_fma_f64 v[48:49], s[10:11], v[46:47], s[8:9]
                                        ; implicit-def: $vgpr50_vgpr51
	v_div_fixup_f64 v[30:31], v[32:33], v[30:31], 1.0
	v_fma_f64 v[32:33], -s[8:9], v[46:47], s[10:11]
	s_delay_alu instid0(VALU_DEP_2) | instskip(NEXT) | instid1(VALU_DEP_2)
	v_mul_f64_e32 v[48:49], v[48:49], v[30:31]
	v_mul_f64_e32 v[46:47], v[32:33], v[30:31]
.LBB62_111:                             ;   in Loop: Header=BB62_89 Depth=1
	s_and_not1_saveexec_b32 s27, s0
	s_cbranch_execz .LBB62_113
; %bb.112:                              ;   in Loop: Header=BB62_89 Depth=1
	v_div_scale_f64 v[30:31], null, v[50:51], v[50:51], s[8:9]
	v_div_scale_f64 v[32:33], null, v[52:53], v[52:53], s[10:11]
	v_div_scale_f64 v[58:59], vcc_lo, s[8:9], v[50:51], s[8:9]
	s_delay_alu instid0(VALU_DEP_3) | instskip(NEXT) | instid1(VALU_DEP_2)
	v_rcp_f64_e32 v[46:47], v[30:31]
	v_rcp_f64_e32 v[48:49], v[32:33]
	s_delay_alu instid0(TRANS32_DEP_2) | instskip(NEXT) | instid1(TRANS32_DEP_1)
	v_fma_f64 v[54:55], -v[30:31], v[46:47], 1.0
	v_fma_f64 v[56:57], -v[32:33], v[48:49], 1.0
	s_delay_alu instid0(VALU_DEP_2) | instskip(NEXT) | instid1(VALU_DEP_2)
	v_fmac_f64_e32 v[46:47], v[46:47], v[54:55]
	v_fmac_f64_e32 v[48:49], v[48:49], v[56:57]
	s_delay_alu instid0(VALU_DEP_2) | instskip(NEXT) | instid1(VALU_DEP_2)
	v_fma_f64 v[54:55], -v[30:31], v[46:47], 1.0
	v_fma_f64 v[56:57], -v[32:33], v[48:49], 1.0
	s_delay_alu instid0(VALU_DEP_2) | instskip(SKIP_1) | instid1(VALU_DEP_3)
	v_fmac_f64_e32 v[46:47], v[46:47], v[54:55]
	v_div_scale_f64 v[54:55], s0, s[10:11], v[52:53], s[10:11]
	v_fmac_f64_e32 v[48:49], v[48:49], v[56:57]
	s_delay_alu instid0(VALU_DEP_3) | instskip(NEXT) | instid1(VALU_DEP_2)
	v_mul_f64_e32 v[56:57], v[58:59], v[46:47]
	v_mul_f64_e32 v[60:61], v[54:55], v[48:49]
	s_delay_alu instid0(VALU_DEP_2) | instskip(NEXT) | instid1(VALU_DEP_2)
	v_fma_f64 v[30:31], -v[30:31], v[56:57], v[58:59]
	v_fma_f64 v[32:33], -v[32:33], v[60:61], v[54:55]
	s_delay_alu instid0(VALU_DEP_2) | instskip(SKIP_1) | instid1(VALU_DEP_2)
	v_div_fmas_f64 v[30:31], v[30:31], v[46:47], v[56:57]
	s_mov_b32 vcc_lo, s0
	v_div_fmas_f64 v[32:33], v[32:33], v[48:49], v[60:61]
	s_delay_alu instid0(VALU_DEP_2) | instskip(NEXT) | instid1(VALU_DEP_2)
	v_div_fixup_f64 v[48:49], v[30:31], v[50:51], s[8:9]
	v_div_fixup_f64 v[46:47], v[32:33], v[52:53], s[10:11]
.LBB62_113:                             ;   in Loop: Header=BB62_89 Depth=1
	s_or_b32 exec_lo, exec_lo, s27
                                        ; implicit-def: $vgpr32_vgpr33
.LBB62_114:                             ;   in Loop: Header=BB62_89 Depth=1
	s_and_not1_saveexec_b32 s0, s1
	s_cbranch_execz .LBB62_116
; %bb.115:                              ;   in Loop: Header=BB62_89 Depth=1
	v_div_scale_f64 v[46:47], null, v[32:33], v[32:33], v[30:31]
	v_div_scale_f64 v[52:53], vcc_lo, v[30:31], v[32:33], v[30:31]
	s_delay_alu instid0(VALU_DEP_2) | instskip(SKIP_1) | instid1(TRANS32_DEP_1)
	v_rcp_f64_e32 v[48:49], v[46:47]
	v_nop
	v_fma_f64 v[50:51], -v[46:47], v[48:49], 1.0
	s_delay_alu instid0(VALU_DEP_1) | instskip(NEXT) | instid1(VALU_DEP_1)
	v_fmac_f64_e32 v[48:49], v[48:49], v[50:51]
	v_fma_f64 v[50:51], -v[46:47], v[48:49], 1.0
	s_delay_alu instid0(VALU_DEP_1) | instskip(NEXT) | instid1(VALU_DEP_1)
	v_fmac_f64_e32 v[48:49], v[48:49], v[50:51]
	v_mul_f64_e32 v[50:51], v[52:53], v[48:49]
	s_delay_alu instid0(VALU_DEP_1) | instskip(NEXT) | instid1(VALU_DEP_1)
	v_fma_f64 v[46:47], -v[46:47], v[50:51], v[52:53]
	v_div_fmas_f64 v[46:47], v[46:47], v[48:49], v[50:51]
	s_delay_alu instid0(VALU_DEP_1) | instskip(NEXT) | instid1(VALU_DEP_1)
	v_div_fixup_f64 v[46:47], v[46:47], v[32:33], v[30:31]
	v_fmac_f64_e32 v[32:33], v[30:31], v[46:47]
	s_delay_alu instid0(VALU_DEP_1) | instskip(SKIP_1) | instid1(VALU_DEP_2)
	v_div_scale_f64 v[30:31], null, v[32:33], v[32:33], 1.0
	v_div_scale_f64 v[52:53], vcc_lo, 1.0, v[32:33], 1.0
	v_rcp_f64_e32 v[48:49], v[30:31]
	v_nop
	s_delay_alu instid0(TRANS32_DEP_1) | instskip(NEXT) | instid1(VALU_DEP_1)
	v_fma_f64 v[50:51], -v[30:31], v[48:49], 1.0
	v_fmac_f64_e32 v[48:49], v[48:49], v[50:51]
	s_delay_alu instid0(VALU_DEP_1) | instskip(NEXT) | instid1(VALU_DEP_1)
	v_fma_f64 v[50:51], -v[30:31], v[48:49], 1.0
	v_fmac_f64_e32 v[48:49], v[48:49], v[50:51]
	s_delay_alu instid0(VALU_DEP_1) | instskip(NEXT) | instid1(VALU_DEP_1)
	v_mul_f64_e32 v[50:51], v[52:53], v[48:49]
	v_fma_f64 v[30:31], -v[30:31], v[50:51], v[52:53]
	s_delay_alu instid0(VALU_DEP_1) | instskip(SKIP_1) | instid1(VALU_DEP_2)
	v_div_fmas_f64 v[30:31], v[30:31], v[48:49], v[50:51]
	v_fma_f64 v[48:49], s[8:9], v[46:47], s[10:11]
	v_div_fixup_f64 v[30:31], v[30:31], v[32:33], 1.0
	v_fma_f64 v[32:33], s[10:11], v[46:47], -s[8:9]
	s_delay_alu instid0(VALU_DEP_2) | instskip(NEXT) | instid1(VALU_DEP_2)
	v_mul_f64_e32 v[48:49], v[48:49], v[30:31]
	v_mul_f64_e32 v[46:47], v[32:33], v[30:31]
.LBB62_116:                             ;   in Loop: Header=BB62_89 Depth=1
	s_or_b32 exec_lo, exec_lo, s0
.LBB62_117:                             ;   in Loop: Header=BB62_89 Depth=1
	v_cmp_gt_f64_e32 vcc_lo, 0, v[26:27]
	v_xor_b32_e32 v30, 0x80000000, v27
	v_mov_b32_e32 v50, v26
	v_xor_b32_e32 v31, 0x80000000, v29
	s_mov_b32 s1, -1
                                        ; implicit-def: $vgpr32_vgpr33
	s_delay_alu instid0(VALU_DEP_3) | instskip(SKIP_1) | instid1(VALU_DEP_3)
	v_dual_mov_b32 v52, v28 :: v_dual_cndmask_b32 v51, v27, v30
	v_cmp_gt_f64_e32 vcc_lo, 0, v[28:29]
	v_cndmask_b32_e32 v53, v29, v31, vcc_lo
	s_and_not1_b32 vcc_lo, exec_lo, s26
                                        ; implicit-def: $vgpr30_vgpr31
	s_delay_alu instid0(VALU_DEP_1)
	v_cmp_ge_f64_e64 s0, v[50:51], v[52:53]
	s_cbranch_vccnz .LBB62_127
; %bb.118:                              ;   in Loop: Header=BB62_89 Depth=1
                                        ; implicit-def: $vgpr30_vgpr31
                                        ; implicit-def: $vgpr54_vgpr55
	s_and_saveexec_b32 s1, s0
	s_delay_alu instid0(SALU_CYCLE_1)
	s_xor_b32 s27, exec_lo, s1
	s_cbranch_execz .LBB62_124
; %bb.119:                              ;   in Loop: Header=BB62_89 Depth=1
	v_cmp_neq_f64_e32 vcc_lo, 0, v[26:27]
	v_cmp_neq_f64_e64 s1, 0, v[28:29]
                                        ; implicit-def: $vgpr30_vgpr31
                                        ; implicit-def: $vgpr54_vgpr55
	s_or_b32 s1, s1, vcc_lo
	s_delay_alu instid0(SALU_CYCLE_1) | instskip(NEXT) | instid1(SALU_CYCLE_1)
	s_and_saveexec_b32 s28, s1
	s_xor_b32 s1, exec_lo, s28
	s_cbranch_execz .LBB62_121
; %bb.120:                              ;   in Loop: Header=BB62_89 Depth=1
	v_div_scale_f64 v[30:31], null, v[26:27], v[26:27], v[28:29]
	v_div_scale_f64 v[56:57], vcc_lo, v[28:29], v[26:27], v[28:29]
	s_delay_alu instid0(VALU_DEP_2) | instskip(SKIP_1) | instid1(TRANS32_DEP_1)
	v_rcp_f64_e32 v[32:33], v[30:31]
	v_nop
	v_fma_f64 v[54:55], -v[30:31], v[32:33], 1.0
	s_delay_alu instid0(VALU_DEP_1) | instskip(NEXT) | instid1(VALU_DEP_1)
	v_fmac_f64_e32 v[32:33], v[32:33], v[54:55]
	v_fma_f64 v[54:55], -v[30:31], v[32:33], 1.0
	s_delay_alu instid0(VALU_DEP_1) | instskip(NEXT) | instid1(VALU_DEP_1)
	v_fmac_f64_e32 v[32:33], v[32:33], v[54:55]
	v_mul_f64_e32 v[54:55], v[56:57], v[32:33]
	s_delay_alu instid0(VALU_DEP_1) | instskip(NEXT) | instid1(VALU_DEP_1)
	v_fma_f64 v[30:31], -v[30:31], v[54:55], v[56:57]
	v_div_fmas_f64 v[30:31], v[30:31], v[32:33], v[54:55]
	s_delay_alu instid0(VALU_DEP_1) | instskip(NEXT) | instid1(VALU_DEP_1)
	v_div_fixup_f64 v[30:31], v[30:31], v[26:27], v[28:29]
	v_fma_f64 v[32:33], v[28:29], v[30:31], v[26:27]
	s_delay_alu instid0(VALU_DEP_1) | instskip(SKIP_1) | instid1(VALU_DEP_2)
	v_div_scale_f64 v[54:55], null, v[32:33], v[32:33], 1.0
	v_div_scale_f64 v[60:61], vcc_lo, 1.0, v[32:33], 1.0
	v_rcp_f64_e32 v[56:57], v[54:55]
	v_nop
	s_delay_alu instid0(TRANS32_DEP_1) | instskip(NEXT) | instid1(VALU_DEP_1)
	v_fma_f64 v[58:59], -v[54:55], v[56:57], 1.0
	v_fmac_f64_e32 v[56:57], v[56:57], v[58:59]
	s_delay_alu instid0(VALU_DEP_1) | instskip(NEXT) | instid1(VALU_DEP_1)
	v_fma_f64 v[58:59], -v[54:55], v[56:57], 1.0
	v_fmac_f64_e32 v[56:57], v[56:57], v[58:59]
	s_delay_alu instid0(VALU_DEP_1) | instskip(NEXT) | instid1(VALU_DEP_1)
	v_mul_f64_e32 v[58:59], v[60:61], v[56:57]
	v_fma_f64 v[54:55], -v[54:55], v[58:59], v[60:61]
	s_delay_alu instid0(VALU_DEP_1) | instskip(SKIP_2) | instid1(VALU_DEP_3)
	v_div_fmas_f64 v[54:55], v[54:55], v[56:57], v[58:59]
	v_fma_f64 v[56:57], s[10:11], v[30:31], s[8:9]
	v_fma_f64 v[30:31], -s[8:9], v[30:31], s[10:11]
	v_div_fixup_f64 v[32:33], v[54:55], v[32:33], 1.0
	s_delay_alu instid0(VALU_DEP_1) | instskip(NEXT) | instid1(VALU_DEP_3)
	v_mul_f64_e32 v[54:55], v[56:57], v[32:33]
	v_mul_f64_e32 v[30:31], v[30:31], v[32:33]
.LBB62_121:                             ;   in Loop: Header=BB62_89 Depth=1
	s_and_not1_saveexec_b32 s28, s1
	s_cbranch_execz .LBB62_123
; %bb.122:                              ;   in Loop: Header=BB62_89 Depth=1
	v_div_scale_f64 v[30:31], null, v[50:51], v[50:51], s[8:9]
	v_div_scale_f64 v[32:33], null, v[52:53], v[52:53], s[10:11]
	v_div_scale_f64 v[62:63], vcc_lo, s[8:9], v[50:51], s[8:9]
	s_delay_alu instid0(VALU_DEP_3) | instskip(NEXT) | instid1(VALU_DEP_2)
	v_rcp_f64_e32 v[54:55], v[30:31]
	v_rcp_f64_e32 v[56:57], v[32:33]
	s_delay_alu instid0(TRANS32_DEP_2) | instskip(NEXT) | instid1(TRANS32_DEP_1)
	v_fma_f64 v[58:59], -v[30:31], v[54:55], 1.0
	v_fma_f64 v[60:61], -v[32:33], v[56:57], 1.0
	s_delay_alu instid0(VALU_DEP_2) | instskip(NEXT) | instid1(VALU_DEP_2)
	v_fmac_f64_e32 v[54:55], v[54:55], v[58:59]
	v_fmac_f64_e32 v[56:57], v[56:57], v[60:61]
	s_delay_alu instid0(VALU_DEP_2) | instskip(NEXT) | instid1(VALU_DEP_2)
	v_fma_f64 v[58:59], -v[30:31], v[54:55], 1.0
	v_fma_f64 v[60:61], -v[32:33], v[56:57], 1.0
	s_delay_alu instid0(VALU_DEP_2) | instskip(SKIP_1) | instid1(VALU_DEP_3)
	v_fmac_f64_e32 v[54:55], v[54:55], v[58:59]
	v_div_scale_f64 v[58:59], s1, s[10:11], v[52:53], s[10:11]
	v_fmac_f64_e32 v[56:57], v[56:57], v[60:61]
	s_delay_alu instid0(VALU_DEP_3) | instskip(NEXT) | instid1(VALU_DEP_2)
	v_mul_f64_e32 v[60:61], v[62:63], v[54:55]
	v_mul_f64_e32 v[64:65], v[58:59], v[56:57]
	s_delay_alu instid0(VALU_DEP_2) | instskip(NEXT) | instid1(VALU_DEP_2)
	v_fma_f64 v[30:31], -v[30:31], v[60:61], v[62:63]
	v_fma_f64 v[32:33], -v[32:33], v[64:65], v[58:59]
	s_delay_alu instid0(VALU_DEP_2) | instskip(SKIP_1) | instid1(VALU_DEP_2)
	v_div_fmas_f64 v[30:31], v[30:31], v[54:55], v[60:61]
	s_mov_b32 vcc_lo, s1
	v_div_fmas_f64 v[32:33], v[32:33], v[56:57], v[64:65]
	s_delay_alu instid0(VALU_DEP_2) | instskip(NEXT) | instid1(VALU_DEP_2)
	v_div_fixup_f64 v[54:55], v[30:31], v[50:51], s[8:9]
	v_div_fixup_f64 v[30:31], v[32:33], v[52:53], s[10:11]
.LBB62_123:                             ;   in Loop: Header=BB62_89 Depth=1
	s_or_b32 exec_lo, exec_lo, s28
.LBB62_124:                             ;   in Loop: Header=BB62_89 Depth=1
	s_and_not1_saveexec_b32 s1, s27
	s_cbranch_execz .LBB62_126
; %bb.125:                              ;   in Loop: Header=BB62_89 Depth=1
	v_div_scale_f64 v[30:31], null, v[28:29], v[28:29], v[26:27]
	v_div_scale_f64 v[56:57], vcc_lo, v[26:27], v[28:29], v[26:27]
	s_delay_alu instid0(VALU_DEP_2) | instskip(SKIP_1) | instid1(TRANS32_DEP_1)
	v_rcp_f64_e32 v[32:33], v[30:31]
	v_nop
	v_fma_f64 v[54:55], -v[30:31], v[32:33], 1.0
	s_delay_alu instid0(VALU_DEP_1) | instskip(NEXT) | instid1(VALU_DEP_1)
	v_fmac_f64_e32 v[32:33], v[32:33], v[54:55]
	v_fma_f64 v[54:55], -v[30:31], v[32:33], 1.0
	s_delay_alu instid0(VALU_DEP_1) | instskip(NEXT) | instid1(VALU_DEP_1)
	v_fmac_f64_e32 v[32:33], v[32:33], v[54:55]
	v_mul_f64_e32 v[54:55], v[56:57], v[32:33]
	s_delay_alu instid0(VALU_DEP_1) | instskip(NEXT) | instid1(VALU_DEP_1)
	v_fma_f64 v[30:31], -v[30:31], v[54:55], v[56:57]
	v_div_fmas_f64 v[30:31], v[30:31], v[32:33], v[54:55]
	s_delay_alu instid0(VALU_DEP_1) | instskip(NEXT) | instid1(VALU_DEP_1)
	v_div_fixup_f64 v[30:31], v[30:31], v[28:29], v[26:27]
	v_fma_f64 v[32:33], v[26:27], v[30:31], v[28:29]
	s_delay_alu instid0(VALU_DEP_1) | instskip(SKIP_1) | instid1(VALU_DEP_2)
	v_div_scale_f64 v[54:55], null, v[32:33], v[32:33], 1.0
	v_div_scale_f64 v[60:61], vcc_lo, 1.0, v[32:33], 1.0
	v_rcp_f64_e32 v[56:57], v[54:55]
	v_nop
	s_delay_alu instid0(TRANS32_DEP_1) | instskip(NEXT) | instid1(VALU_DEP_1)
	v_fma_f64 v[58:59], -v[54:55], v[56:57], 1.0
	v_fmac_f64_e32 v[56:57], v[56:57], v[58:59]
	s_delay_alu instid0(VALU_DEP_1) | instskip(NEXT) | instid1(VALU_DEP_1)
	v_fma_f64 v[58:59], -v[54:55], v[56:57], 1.0
	v_fmac_f64_e32 v[56:57], v[56:57], v[58:59]
	s_delay_alu instid0(VALU_DEP_1) | instskip(NEXT) | instid1(VALU_DEP_1)
	v_mul_f64_e32 v[58:59], v[60:61], v[56:57]
	v_fma_f64 v[54:55], -v[54:55], v[58:59], v[60:61]
	s_delay_alu instid0(VALU_DEP_1) | instskip(SKIP_2) | instid1(VALU_DEP_3)
	v_div_fmas_f64 v[54:55], v[54:55], v[56:57], v[58:59]
	v_fma_f64 v[56:57], s[8:9], v[30:31], s[10:11]
	v_fma_f64 v[30:31], s[10:11], v[30:31], -s[8:9]
	v_div_fixup_f64 v[32:33], v[54:55], v[32:33], 1.0
	s_delay_alu instid0(VALU_DEP_1) | instskip(NEXT) | instid1(VALU_DEP_3)
	v_mul_f64_e32 v[54:55], v[56:57], v[32:33]
	v_mul_f64_e32 v[30:31], v[30:31], v[32:33]
.LBB62_126:                             ;   in Loop: Header=BB62_89 Depth=1
	s_or_b32 exec_lo, exec_lo, s1
	s_delay_alu instid0(VALU_DEP_1) | instskip(SKIP_2) | instid1(VALU_DEP_2)
	v_mul_f64_e32 v[32:33], s[6:7], v[30:31]
	v_mul_f64_e32 v[30:31], s[4:5], v[30:31]
	s_mov_b32 s1, 0
	v_fma_f64 v[32:33], s[4:5], v[54:55], -v[32:33]
	s_delay_alu instid0(VALU_DEP_2)
	v_fmac_f64_e32 v[30:31], s[6:7], v[54:55]
.LBB62_127:                             ;   in Loop: Header=BB62_89 Depth=1
	s_and_b32 vcc_lo, exec_lo, s1
	s_cbranch_vccz .LBB62_137
; %bb.128:                              ;   in Loop: Header=BB62_89 Depth=1
                                        ; implicit-def: $vgpr30_vgpr31
                                        ; implicit-def: $vgpr32_vgpr33
	s_and_saveexec_b32 s1, s0
	s_delay_alu instid0(SALU_CYCLE_1)
	s_xor_b32 s1, exec_lo, s1
	s_cbranch_execz .LBB62_134
; %bb.129:                              ;   in Loop: Header=BB62_89 Depth=1
	v_cmp_neq_f64_e32 vcc_lo, 0, v[26:27]
	v_cmp_neq_f64_e64 s0, 0, v[28:29]
                                        ; implicit-def: $vgpr30_vgpr31
                                        ; implicit-def: $vgpr32_vgpr33
	s_or_b32 s0, s0, vcc_lo
	s_delay_alu instid0(SALU_CYCLE_1) | instskip(NEXT) | instid1(SALU_CYCLE_1)
	s_and_saveexec_b32 s27, s0
	s_xor_b32 s0, exec_lo, s27
	s_cbranch_execz .LBB62_131
; %bb.130:                              ;   in Loop: Header=BB62_89 Depth=1
	v_div_scale_f64 v[30:31], null, v[26:27], v[26:27], v[28:29]
	v_div_scale_f64 v[52:53], vcc_lo, v[28:29], v[26:27], v[28:29]
	s_delay_alu instid0(VALU_DEP_2) | instskip(SKIP_1) | instid1(TRANS32_DEP_1)
	v_rcp_f64_e32 v[32:33], v[30:31]
	v_nop
	v_fma_f64 v[50:51], -v[30:31], v[32:33], 1.0
	s_delay_alu instid0(VALU_DEP_1) | instskip(NEXT) | instid1(VALU_DEP_1)
	v_fmac_f64_e32 v[32:33], v[32:33], v[50:51]
	v_fma_f64 v[50:51], -v[30:31], v[32:33], 1.0
	s_delay_alu instid0(VALU_DEP_1) | instskip(NEXT) | instid1(VALU_DEP_1)
	v_fmac_f64_e32 v[32:33], v[32:33], v[50:51]
	v_mul_f64_e32 v[50:51], v[52:53], v[32:33]
	s_delay_alu instid0(VALU_DEP_1) | instskip(NEXT) | instid1(VALU_DEP_1)
	v_fma_f64 v[30:31], -v[30:31], v[50:51], v[52:53]
	v_div_fmas_f64 v[30:31], v[30:31], v[32:33], v[50:51]
	s_delay_alu instid0(VALU_DEP_1) | instskip(NEXT) | instid1(VALU_DEP_1)
	v_div_fixup_f64 v[30:31], v[30:31], v[26:27], v[28:29]
	v_fmac_f64_e32 v[26:27], v[28:29], v[30:31]
	s_delay_alu instid0(VALU_DEP_1) | instskip(SKIP_1) | instid1(VALU_DEP_2)
	v_div_scale_f64 v[28:29], null, v[26:27], v[26:27], 1.0
	v_div_scale_f64 v[52:53], vcc_lo, 1.0, v[26:27], 1.0
	v_rcp_f64_e32 v[32:33], v[28:29]
	v_nop
	s_delay_alu instid0(TRANS32_DEP_1) | instskip(NEXT) | instid1(VALU_DEP_1)
	v_fma_f64 v[50:51], -v[28:29], v[32:33], 1.0
	v_fmac_f64_e32 v[32:33], v[32:33], v[50:51]
	s_delay_alu instid0(VALU_DEP_1) | instskip(NEXT) | instid1(VALU_DEP_1)
	v_fma_f64 v[50:51], -v[28:29], v[32:33], 1.0
	v_fmac_f64_e32 v[32:33], v[32:33], v[50:51]
	s_delay_alu instid0(VALU_DEP_1) | instskip(NEXT) | instid1(VALU_DEP_1)
	v_mul_f64_e32 v[50:51], v[52:53], v[32:33]
	v_fma_f64 v[28:29], -v[28:29], v[50:51], v[52:53]
                                        ; implicit-def: $vgpr52_vgpr53
	s_delay_alu instid0(VALU_DEP_1) | instskip(SKIP_1) | instid1(VALU_DEP_2)
	v_div_fmas_f64 v[28:29], v[28:29], v[32:33], v[50:51]
	v_fma_f64 v[32:33], s[10:11], v[30:31], s[8:9]
                                        ; implicit-def: $vgpr50_vgpr51
	v_div_fixup_f64 v[26:27], v[28:29], v[26:27], 1.0
	v_fma_f64 v[28:29], -s[8:9], v[30:31], s[10:11]
	s_delay_alu instid0(VALU_DEP_2) | instskip(NEXT) | instid1(VALU_DEP_2)
	v_mul_f64_e32 v[32:33], v[32:33], v[26:27]
	v_mul_f64_e32 v[30:31], v[28:29], v[26:27]
.LBB62_131:                             ;   in Loop: Header=BB62_89 Depth=1
	s_and_not1_saveexec_b32 s27, s0
	s_cbranch_execz .LBB62_133
; %bb.132:                              ;   in Loop: Header=BB62_89 Depth=1
	v_div_scale_f64 v[26:27], null, v[50:51], v[50:51], s[8:9]
	v_div_scale_f64 v[28:29], null, v[52:53], v[52:53], s[10:11]
	v_div_scale_f64 v[58:59], vcc_lo, s[8:9], v[50:51], s[8:9]
	s_delay_alu instid0(VALU_DEP_3) | instskip(NEXT) | instid1(VALU_DEP_2)
	v_rcp_f64_e32 v[30:31], v[26:27]
	v_rcp_f64_e32 v[32:33], v[28:29]
	s_delay_alu instid0(TRANS32_DEP_2) | instskip(NEXT) | instid1(TRANS32_DEP_1)
	v_fma_f64 v[54:55], -v[26:27], v[30:31], 1.0
	v_fma_f64 v[56:57], -v[28:29], v[32:33], 1.0
	s_delay_alu instid0(VALU_DEP_2) | instskip(NEXT) | instid1(VALU_DEP_2)
	v_fmac_f64_e32 v[30:31], v[30:31], v[54:55]
	v_fmac_f64_e32 v[32:33], v[32:33], v[56:57]
	s_delay_alu instid0(VALU_DEP_2) | instskip(NEXT) | instid1(VALU_DEP_2)
	v_fma_f64 v[54:55], -v[26:27], v[30:31], 1.0
	v_fma_f64 v[56:57], -v[28:29], v[32:33], 1.0
	s_delay_alu instid0(VALU_DEP_2) | instskip(SKIP_1) | instid1(VALU_DEP_3)
	v_fmac_f64_e32 v[30:31], v[30:31], v[54:55]
	v_div_scale_f64 v[54:55], s0, s[10:11], v[52:53], s[10:11]
	v_fmac_f64_e32 v[32:33], v[32:33], v[56:57]
	s_delay_alu instid0(VALU_DEP_3) | instskip(NEXT) | instid1(VALU_DEP_2)
	v_mul_f64_e32 v[56:57], v[58:59], v[30:31]
	v_mul_f64_e32 v[60:61], v[54:55], v[32:33]
	s_delay_alu instid0(VALU_DEP_2) | instskip(NEXT) | instid1(VALU_DEP_2)
	v_fma_f64 v[26:27], -v[26:27], v[56:57], v[58:59]
	v_fma_f64 v[28:29], -v[28:29], v[60:61], v[54:55]
	s_delay_alu instid0(VALU_DEP_2) | instskip(SKIP_1) | instid1(VALU_DEP_2)
	v_div_fmas_f64 v[26:27], v[26:27], v[30:31], v[56:57]
	s_mov_b32 vcc_lo, s0
	v_div_fmas_f64 v[28:29], v[28:29], v[32:33], v[60:61]
	s_delay_alu instid0(VALU_DEP_2) | instskip(NEXT) | instid1(VALU_DEP_2)
	v_div_fixup_f64 v[32:33], v[26:27], v[50:51], s[8:9]
	v_div_fixup_f64 v[30:31], v[28:29], v[52:53], s[10:11]
.LBB62_133:                             ;   in Loop: Header=BB62_89 Depth=1
	s_or_b32 exec_lo, exec_lo, s27
                                        ; implicit-def: $vgpr28_vgpr29
.LBB62_134:                             ;   in Loop: Header=BB62_89 Depth=1
	s_and_not1_saveexec_b32 s0, s1
	s_cbranch_execz .LBB62_136
; %bb.135:                              ;   in Loop: Header=BB62_89 Depth=1
	v_div_scale_f64 v[30:31], null, v[28:29], v[28:29], v[26:27]
	v_div_scale_f64 v[52:53], vcc_lo, v[26:27], v[28:29], v[26:27]
	s_delay_alu instid0(VALU_DEP_2) | instskip(SKIP_1) | instid1(TRANS32_DEP_1)
	v_rcp_f64_e32 v[32:33], v[30:31]
	v_nop
	v_fma_f64 v[50:51], -v[30:31], v[32:33], 1.0
	s_delay_alu instid0(VALU_DEP_1) | instskip(NEXT) | instid1(VALU_DEP_1)
	v_fmac_f64_e32 v[32:33], v[32:33], v[50:51]
	v_fma_f64 v[50:51], -v[30:31], v[32:33], 1.0
	s_delay_alu instid0(VALU_DEP_1) | instskip(NEXT) | instid1(VALU_DEP_1)
	v_fmac_f64_e32 v[32:33], v[32:33], v[50:51]
	v_mul_f64_e32 v[50:51], v[52:53], v[32:33]
	s_delay_alu instid0(VALU_DEP_1) | instskip(NEXT) | instid1(VALU_DEP_1)
	v_fma_f64 v[30:31], -v[30:31], v[50:51], v[52:53]
	v_div_fmas_f64 v[30:31], v[30:31], v[32:33], v[50:51]
	s_delay_alu instid0(VALU_DEP_1) | instskip(NEXT) | instid1(VALU_DEP_1)
	v_div_fixup_f64 v[30:31], v[30:31], v[28:29], v[26:27]
	v_fmac_f64_e32 v[28:29], v[26:27], v[30:31]
	s_delay_alu instid0(VALU_DEP_1) | instskip(SKIP_1) | instid1(VALU_DEP_2)
	v_div_scale_f64 v[26:27], null, v[28:29], v[28:29], 1.0
	v_div_scale_f64 v[52:53], vcc_lo, 1.0, v[28:29], 1.0
	v_rcp_f64_e32 v[32:33], v[26:27]
	v_nop
	s_delay_alu instid0(TRANS32_DEP_1) | instskip(NEXT) | instid1(VALU_DEP_1)
	v_fma_f64 v[50:51], -v[26:27], v[32:33], 1.0
	v_fmac_f64_e32 v[32:33], v[32:33], v[50:51]
	s_delay_alu instid0(VALU_DEP_1) | instskip(NEXT) | instid1(VALU_DEP_1)
	v_fma_f64 v[50:51], -v[26:27], v[32:33], 1.0
	v_fmac_f64_e32 v[32:33], v[32:33], v[50:51]
	s_delay_alu instid0(VALU_DEP_1) | instskip(NEXT) | instid1(VALU_DEP_1)
	v_mul_f64_e32 v[50:51], v[52:53], v[32:33]
	v_fma_f64 v[26:27], -v[26:27], v[50:51], v[52:53]
	s_delay_alu instid0(VALU_DEP_1) | instskip(SKIP_1) | instid1(VALU_DEP_2)
	v_div_fmas_f64 v[26:27], v[26:27], v[32:33], v[50:51]
	v_fma_f64 v[32:33], s[8:9], v[30:31], s[10:11]
	v_div_fixup_f64 v[26:27], v[26:27], v[28:29], 1.0
	v_fma_f64 v[28:29], s[10:11], v[30:31], -s[8:9]
	s_delay_alu instid0(VALU_DEP_2) | instskip(NEXT) | instid1(VALU_DEP_2)
	v_mul_f64_e32 v[32:33], v[32:33], v[26:27]
	v_mul_f64_e32 v[30:31], v[28:29], v[26:27]
.LBB62_136:                             ;   in Loop: Header=BB62_89 Depth=1
	s_or_b32 exec_lo, exec_lo, s0
.LBB62_137:                             ;   in Loop: Header=BB62_89 Depth=1
	v_cmp_gt_f64_e32 vcc_lo, 0, v[22:23]
	v_xor_b32_e32 v26, 0x80000000, v23
	v_mov_b32_e32 v50, v22
	v_xor_b32_e32 v27, 0x80000000, v25
	s_mov_b32 s1, -1
                                        ; implicit-def: $vgpr28_vgpr29
	s_delay_alu instid0(VALU_DEP_3) | instskip(SKIP_1) | instid1(VALU_DEP_3)
	v_dual_mov_b32 v52, v24 :: v_dual_cndmask_b32 v51, v23, v26
	v_cmp_gt_f64_e32 vcc_lo, 0, v[24:25]
	v_cndmask_b32_e32 v53, v25, v27, vcc_lo
	s_and_not1_b32 vcc_lo, exec_lo, s26
                                        ; implicit-def: $vgpr26_vgpr27
	s_delay_alu instid0(VALU_DEP_1)
	v_cmp_ge_f64_e64 s0, v[50:51], v[52:53]
	s_cbranch_vccnz .LBB62_147
; %bb.138:                              ;   in Loop: Header=BB62_89 Depth=1
                                        ; implicit-def: $vgpr26_vgpr27
                                        ; implicit-def: $vgpr54_vgpr55
	s_and_saveexec_b32 s1, s0
	s_delay_alu instid0(SALU_CYCLE_1)
	s_xor_b32 s27, exec_lo, s1
	s_cbranch_execz .LBB62_144
; %bb.139:                              ;   in Loop: Header=BB62_89 Depth=1
	v_cmp_neq_f64_e32 vcc_lo, 0, v[22:23]
	v_cmp_neq_f64_e64 s1, 0, v[24:25]
                                        ; implicit-def: $vgpr26_vgpr27
                                        ; implicit-def: $vgpr54_vgpr55
	s_or_b32 s1, s1, vcc_lo
	s_delay_alu instid0(SALU_CYCLE_1) | instskip(NEXT) | instid1(SALU_CYCLE_1)
	s_and_saveexec_b32 s28, s1
	s_xor_b32 s1, exec_lo, s28
	s_cbranch_execz .LBB62_141
; %bb.140:                              ;   in Loop: Header=BB62_89 Depth=1
	v_div_scale_f64 v[26:27], null, v[22:23], v[22:23], v[24:25]
	v_div_scale_f64 v[56:57], vcc_lo, v[24:25], v[22:23], v[24:25]
	s_delay_alu instid0(VALU_DEP_2) | instskip(SKIP_1) | instid1(TRANS32_DEP_1)
	v_rcp_f64_e32 v[28:29], v[26:27]
	v_nop
	v_fma_f64 v[54:55], -v[26:27], v[28:29], 1.0
	s_delay_alu instid0(VALU_DEP_1) | instskip(NEXT) | instid1(VALU_DEP_1)
	v_fmac_f64_e32 v[28:29], v[28:29], v[54:55]
	v_fma_f64 v[54:55], -v[26:27], v[28:29], 1.0
	s_delay_alu instid0(VALU_DEP_1) | instskip(NEXT) | instid1(VALU_DEP_1)
	v_fmac_f64_e32 v[28:29], v[28:29], v[54:55]
	v_mul_f64_e32 v[54:55], v[56:57], v[28:29]
	s_delay_alu instid0(VALU_DEP_1) | instskip(NEXT) | instid1(VALU_DEP_1)
	v_fma_f64 v[26:27], -v[26:27], v[54:55], v[56:57]
	v_div_fmas_f64 v[26:27], v[26:27], v[28:29], v[54:55]
	s_delay_alu instid0(VALU_DEP_1) | instskip(NEXT) | instid1(VALU_DEP_1)
	v_div_fixup_f64 v[26:27], v[26:27], v[22:23], v[24:25]
	v_fma_f64 v[28:29], v[24:25], v[26:27], v[22:23]
	s_delay_alu instid0(VALU_DEP_1) | instskip(SKIP_1) | instid1(VALU_DEP_2)
	v_div_scale_f64 v[54:55], null, v[28:29], v[28:29], 1.0
	v_div_scale_f64 v[60:61], vcc_lo, 1.0, v[28:29], 1.0
	v_rcp_f64_e32 v[56:57], v[54:55]
	v_nop
	s_delay_alu instid0(TRANS32_DEP_1) | instskip(NEXT) | instid1(VALU_DEP_1)
	v_fma_f64 v[58:59], -v[54:55], v[56:57], 1.0
	v_fmac_f64_e32 v[56:57], v[56:57], v[58:59]
	s_delay_alu instid0(VALU_DEP_1) | instskip(NEXT) | instid1(VALU_DEP_1)
	v_fma_f64 v[58:59], -v[54:55], v[56:57], 1.0
	v_fmac_f64_e32 v[56:57], v[56:57], v[58:59]
	s_delay_alu instid0(VALU_DEP_1) | instskip(NEXT) | instid1(VALU_DEP_1)
	v_mul_f64_e32 v[58:59], v[60:61], v[56:57]
	v_fma_f64 v[54:55], -v[54:55], v[58:59], v[60:61]
	s_delay_alu instid0(VALU_DEP_1) | instskip(SKIP_2) | instid1(VALU_DEP_3)
	v_div_fmas_f64 v[54:55], v[54:55], v[56:57], v[58:59]
	v_fma_f64 v[56:57], s[10:11], v[26:27], s[8:9]
	v_fma_f64 v[26:27], -s[8:9], v[26:27], s[10:11]
	v_div_fixup_f64 v[28:29], v[54:55], v[28:29], 1.0
	s_delay_alu instid0(VALU_DEP_1) | instskip(NEXT) | instid1(VALU_DEP_3)
	v_mul_f64_e32 v[54:55], v[56:57], v[28:29]
	v_mul_f64_e32 v[26:27], v[26:27], v[28:29]
.LBB62_141:                             ;   in Loop: Header=BB62_89 Depth=1
	s_and_not1_saveexec_b32 s28, s1
	s_cbranch_execz .LBB62_143
; %bb.142:                              ;   in Loop: Header=BB62_89 Depth=1
	v_div_scale_f64 v[26:27], null, v[50:51], v[50:51], s[8:9]
	v_div_scale_f64 v[28:29], null, v[52:53], v[52:53], s[10:11]
	v_div_scale_f64 v[62:63], vcc_lo, s[8:9], v[50:51], s[8:9]
	s_delay_alu instid0(VALU_DEP_3) | instskip(NEXT) | instid1(VALU_DEP_2)
	v_rcp_f64_e32 v[54:55], v[26:27]
	v_rcp_f64_e32 v[56:57], v[28:29]
	s_delay_alu instid0(TRANS32_DEP_2) | instskip(NEXT) | instid1(TRANS32_DEP_1)
	v_fma_f64 v[58:59], -v[26:27], v[54:55], 1.0
	v_fma_f64 v[60:61], -v[28:29], v[56:57], 1.0
	s_delay_alu instid0(VALU_DEP_2) | instskip(NEXT) | instid1(VALU_DEP_2)
	v_fmac_f64_e32 v[54:55], v[54:55], v[58:59]
	v_fmac_f64_e32 v[56:57], v[56:57], v[60:61]
	s_delay_alu instid0(VALU_DEP_2) | instskip(NEXT) | instid1(VALU_DEP_2)
	v_fma_f64 v[58:59], -v[26:27], v[54:55], 1.0
	v_fma_f64 v[60:61], -v[28:29], v[56:57], 1.0
	s_delay_alu instid0(VALU_DEP_2) | instskip(SKIP_1) | instid1(VALU_DEP_3)
	v_fmac_f64_e32 v[54:55], v[54:55], v[58:59]
	v_div_scale_f64 v[58:59], s1, s[10:11], v[52:53], s[10:11]
	v_fmac_f64_e32 v[56:57], v[56:57], v[60:61]
	s_delay_alu instid0(VALU_DEP_3) | instskip(NEXT) | instid1(VALU_DEP_2)
	v_mul_f64_e32 v[60:61], v[62:63], v[54:55]
	v_mul_f64_e32 v[64:65], v[58:59], v[56:57]
	s_delay_alu instid0(VALU_DEP_2) | instskip(NEXT) | instid1(VALU_DEP_2)
	v_fma_f64 v[26:27], -v[26:27], v[60:61], v[62:63]
	v_fma_f64 v[28:29], -v[28:29], v[64:65], v[58:59]
	s_delay_alu instid0(VALU_DEP_2) | instskip(SKIP_1) | instid1(VALU_DEP_2)
	v_div_fmas_f64 v[26:27], v[26:27], v[54:55], v[60:61]
	s_mov_b32 vcc_lo, s1
	v_div_fmas_f64 v[28:29], v[28:29], v[56:57], v[64:65]
	s_delay_alu instid0(VALU_DEP_2) | instskip(NEXT) | instid1(VALU_DEP_2)
	v_div_fixup_f64 v[54:55], v[26:27], v[50:51], s[8:9]
	v_div_fixup_f64 v[26:27], v[28:29], v[52:53], s[10:11]
.LBB62_143:                             ;   in Loop: Header=BB62_89 Depth=1
	s_or_b32 exec_lo, exec_lo, s28
.LBB62_144:                             ;   in Loop: Header=BB62_89 Depth=1
	s_and_not1_saveexec_b32 s1, s27
	s_cbranch_execz .LBB62_146
; %bb.145:                              ;   in Loop: Header=BB62_89 Depth=1
	v_div_scale_f64 v[26:27], null, v[24:25], v[24:25], v[22:23]
	v_div_scale_f64 v[56:57], vcc_lo, v[22:23], v[24:25], v[22:23]
	s_delay_alu instid0(VALU_DEP_2) | instskip(SKIP_1) | instid1(TRANS32_DEP_1)
	v_rcp_f64_e32 v[28:29], v[26:27]
	v_nop
	v_fma_f64 v[54:55], -v[26:27], v[28:29], 1.0
	s_delay_alu instid0(VALU_DEP_1) | instskip(NEXT) | instid1(VALU_DEP_1)
	v_fmac_f64_e32 v[28:29], v[28:29], v[54:55]
	v_fma_f64 v[54:55], -v[26:27], v[28:29], 1.0
	s_delay_alu instid0(VALU_DEP_1) | instskip(NEXT) | instid1(VALU_DEP_1)
	v_fmac_f64_e32 v[28:29], v[28:29], v[54:55]
	v_mul_f64_e32 v[54:55], v[56:57], v[28:29]
	s_delay_alu instid0(VALU_DEP_1) | instskip(NEXT) | instid1(VALU_DEP_1)
	v_fma_f64 v[26:27], -v[26:27], v[54:55], v[56:57]
	v_div_fmas_f64 v[26:27], v[26:27], v[28:29], v[54:55]
	s_delay_alu instid0(VALU_DEP_1) | instskip(NEXT) | instid1(VALU_DEP_1)
	v_div_fixup_f64 v[26:27], v[26:27], v[24:25], v[22:23]
	v_fma_f64 v[28:29], v[22:23], v[26:27], v[24:25]
	s_delay_alu instid0(VALU_DEP_1) | instskip(SKIP_1) | instid1(VALU_DEP_2)
	v_div_scale_f64 v[54:55], null, v[28:29], v[28:29], 1.0
	v_div_scale_f64 v[60:61], vcc_lo, 1.0, v[28:29], 1.0
	v_rcp_f64_e32 v[56:57], v[54:55]
	v_nop
	s_delay_alu instid0(TRANS32_DEP_1) | instskip(NEXT) | instid1(VALU_DEP_1)
	v_fma_f64 v[58:59], -v[54:55], v[56:57], 1.0
	v_fmac_f64_e32 v[56:57], v[56:57], v[58:59]
	s_delay_alu instid0(VALU_DEP_1) | instskip(NEXT) | instid1(VALU_DEP_1)
	v_fma_f64 v[58:59], -v[54:55], v[56:57], 1.0
	v_fmac_f64_e32 v[56:57], v[56:57], v[58:59]
	s_delay_alu instid0(VALU_DEP_1) | instskip(NEXT) | instid1(VALU_DEP_1)
	v_mul_f64_e32 v[58:59], v[60:61], v[56:57]
	v_fma_f64 v[54:55], -v[54:55], v[58:59], v[60:61]
	s_delay_alu instid0(VALU_DEP_1) | instskip(SKIP_2) | instid1(VALU_DEP_3)
	v_div_fmas_f64 v[54:55], v[54:55], v[56:57], v[58:59]
	v_fma_f64 v[56:57], s[8:9], v[26:27], s[10:11]
	v_fma_f64 v[26:27], s[10:11], v[26:27], -s[8:9]
	v_div_fixup_f64 v[28:29], v[54:55], v[28:29], 1.0
	s_delay_alu instid0(VALU_DEP_1) | instskip(NEXT) | instid1(VALU_DEP_3)
	v_mul_f64_e32 v[54:55], v[56:57], v[28:29]
	v_mul_f64_e32 v[26:27], v[26:27], v[28:29]
.LBB62_146:                             ;   in Loop: Header=BB62_89 Depth=1
	s_or_b32 exec_lo, exec_lo, s1
	s_delay_alu instid0(VALU_DEP_1) | instskip(SKIP_2) | instid1(VALU_DEP_2)
	v_mul_f64_e32 v[28:29], s[6:7], v[26:27]
	v_mul_f64_e32 v[26:27], s[4:5], v[26:27]
	s_mov_b32 s1, 0
	v_fma_f64 v[28:29], s[4:5], v[54:55], -v[28:29]
	s_delay_alu instid0(VALU_DEP_2)
	v_fmac_f64_e32 v[26:27], s[6:7], v[54:55]
.LBB62_147:                             ;   in Loop: Header=BB62_89 Depth=1
	s_and_b32 vcc_lo, exec_lo, s1
	s_cbranch_vccz .LBB62_157
; %bb.148:                              ;   in Loop: Header=BB62_89 Depth=1
                                        ; implicit-def: $vgpr26_vgpr27
                                        ; implicit-def: $vgpr28_vgpr29
	s_and_saveexec_b32 s1, s0
	s_delay_alu instid0(SALU_CYCLE_1)
	s_xor_b32 s1, exec_lo, s1
	s_cbranch_execz .LBB62_154
; %bb.149:                              ;   in Loop: Header=BB62_89 Depth=1
	v_cmp_neq_f64_e32 vcc_lo, 0, v[22:23]
	v_cmp_neq_f64_e64 s0, 0, v[24:25]
                                        ; implicit-def: $vgpr26_vgpr27
                                        ; implicit-def: $vgpr28_vgpr29
	s_or_b32 s0, s0, vcc_lo
	s_delay_alu instid0(SALU_CYCLE_1) | instskip(NEXT) | instid1(SALU_CYCLE_1)
	s_and_saveexec_b32 s27, s0
	s_xor_b32 s0, exec_lo, s27
	s_cbranch_execz .LBB62_151
; %bb.150:                              ;   in Loop: Header=BB62_89 Depth=1
	v_div_scale_f64 v[26:27], null, v[22:23], v[22:23], v[24:25]
	v_div_scale_f64 v[52:53], vcc_lo, v[24:25], v[22:23], v[24:25]
	s_delay_alu instid0(VALU_DEP_2) | instskip(SKIP_1) | instid1(TRANS32_DEP_1)
	v_rcp_f64_e32 v[28:29], v[26:27]
	v_nop
	v_fma_f64 v[50:51], -v[26:27], v[28:29], 1.0
	s_delay_alu instid0(VALU_DEP_1) | instskip(NEXT) | instid1(VALU_DEP_1)
	v_fmac_f64_e32 v[28:29], v[28:29], v[50:51]
	v_fma_f64 v[50:51], -v[26:27], v[28:29], 1.0
	s_delay_alu instid0(VALU_DEP_1) | instskip(NEXT) | instid1(VALU_DEP_1)
	v_fmac_f64_e32 v[28:29], v[28:29], v[50:51]
	v_mul_f64_e32 v[50:51], v[52:53], v[28:29]
	s_delay_alu instid0(VALU_DEP_1) | instskip(NEXT) | instid1(VALU_DEP_1)
	v_fma_f64 v[26:27], -v[26:27], v[50:51], v[52:53]
	v_div_fmas_f64 v[26:27], v[26:27], v[28:29], v[50:51]
	s_delay_alu instid0(VALU_DEP_1) | instskip(NEXT) | instid1(VALU_DEP_1)
	v_div_fixup_f64 v[26:27], v[26:27], v[22:23], v[24:25]
	v_fmac_f64_e32 v[22:23], v[24:25], v[26:27]
	s_delay_alu instid0(VALU_DEP_1) | instskip(SKIP_1) | instid1(VALU_DEP_2)
	v_div_scale_f64 v[24:25], null, v[22:23], v[22:23], 1.0
	v_div_scale_f64 v[52:53], vcc_lo, 1.0, v[22:23], 1.0
	v_rcp_f64_e32 v[28:29], v[24:25]
	v_nop
	s_delay_alu instid0(TRANS32_DEP_1) | instskip(NEXT) | instid1(VALU_DEP_1)
	v_fma_f64 v[50:51], -v[24:25], v[28:29], 1.0
	v_fmac_f64_e32 v[28:29], v[28:29], v[50:51]
	s_delay_alu instid0(VALU_DEP_1) | instskip(NEXT) | instid1(VALU_DEP_1)
	v_fma_f64 v[50:51], -v[24:25], v[28:29], 1.0
	v_fmac_f64_e32 v[28:29], v[28:29], v[50:51]
	s_delay_alu instid0(VALU_DEP_1) | instskip(NEXT) | instid1(VALU_DEP_1)
	v_mul_f64_e32 v[50:51], v[52:53], v[28:29]
	v_fma_f64 v[24:25], -v[24:25], v[50:51], v[52:53]
                                        ; implicit-def: $vgpr52_vgpr53
	s_delay_alu instid0(VALU_DEP_1) | instskip(SKIP_1) | instid1(VALU_DEP_2)
	v_div_fmas_f64 v[24:25], v[24:25], v[28:29], v[50:51]
	v_fma_f64 v[28:29], s[10:11], v[26:27], s[8:9]
                                        ; implicit-def: $vgpr50_vgpr51
	v_div_fixup_f64 v[22:23], v[24:25], v[22:23], 1.0
	v_fma_f64 v[24:25], -s[8:9], v[26:27], s[10:11]
	s_delay_alu instid0(VALU_DEP_2) | instskip(NEXT) | instid1(VALU_DEP_2)
	v_mul_f64_e32 v[28:29], v[28:29], v[22:23]
	v_mul_f64_e32 v[26:27], v[24:25], v[22:23]
.LBB62_151:                             ;   in Loop: Header=BB62_89 Depth=1
	s_and_not1_saveexec_b32 s27, s0
	s_cbranch_execz .LBB62_153
; %bb.152:                              ;   in Loop: Header=BB62_89 Depth=1
	v_div_scale_f64 v[22:23], null, v[50:51], v[50:51], s[8:9]
	v_div_scale_f64 v[24:25], null, v[52:53], v[52:53], s[10:11]
	v_div_scale_f64 v[58:59], vcc_lo, s[8:9], v[50:51], s[8:9]
	s_delay_alu instid0(VALU_DEP_3) | instskip(NEXT) | instid1(VALU_DEP_2)
	v_rcp_f64_e32 v[26:27], v[22:23]
	v_rcp_f64_e32 v[28:29], v[24:25]
	s_delay_alu instid0(TRANS32_DEP_2) | instskip(NEXT) | instid1(TRANS32_DEP_1)
	v_fma_f64 v[54:55], -v[22:23], v[26:27], 1.0
	v_fma_f64 v[56:57], -v[24:25], v[28:29], 1.0
	s_delay_alu instid0(VALU_DEP_2) | instskip(NEXT) | instid1(VALU_DEP_2)
	v_fmac_f64_e32 v[26:27], v[26:27], v[54:55]
	v_fmac_f64_e32 v[28:29], v[28:29], v[56:57]
	s_delay_alu instid0(VALU_DEP_2) | instskip(NEXT) | instid1(VALU_DEP_2)
	v_fma_f64 v[54:55], -v[22:23], v[26:27], 1.0
	v_fma_f64 v[56:57], -v[24:25], v[28:29], 1.0
	s_delay_alu instid0(VALU_DEP_2) | instskip(SKIP_1) | instid1(VALU_DEP_3)
	v_fmac_f64_e32 v[26:27], v[26:27], v[54:55]
	v_div_scale_f64 v[54:55], s0, s[10:11], v[52:53], s[10:11]
	v_fmac_f64_e32 v[28:29], v[28:29], v[56:57]
	s_delay_alu instid0(VALU_DEP_3) | instskip(NEXT) | instid1(VALU_DEP_2)
	v_mul_f64_e32 v[56:57], v[58:59], v[26:27]
	v_mul_f64_e32 v[60:61], v[54:55], v[28:29]
	s_delay_alu instid0(VALU_DEP_2) | instskip(NEXT) | instid1(VALU_DEP_2)
	v_fma_f64 v[22:23], -v[22:23], v[56:57], v[58:59]
	v_fma_f64 v[24:25], -v[24:25], v[60:61], v[54:55]
	s_delay_alu instid0(VALU_DEP_2) | instskip(SKIP_1) | instid1(VALU_DEP_2)
	v_div_fmas_f64 v[22:23], v[22:23], v[26:27], v[56:57]
	s_mov_b32 vcc_lo, s0
	v_div_fmas_f64 v[24:25], v[24:25], v[28:29], v[60:61]
	s_delay_alu instid0(VALU_DEP_2) | instskip(NEXT) | instid1(VALU_DEP_2)
	v_div_fixup_f64 v[28:29], v[22:23], v[50:51], s[8:9]
	v_div_fixup_f64 v[26:27], v[24:25], v[52:53], s[10:11]
.LBB62_153:                             ;   in Loop: Header=BB62_89 Depth=1
	s_or_b32 exec_lo, exec_lo, s27
                                        ; implicit-def: $vgpr24_vgpr25
.LBB62_154:                             ;   in Loop: Header=BB62_89 Depth=1
	s_and_not1_saveexec_b32 s0, s1
	s_cbranch_execz .LBB62_156
; %bb.155:                              ;   in Loop: Header=BB62_89 Depth=1
	v_div_scale_f64 v[26:27], null, v[24:25], v[24:25], v[22:23]
	v_div_scale_f64 v[52:53], vcc_lo, v[22:23], v[24:25], v[22:23]
	s_delay_alu instid0(VALU_DEP_2) | instskip(SKIP_1) | instid1(TRANS32_DEP_1)
	v_rcp_f64_e32 v[28:29], v[26:27]
	v_nop
	v_fma_f64 v[50:51], -v[26:27], v[28:29], 1.0
	s_delay_alu instid0(VALU_DEP_1) | instskip(NEXT) | instid1(VALU_DEP_1)
	v_fmac_f64_e32 v[28:29], v[28:29], v[50:51]
	v_fma_f64 v[50:51], -v[26:27], v[28:29], 1.0
	s_delay_alu instid0(VALU_DEP_1) | instskip(NEXT) | instid1(VALU_DEP_1)
	v_fmac_f64_e32 v[28:29], v[28:29], v[50:51]
	v_mul_f64_e32 v[50:51], v[52:53], v[28:29]
	s_delay_alu instid0(VALU_DEP_1) | instskip(NEXT) | instid1(VALU_DEP_1)
	v_fma_f64 v[26:27], -v[26:27], v[50:51], v[52:53]
	v_div_fmas_f64 v[26:27], v[26:27], v[28:29], v[50:51]
	s_delay_alu instid0(VALU_DEP_1) | instskip(NEXT) | instid1(VALU_DEP_1)
	v_div_fixup_f64 v[26:27], v[26:27], v[24:25], v[22:23]
	v_fmac_f64_e32 v[24:25], v[22:23], v[26:27]
	s_delay_alu instid0(VALU_DEP_1) | instskip(SKIP_1) | instid1(VALU_DEP_2)
	v_div_scale_f64 v[22:23], null, v[24:25], v[24:25], 1.0
	v_div_scale_f64 v[52:53], vcc_lo, 1.0, v[24:25], 1.0
	v_rcp_f64_e32 v[28:29], v[22:23]
	v_nop
	s_delay_alu instid0(TRANS32_DEP_1) | instskip(NEXT) | instid1(VALU_DEP_1)
	v_fma_f64 v[50:51], -v[22:23], v[28:29], 1.0
	v_fmac_f64_e32 v[28:29], v[28:29], v[50:51]
	s_delay_alu instid0(VALU_DEP_1) | instskip(NEXT) | instid1(VALU_DEP_1)
	v_fma_f64 v[50:51], -v[22:23], v[28:29], 1.0
	v_fmac_f64_e32 v[28:29], v[28:29], v[50:51]
	s_delay_alu instid0(VALU_DEP_1) | instskip(NEXT) | instid1(VALU_DEP_1)
	v_mul_f64_e32 v[50:51], v[52:53], v[28:29]
	v_fma_f64 v[22:23], -v[22:23], v[50:51], v[52:53]
	s_delay_alu instid0(VALU_DEP_1) | instskip(SKIP_1) | instid1(VALU_DEP_2)
	v_div_fmas_f64 v[22:23], v[22:23], v[28:29], v[50:51]
	v_fma_f64 v[28:29], s[8:9], v[26:27], s[10:11]
	v_div_fixup_f64 v[22:23], v[22:23], v[24:25], 1.0
	v_fma_f64 v[24:25], s[10:11], v[26:27], -s[8:9]
	s_delay_alu instid0(VALU_DEP_2) | instskip(NEXT) | instid1(VALU_DEP_2)
	v_mul_f64_e32 v[28:29], v[28:29], v[22:23]
	v_mul_f64_e32 v[26:27], v[24:25], v[22:23]
.LBB62_156:                             ;   in Loop: Header=BB62_89 Depth=1
	s_or_b32 exec_lo, exec_lo, s0
.LBB62_157:                             ;   in Loop: Header=BB62_89 Depth=1
	v_cmp_gt_f64_e32 vcc_lo, 0, v[18:19]
	v_xor_b32_e32 v23, 0x80000000, v19
	v_mov_b32_e32 v22, v18
	v_xor_b32_e32 v24, 0x80000000, v21
	s_mov_b32 s1, -1
                                        ; implicit-def: $vgpr50_vgpr51
                                        ; implicit-def: $vgpr52_vgpr53
	s_delay_alu instid0(VALU_DEP_3) | instskip(SKIP_1) | instid1(VALU_DEP_3)
	v_cndmask_b32_e32 v23, v19, v23, vcc_lo
	v_cmp_gt_f64_e32 vcc_lo, 0, v[20:21]
	v_dual_cndmask_b32 v25, v21, v24 :: v_dual_mov_b32 v24, v20
	s_and_not1_b32 vcc_lo, exec_lo, s26
	s_delay_alu instid0(VALU_DEP_1)
	v_cmp_ge_f64_e64 s0, v[22:23], v[24:25]
	s_cbranch_vccz .LBB62_163
; %bb.158:                              ;   in Loop: Header=BB62_89 Depth=1
	s_and_b32 vcc_lo, exec_lo, s1
	s_cbranch_vccnz .LBB62_172
.LBB62_159:                             ;   in Loop: Header=BB62_89 Depth=1
	s_mov_b32 s0, exec_lo
	v_cmpx_lt_u64_e64 v[38:39], v[36:37]
	s_xor_b32 s0, exec_lo, s0
	s_cbranch_execnz .LBB62_181
.LBB62_160:                             ;   in Loop: Header=BB62_89 Depth=1
	s_or_b32 exec_lo, exec_lo, s0
	s_delay_alu instid0(SALU_CYCLE_1)
	s_mov_b32 s0, exec_lo
	v_cmpx_lt_u64_e64 v[40:41], v[36:37]
	s_cbranch_execnz .LBB62_182
.LBB62_161:                             ;   in Loop: Header=BB62_89 Depth=1
	s_or_b32 exec_lo, exec_lo, s0
	s_delay_alu instid0(SALU_CYCLE_1)
	s_mov_b32 s0, exec_lo
	v_cmpx_lt_u64_e64 v[42:43], v[36:37]
	s_cbranch_execnz .LBB62_183
.LBB62_162:                             ;   in Loop: Header=BB62_89 Depth=1
	s_or_b32 exec_lo, exec_lo, s0
	s_delay_alu instid0(SALU_CYCLE_1)
	s_mov_b32 s0, exec_lo
	v_cmpx_lt_u64_e64 v[44:45], v[36:37]
	s_cbranch_execz .LBB62_88
	s_branch .LBB62_184
.LBB62_163:                             ;   in Loop: Header=BB62_89 Depth=1
                                        ; implicit-def: $vgpr50_vgpr51
                                        ; implicit-def: $vgpr54_vgpr55
	s_and_saveexec_b32 s1, s0
	s_delay_alu instid0(SALU_CYCLE_1)
	s_xor_b32 s27, exec_lo, s1
	s_cbranch_execz .LBB62_169
; %bb.164:                              ;   in Loop: Header=BB62_89 Depth=1
	v_cmp_neq_f64_e32 vcc_lo, 0, v[18:19]
	v_cmp_neq_f64_e64 s1, 0, v[20:21]
                                        ; implicit-def: $vgpr50_vgpr51
                                        ; implicit-def: $vgpr54_vgpr55
	s_or_b32 s1, s1, vcc_lo
	s_delay_alu instid0(SALU_CYCLE_1) | instskip(NEXT) | instid1(SALU_CYCLE_1)
	s_and_saveexec_b32 s28, s1
	s_xor_b32 s1, exec_lo, s28
	s_cbranch_execz .LBB62_166
; %bb.165:                              ;   in Loop: Header=BB62_89 Depth=1
	v_div_scale_f64 v[50:51], null, v[18:19], v[18:19], v[20:21]
	v_div_scale_f64 v[56:57], vcc_lo, v[20:21], v[18:19], v[20:21]
	s_delay_alu instid0(VALU_DEP_2) | instskip(SKIP_1) | instid1(TRANS32_DEP_1)
	v_rcp_f64_e32 v[52:53], v[50:51]
	v_nop
	v_fma_f64 v[54:55], -v[50:51], v[52:53], 1.0
	s_delay_alu instid0(VALU_DEP_1) | instskip(NEXT) | instid1(VALU_DEP_1)
	v_fmac_f64_e32 v[52:53], v[52:53], v[54:55]
	v_fma_f64 v[54:55], -v[50:51], v[52:53], 1.0
	s_delay_alu instid0(VALU_DEP_1) | instskip(NEXT) | instid1(VALU_DEP_1)
	v_fmac_f64_e32 v[52:53], v[52:53], v[54:55]
	v_mul_f64_e32 v[54:55], v[56:57], v[52:53]
	s_delay_alu instid0(VALU_DEP_1) | instskip(NEXT) | instid1(VALU_DEP_1)
	v_fma_f64 v[50:51], -v[50:51], v[54:55], v[56:57]
	v_div_fmas_f64 v[50:51], v[50:51], v[52:53], v[54:55]
	s_delay_alu instid0(VALU_DEP_1) | instskip(NEXT) | instid1(VALU_DEP_1)
	v_div_fixup_f64 v[50:51], v[50:51], v[18:19], v[20:21]
	v_fma_f64 v[52:53], v[20:21], v[50:51], v[18:19]
	s_delay_alu instid0(VALU_DEP_1) | instskip(SKIP_1) | instid1(VALU_DEP_2)
	v_div_scale_f64 v[54:55], null, v[52:53], v[52:53], 1.0
	v_div_scale_f64 v[60:61], vcc_lo, 1.0, v[52:53], 1.0
	v_rcp_f64_e32 v[56:57], v[54:55]
	v_nop
	s_delay_alu instid0(TRANS32_DEP_1) | instskip(NEXT) | instid1(VALU_DEP_1)
	v_fma_f64 v[58:59], -v[54:55], v[56:57], 1.0
	v_fmac_f64_e32 v[56:57], v[56:57], v[58:59]
	s_delay_alu instid0(VALU_DEP_1) | instskip(NEXT) | instid1(VALU_DEP_1)
	v_fma_f64 v[58:59], -v[54:55], v[56:57], 1.0
	v_fmac_f64_e32 v[56:57], v[56:57], v[58:59]
	s_delay_alu instid0(VALU_DEP_1) | instskip(NEXT) | instid1(VALU_DEP_1)
	v_mul_f64_e32 v[58:59], v[60:61], v[56:57]
	v_fma_f64 v[54:55], -v[54:55], v[58:59], v[60:61]
	s_delay_alu instid0(VALU_DEP_1) | instskip(SKIP_2) | instid1(VALU_DEP_3)
	v_div_fmas_f64 v[54:55], v[54:55], v[56:57], v[58:59]
	v_fma_f64 v[56:57], s[10:11], v[50:51], s[8:9]
	v_fma_f64 v[50:51], -s[8:9], v[50:51], s[10:11]
	v_div_fixup_f64 v[52:53], v[54:55], v[52:53], 1.0
	s_delay_alu instid0(VALU_DEP_1) | instskip(NEXT) | instid1(VALU_DEP_3)
	v_mul_f64_e32 v[54:55], v[56:57], v[52:53]
	v_mul_f64_e32 v[50:51], v[50:51], v[52:53]
.LBB62_166:                             ;   in Loop: Header=BB62_89 Depth=1
	s_and_not1_saveexec_b32 s28, s1
	s_cbranch_execz .LBB62_168
; %bb.167:                              ;   in Loop: Header=BB62_89 Depth=1
	v_div_scale_f64 v[50:51], null, v[22:23], v[22:23], s[8:9]
	v_div_scale_f64 v[52:53], null, v[24:25], v[24:25], s[10:11]
	v_div_scale_f64 v[62:63], vcc_lo, s[8:9], v[22:23], s[8:9]
	s_delay_alu instid0(VALU_DEP_3) | instskip(NEXT) | instid1(VALU_DEP_2)
	v_rcp_f64_e32 v[54:55], v[50:51]
	v_rcp_f64_e32 v[56:57], v[52:53]
	s_delay_alu instid0(TRANS32_DEP_2) | instskip(NEXT) | instid1(TRANS32_DEP_1)
	v_fma_f64 v[58:59], -v[50:51], v[54:55], 1.0
	v_fma_f64 v[60:61], -v[52:53], v[56:57], 1.0
	s_delay_alu instid0(VALU_DEP_2) | instskip(NEXT) | instid1(VALU_DEP_2)
	v_fmac_f64_e32 v[54:55], v[54:55], v[58:59]
	v_fmac_f64_e32 v[56:57], v[56:57], v[60:61]
	s_delay_alu instid0(VALU_DEP_2) | instskip(NEXT) | instid1(VALU_DEP_2)
	v_fma_f64 v[58:59], -v[50:51], v[54:55], 1.0
	v_fma_f64 v[60:61], -v[52:53], v[56:57], 1.0
	s_delay_alu instid0(VALU_DEP_2) | instskip(SKIP_1) | instid1(VALU_DEP_3)
	v_fmac_f64_e32 v[54:55], v[54:55], v[58:59]
	v_div_scale_f64 v[58:59], s1, s[10:11], v[24:25], s[10:11]
	v_fmac_f64_e32 v[56:57], v[56:57], v[60:61]
	s_delay_alu instid0(VALU_DEP_3) | instskip(NEXT) | instid1(VALU_DEP_2)
	v_mul_f64_e32 v[60:61], v[62:63], v[54:55]
	v_mul_f64_e32 v[64:65], v[58:59], v[56:57]
	s_delay_alu instid0(VALU_DEP_2) | instskip(NEXT) | instid1(VALU_DEP_2)
	v_fma_f64 v[50:51], -v[50:51], v[60:61], v[62:63]
	v_fma_f64 v[52:53], -v[52:53], v[64:65], v[58:59]
	s_delay_alu instid0(VALU_DEP_2) | instskip(SKIP_1) | instid1(VALU_DEP_2)
	v_div_fmas_f64 v[50:51], v[50:51], v[54:55], v[60:61]
	s_mov_b32 vcc_lo, s1
	v_div_fmas_f64 v[52:53], v[52:53], v[56:57], v[64:65]
	s_delay_alu instid0(VALU_DEP_2) | instskip(NEXT) | instid1(VALU_DEP_2)
	v_div_fixup_f64 v[54:55], v[50:51], v[22:23], s[8:9]
	v_div_fixup_f64 v[50:51], v[52:53], v[24:25], s[10:11]
.LBB62_168:                             ;   in Loop: Header=BB62_89 Depth=1
	s_or_b32 exec_lo, exec_lo, s28
.LBB62_169:                             ;   in Loop: Header=BB62_89 Depth=1
	s_and_not1_saveexec_b32 s1, s27
	s_cbranch_execz .LBB62_171
; %bb.170:                              ;   in Loop: Header=BB62_89 Depth=1
	v_div_scale_f64 v[50:51], null, v[20:21], v[20:21], v[18:19]
	v_div_scale_f64 v[56:57], vcc_lo, v[18:19], v[20:21], v[18:19]
	s_delay_alu instid0(VALU_DEP_2) | instskip(SKIP_1) | instid1(TRANS32_DEP_1)
	v_rcp_f64_e32 v[52:53], v[50:51]
	v_nop
	v_fma_f64 v[54:55], -v[50:51], v[52:53], 1.0
	s_delay_alu instid0(VALU_DEP_1) | instskip(NEXT) | instid1(VALU_DEP_1)
	v_fmac_f64_e32 v[52:53], v[52:53], v[54:55]
	v_fma_f64 v[54:55], -v[50:51], v[52:53], 1.0
	s_delay_alu instid0(VALU_DEP_1) | instskip(NEXT) | instid1(VALU_DEP_1)
	v_fmac_f64_e32 v[52:53], v[52:53], v[54:55]
	v_mul_f64_e32 v[54:55], v[56:57], v[52:53]
	s_delay_alu instid0(VALU_DEP_1) | instskip(NEXT) | instid1(VALU_DEP_1)
	v_fma_f64 v[50:51], -v[50:51], v[54:55], v[56:57]
	v_div_fmas_f64 v[50:51], v[50:51], v[52:53], v[54:55]
	s_delay_alu instid0(VALU_DEP_1) | instskip(NEXT) | instid1(VALU_DEP_1)
	v_div_fixup_f64 v[50:51], v[50:51], v[20:21], v[18:19]
	v_fma_f64 v[52:53], v[18:19], v[50:51], v[20:21]
	s_delay_alu instid0(VALU_DEP_1) | instskip(SKIP_1) | instid1(VALU_DEP_2)
	v_div_scale_f64 v[54:55], null, v[52:53], v[52:53], 1.0
	v_div_scale_f64 v[60:61], vcc_lo, 1.0, v[52:53], 1.0
	v_rcp_f64_e32 v[56:57], v[54:55]
	v_nop
	s_delay_alu instid0(TRANS32_DEP_1) | instskip(NEXT) | instid1(VALU_DEP_1)
	v_fma_f64 v[58:59], -v[54:55], v[56:57], 1.0
	v_fmac_f64_e32 v[56:57], v[56:57], v[58:59]
	s_delay_alu instid0(VALU_DEP_1) | instskip(NEXT) | instid1(VALU_DEP_1)
	v_fma_f64 v[58:59], -v[54:55], v[56:57], 1.0
	v_fmac_f64_e32 v[56:57], v[56:57], v[58:59]
	s_delay_alu instid0(VALU_DEP_1) | instskip(NEXT) | instid1(VALU_DEP_1)
	v_mul_f64_e32 v[58:59], v[60:61], v[56:57]
	v_fma_f64 v[54:55], -v[54:55], v[58:59], v[60:61]
	s_delay_alu instid0(VALU_DEP_1) | instskip(SKIP_2) | instid1(VALU_DEP_3)
	v_div_fmas_f64 v[54:55], v[54:55], v[56:57], v[58:59]
	v_fma_f64 v[56:57], s[8:9], v[50:51], s[10:11]
	v_fma_f64 v[50:51], s[10:11], v[50:51], -s[8:9]
	v_div_fixup_f64 v[52:53], v[54:55], v[52:53], 1.0
	s_delay_alu instid0(VALU_DEP_1) | instskip(NEXT) | instid1(VALU_DEP_3)
	v_mul_f64_e32 v[54:55], v[56:57], v[52:53]
	v_mul_f64_e32 v[50:51], v[50:51], v[52:53]
.LBB62_171:                             ;   in Loop: Header=BB62_89 Depth=1
	s_or_b32 exec_lo, exec_lo, s1
	s_delay_alu instid0(VALU_DEP_1) | instskip(SKIP_1) | instid1(VALU_DEP_2)
	v_mul_f64_e32 v[52:53], s[6:7], v[50:51]
	v_mul_f64_e32 v[50:51], s[4:5], v[50:51]
	v_fma_f64 v[52:53], s[4:5], v[54:55], -v[52:53]
	s_delay_alu instid0(VALU_DEP_2)
	v_fmac_f64_e32 v[50:51], s[6:7], v[54:55]
	s_branch .LBB62_159
.LBB62_172:                             ;   in Loop: Header=BB62_89 Depth=1
                                        ; implicit-def: $vgpr50_vgpr51
                                        ; implicit-def: $vgpr52_vgpr53
	s_and_saveexec_b32 s1, s0
	s_delay_alu instid0(SALU_CYCLE_1)
	s_xor_b32 s1, exec_lo, s1
	s_cbranch_execz .LBB62_178
; %bb.173:                              ;   in Loop: Header=BB62_89 Depth=1
	v_cmp_neq_f64_e32 vcc_lo, 0, v[18:19]
	v_cmp_neq_f64_e64 s0, 0, v[20:21]
                                        ; implicit-def: $vgpr50_vgpr51
                                        ; implicit-def: $vgpr52_vgpr53
	s_or_b32 s0, s0, vcc_lo
	s_delay_alu instid0(SALU_CYCLE_1) | instskip(NEXT) | instid1(SALU_CYCLE_1)
	s_and_saveexec_b32 s27, s0
	s_xor_b32 s0, exec_lo, s27
	s_cbranch_execz .LBB62_175
; %bb.174:                              ;   in Loop: Header=BB62_89 Depth=1
	v_div_scale_f64 v[22:23], null, v[18:19], v[18:19], v[20:21]
	v_div_scale_f64 v[52:53], vcc_lo, v[20:21], v[18:19], v[20:21]
	s_delay_alu instid0(VALU_DEP_2) | instskip(SKIP_1) | instid1(TRANS32_DEP_1)
	v_rcp_f64_e32 v[24:25], v[22:23]
	v_nop
	v_fma_f64 v[50:51], -v[22:23], v[24:25], 1.0
	s_delay_alu instid0(VALU_DEP_1) | instskip(NEXT) | instid1(VALU_DEP_1)
	v_fmac_f64_e32 v[24:25], v[24:25], v[50:51]
	v_fma_f64 v[50:51], -v[22:23], v[24:25], 1.0
	s_delay_alu instid0(VALU_DEP_1) | instskip(NEXT) | instid1(VALU_DEP_1)
	v_fmac_f64_e32 v[24:25], v[24:25], v[50:51]
	v_mul_f64_e32 v[50:51], v[52:53], v[24:25]
	s_delay_alu instid0(VALU_DEP_1) | instskip(NEXT) | instid1(VALU_DEP_1)
	v_fma_f64 v[22:23], -v[22:23], v[50:51], v[52:53]
	v_div_fmas_f64 v[22:23], v[22:23], v[24:25], v[50:51]
	s_delay_alu instid0(VALU_DEP_1) | instskip(NEXT) | instid1(VALU_DEP_1)
	v_div_fixup_f64 v[22:23], v[22:23], v[18:19], v[20:21]
	v_fmac_f64_e32 v[18:19], v[20:21], v[22:23]
	s_delay_alu instid0(VALU_DEP_1) | instskip(SKIP_1) | instid1(VALU_DEP_2)
	v_div_scale_f64 v[20:21], null, v[18:19], v[18:19], 1.0
	v_div_scale_f64 v[52:53], vcc_lo, 1.0, v[18:19], 1.0
	v_rcp_f64_e32 v[24:25], v[20:21]
	v_nop
	s_delay_alu instid0(TRANS32_DEP_1) | instskip(NEXT) | instid1(VALU_DEP_1)
	v_fma_f64 v[50:51], -v[20:21], v[24:25], 1.0
	v_fmac_f64_e32 v[24:25], v[24:25], v[50:51]
	s_delay_alu instid0(VALU_DEP_1) | instskip(NEXT) | instid1(VALU_DEP_1)
	v_fma_f64 v[50:51], -v[20:21], v[24:25], 1.0
	v_fmac_f64_e32 v[24:25], v[24:25], v[50:51]
	s_delay_alu instid0(VALU_DEP_1) | instskip(NEXT) | instid1(VALU_DEP_1)
	v_mul_f64_e32 v[50:51], v[52:53], v[24:25]
	v_fma_f64 v[20:21], -v[20:21], v[50:51], v[52:53]
	s_delay_alu instid0(VALU_DEP_1) | instskip(SKIP_1) | instid1(VALU_DEP_2)
	v_div_fmas_f64 v[20:21], v[20:21], v[24:25], v[50:51]
	v_fma_f64 v[24:25], s[10:11], v[22:23], s[8:9]
	v_div_fixup_f64 v[18:19], v[20:21], v[18:19], 1.0
	v_fma_f64 v[20:21], -s[8:9], v[22:23], s[10:11]
                                        ; implicit-def: $vgpr22_vgpr23
	s_delay_alu instid0(VALU_DEP_2) | instskip(NEXT) | instid1(VALU_DEP_2)
	v_mul_f64_e32 v[52:53], v[24:25], v[18:19]
	v_mul_f64_e32 v[50:51], v[20:21], v[18:19]
                                        ; implicit-def: $vgpr24_vgpr25
.LBB62_175:                             ;   in Loop: Header=BB62_89 Depth=1
	s_and_not1_saveexec_b32 s27, s0
	s_cbranch_execz .LBB62_177
; %bb.176:                              ;   in Loop: Header=BB62_89 Depth=1
	v_div_scale_f64 v[18:19], null, v[22:23], v[22:23], s[8:9]
	v_div_scale_f64 v[20:21], null, v[24:25], v[24:25], s[10:11]
	v_div_scale_f64 v[58:59], vcc_lo, s[8:9], v[22:23], s[8:9]
	s_delay_alu instid0(VALU_DEP_3) | instskip(NEXT) | instid1(VALU_DEP_2)
	v_rcp_f64_e32 v[50:51], v[18:19]
	v_rcp_f64_e32 v[52:53], v[20:21]
	s_delay_alu instid0(TRANS32_DEP_2) | instskip(NEXT) | instid1(TRANS32_DEP_1)
	v_fma_f64 v[54:55], -v[18:19], v[50:51], 1.0
	v_fma_f64 v[56:57], -v[20:21], v[52:53], 1.0
	s_delay_alu instid0(VALU_DEP_2) | instskip(NEXT) | instid1(VALU_DEP_2)
	v_fmac_f64_e32 v[50:51], v[50:51], v[54:55]
	v_fmac_f64_e32 v[52:53], v[52:53], v[56:57]
	s_delay_alu instid0(VALU_DEP_2) | instskip(NEXT) | instid1(VALU_DEP_2)
	v_fma_f64 v[54:55], -v[18:19], v[50:51], 1.0
	v_fma_f64 v[56:57], -v[20:21], v[52:53], 1.0
	s_delay_alu instid0(VALU_DEP_2) | instskip(SKIP_1) | instid1(VALU_DEP_3)
	v_fmac_f64_e32 v[50:51], v[50:51], v[54:55]
	v_div_scale_f64 v[54:55], s0, s[10:11], v[24:25], s[10:11]
	v_fmac_f64_e32 v[52:53], v[52:53], v[56:57]
	s_delay_alu instid0(VALU_DEP_3) | instskip(NEXT) | instid1(VALU_DEP_2)
	v_mul_f64_e32 v[56:57], v[58:59], v[50:51]
	v_mul_f64_e32 v[60:61], v[54:55], v[52:53]
	s_delay_alu instid0(VALU_DEP_2) | instskip(NEXT) | instid1(VALU_DEP_2)
	v_fma_f64 v[18:19], -v[18:19], v[56:57], v[58:59]
	v_fma_f64 v[20:21], -v[20:21], v[60:61], v[54:55]
	s_delay_alu instid0(VALU_DEP_2) | instskip(SKIP_1) | instid1(VALU_DEP_2)
	v_div_fmas_f64 v[18:19], v[18:19], v[50:51], v[56:57]
	s_mov_b32 vcc_lo, s0
	v_div_fmas_f64 v[20:21], v[20:21], v[52:53], v[60:61]
	s_delay_alu instid0(VALU_DEP_2) | instskip(NEXT) | instid1(VALU_DEP_2)
	v_div_fixup_f64 v[52:53], v[18:19], v[22:23], s[8:9]
	v_div_fixup_f64 v[50:51], v[20:21], v[24:25], s[10:11]
.LBB62_177:                             ;   in Loop: Header=BB62_89 Depth=1
	s_or_b32 exec_lo, exec_lo, s27
                                        ; implicit-def: $vgpr20_vgpr21
.LBB62_178:                             ;   in Loop: Header=BB62_89 Depth=1
	s_and_not1_saveexec_b32 s0, s1
	s_cbranch_execz .LBB62_180
; %bb.179:                              ;   in Loop: Header=BB62_89 Depth=1
	v_div_scale_f64 v[22:23], null, v[20:21], v[20:21], v[18:19]
	v_div_scale_f64 v[52:53], vcc_lo, v[18:19], v[20:21], v[18:19]
	s_delay_alu instid0(VALU_DEP_2) | instskip(SKIP_1) | instid1(TRANS32_DEP_1)
	v_rcp_f64_e32 v[24:25], v[22:23]
	v_nop
	v_fma_f64 v[50:51], -v[22:23], v[24:25], 1.0
	s_delay_alu instid0(VALU_DEP_1) | instskip(NEXT) | instid1(VALU_DEP_1)
	v_fmac_f64_e32 v[24:25], v[24:25], v[50:51]
	v_fma_f64 v[50:51], -v[22:23], v[24:25], 1.0
	s_delay_alu instid0(VALU_DEP_1) | instskip(NEXT) | instid1(VALU_DEP_1)
	v_fmac_f64_e32 v[24:25], v[24:25], v[50:51]
	v_mul_f64_e32 v[50:51], v[52:53], v[24:25]
	s_delay_alu instid0(VALU_DEP_1) | instskip(NEXT) | instid1(VALU_DEP_1)
	v_fma_f64 v[22:23], -v[22:23], v[50:51], v[52:53]
	v_div_fmas_f64 v[22:23], v[22:23], v[24:25], v[50:51]
	s_delay_alu instid0(VALU_DEP_1) | instskip(NEXT) | instid1(VALU_DEP_1)
	v_div_fixup_f64 v[22:23], v[22:23], v[20:21], v[18:19]
	v_fmac_f64_e32 v[20:21], v[18:19], v[22:23]
	s_delay_alu instid0(VALU_DEP_1) | instskip(SKIP_1) | instid1(VALU_DEP_2)
	v_div_scale_f64 v[18:19], null, v[20:21], v[20:21], 1.0
	v_div_scale_f64 v[52:53], vcc_lo, 1.0, v[20:21], 1.0
	v_rcp_f64_e32 v[24:25], v[18:19]
	v_nop
	s_delay_alu instid0(TRANS32_DEP_1) | instskip(NEXT) | instid1(VALU_DEP_1)
	v_fma_f64 v[50:51], -v[18:19], v[24:25], 1.0
	v_fmac_f64_e32 v[24:25], v[24:25], v[50:51]
	s_delay_alu instid0(VALU_DEP_1) | instskip(NEXT) | instid1(VALU_DEP_1)
	v_fma_f64 v[50:51], -v[18:19], v[24:25], 1.0
	v_fmac_f64_e32 v[24:25], v[24:25], v[50:51]
	s_delay_alu instid0(VALU_DEP_1) | instskip(NEXT) | instid1(VALU_DEP_1)
	v_mul_f64_e32 v[50:51], v[52:53], v[24:25]
	v_fma_f64 v[18:19], -v[18:19], v[50:51], v[52:53]
	s_delay_alu instid0(VALU_DEP_1) | instskip(SKIP_1) | instid1(VALU_DEP_2)
	v_div_fmas_f64 v[18:19], v[18:19], v[24:25], v[50:51]
	v_fma_f64 v[24:25], s[8:9], v[22:23], s[10:11]
	v_div_fixup_f64 v[18:19], v[18:19], v[20:21], 1.0
	v_fma_f64 v[20:21], s[10:11], v[22:23], -s[8:9]
	s_delay_alu instid0(VALU_DEP_2) | instskip(NEXT) | instid1(VALU_DEP_2)
	v_mul_f64_e32 v[52:53], v[24:25], v[18:19]
	v_mul_f64_e32 v[50:51], v[20:21], v[18:19]
.LBB62_180:                             ;   in Loop: Header=BB62_89 Depth=1
	s_or_b32 exec_lo, exec_lo, s0
	s_delay_alu instid0(SALU_CYCLE_1)
	s_mov_b32 s0, exec_lo
	v_cmpx_lt_u64_e64 v[38:39], v[36:37]
	s_xor_b32 s0, exec_lo, s0
	s_cbranch_execz .LBB62_160
.LBB62_181:                             ;   in Loop: Header=BB62_89 Depth=1
	v_add_f64_e32 v[4:5], v[4:5], v[46:47]
	v_add_f64_e32 v[2:3], v[2:3], v[48:49]
	v_lshl_add_u64 v[18:19], v[38:39], 4, s[14:15]
	global_store_b128 v[18:19], v[2:5], off
	s_wait_xcnt 0x0
	s_or_b32 exec_lo, exec_lo, s0
	s_delay_alu instid0(SALU_CYCLE_1)
	s_mov_b32 s0, exec_lo
	v_cmpx_lt_u64_e64 v[40:41], v[36:37]
	s_cbranch_execz .LBB62_161
.LBB62_182:                             ;   in Loop: Header=BB62_89 Depth=1
	v_add_f64_e32 v[4:5], v[8:9], v[30:31]
	v_add_f64_e32 v[2:3], v[6:7], v[32:33]
	v_lshl_add_u64 v[6:7], v[40:41], 4, s[14:15]
	global_store_b128 v[6:7], v[2:5], off
	s_wait_xcnt 0x0
	s_or_b32 exec_lo, exec_lo, s0
	s_delay_alu instid0(SALU_CYCLE_1)
	s_mov_b32 s0, exec_lo
	v_cmpx_lt_u64_e64 v[42:43], v[36:37]
	s_cbranch_execz .LBB62_162
.LBB62_183:                             ;   in Loop: Header=BB62_89 Depth=1
	v_add_f64_e32 v[4:5], v[12:13], v[26:27]
	v_add_f64_e32 v[2:3], v[10:11], v[28:29]
	v_lshl_add_u64 v[6:7], v[42:43], 4, s[14:15]
	global_store_b128 v[6:7], v[2:5], off
	s_wait_xcnt 0x0
	s_or_b32 exec_lo, exec_lo, s0
	s_delay_alu instid0(SALU_CYCLE_1)
	s_mov_b32 s0, exec_lo
	v_cmpx_lt_u64_e64 v[44:45], v[36:37]
	s_cbranch_execz .LBB62_88
.LBB62_184:                             ;   in Loop: Header=BB62_89 Depth=1
	v_add_f64_e32 v[4:5], v[16:17], v[50:51]
	v_add_f64_e32 v[2:3], v[14:15], v[52:53]
	v_lshl_add_u64 v[6:7], v[44:45], 4, s[14:15]
	global_store_b128 v[6:7], v[2:5], off
	s_branch .LBB62_88
.LBB62_185:
	s_sendmsg sendmsg(MSG_DEALLOC_VGPRS)
	s_endpgm
	.section	.rodata,"a",@progbits
	.p2align	6, 0x0
	.amdhsa_kernel _ZN2at6native12_GLOBAL__N_125multi_tensor_apply_kernelINS1_18TensorListMetadataILi4EEENS1_32PointwiseOpScalar0dTensorFunctorIN3c107complexIdEELi4ELi2ELi3EEEJSt7dividesIS8_ES8_EEEvT_T0_DpT1_
		.amdhsa_group_segment_fixed_size 0
		.amdhsa_private_segment_fixed_size 0
		.amdhsa_kernarg_size 3328
		.amdhsa_user_sgpr_count 2
		.amdhsa_user_sgpr_dispatch_ptr 0
		.amdhsa_user_sgpr_queue_ptr 0
		.amdhsa_user_sgpr_kernarg_segment_ptr 1
		.amdhsa_user_sgpr_dispatch_id 0
		.amdhsa_user_sgpr_kernarg_preload_length 0
		.amdhsa_user_sgpr_kernarg_preload_offset 0
		.amdhsa_user_sgpr_private_segment_size 0
		.amdhsa_wavefront_size32 1
		.amdhsa_uses_dynamic_stack 0
		.amdhsa_enable_private_segment 0
		.amdhsa_system_sgpr_workgroup_id_x 1
		.amdhsa_system_sgpr_workgroup_id_y 0
		.amdhsa_system_sgpr_workgroup_id_z 0
		.amdhsa_system_sgpr_workgroup_info 0
		.amdhsa_system_vgpr_workitem_id 0
		.amdhsa_next_free_vgpr 66
		.amdhsa_next_free_sgpr 36
		.amdhsa_named_barrier_count 0
		.amdhsa_reserve_vcc 1
		.amdhsa_float_round_mode_32 0
		.amdhsa_float_round_mode_16_64 0
		.amdhsa_float_denorm_mode_32 3
		.amdhsa_float_denorm_mode_16_64 3
		.amdhsa_fp16_overflow 0
		.amdhsa_memory_ordered 1
		.amdhsa_forward_progress 1
		.amdhsa_inst_pref_size 108
		.amdhsa_round_robin_scheduling 0
		.amdhsa_exception_fp_ieee_invalid_op 0
		.amdhsa_exception_fp_denorm_src 0
		.amdhsa_exception_fp_ieee_div_zero 0
		.amdhsa_exception_fp_ieee_overflow 0
		.amdhsa_exception_fp_ieee_underflow 0
		.amdhsa_exception_fp_ieee_inexact 0
		.amdhsa_exception_int_div_zero 0
	.end_amdhsa_kernel
	.section	.text._ZN2at6native12_GLOBAL__N_125multi_tensor_apply_kernelINS1_18TensorListMetadataILi4EEENS1_32PointwiseOpScalar0dTensorFunctorIN3c107complexIdEELi4ELi2ELi3EEEJSt7dividesIS8_ES8_EEEvT_T0_DpT1_,"axG",@progbits,_ZN2at6native12_GLOBAL__N_125multi_tensor_apply_kernelINS1_18TensorListMetadataILi4EEENS1_32PointwiseOpScalar0dTensorFunctorIN3c107complexIdEELi4ELi2ELi3EEEJSt7dividesIS8_ES8_EEEvT_T0_DpT1_,comdat
.Lfunc_end62:
	.size	_ZN2at6native12_GLOBAL__N_125multi_tensor_apply_kernelINS1_18TensorListMetadataILi4EEENS1_32PointwiseOpScalar0dTensorFunctorIN3c107complexIdEELi4ELi2ELi3EEEJSt7dividesIS8_ES8_EEEvT_T0_DpT1_, .Lfunc_end62-_ZN2at6native12_GLOBAL__N_125multi_tensor_apply_kernelINS1_18TensorListMetadataILi4EEENS1_32PointwiseOpScalar0dTensorFunctorIN3c107complexIdEELi4ELi2ELi3EEEJSt7dividesIS8_ES8_EEEvT_T0_DpT1_
                                        ; -- End function
	.set _ZN2at6native12_GLOBAL__N_125multi_tensor_apply_kernelINS1_18TensorListMetadataILi4EEENS1_32PointwiseOpScalar0dTensorFunctorIN3c107complexIdEELi4ELi2ELi3EEEJSt7dividesIS8_ES8_EEEvT_T0_DpT1_.num_vgpr, 66
	.set _ZN2at6native12_GLOBAL__N_125multi_tensor_apply_kernelINS1_18TensorListMetadataILi4EEENS1_32PointwiseOpScalar0dTensorFunctorIN3c107complexIdEELi4ELi2ELi3EEEJSt7dividesIS8_ES8_EEEvT_T0_DpT1_.num_agpr, 0
	.set _ZN2at6native12_GLOBAL__N_125multi_tensor_apply_kernelINS1_18TensorListMetadataILi4EEENS1_32PointwiseOpScalar0dTensorFunctorIN3c107complexIdEELi4ELi2ELi3EEEJSt7dividesIS8_ES8_EEEvT_T0_DpT1_.numbered_sgpr, 36
	.set _ZN2at6native12_GLOBAL__N_125multi_tensor_apply_kernelINS1_18TensorListMetadataILi4EEENS1_32PointwiseOpScalar0dTensorFunctorIN3c107complexIdEELi4ELi2ELi3EEEJSt7dividesIS8_ES8_EEEvT_T0_DpT1_.num_named_barrier, 0
	.set _ZN2at6native12_GLOBAL__N_125multi_tensor_apply_kernelINS1_18TensorListMetadataILi4EEENS1_32PointwiseOpScalar0dTensorFunctorIN3c107complexIdEELi4ELi2ELi3EEEJSt7dividesIS8_ES8_EEEvT_T0_DpT1_.private_seg_size, 0
	.set _ZN2at6native12_GLOBAL__N_125multi_tensor_apply_kernelINS1_18TensorListMetadataILi4EEENS1_32PointwiseOpScalar0dTensorFunctorIN3c107complexIdEELi4ELi2ELi3EEEJSt7dividesIS8_ES8_EEEvT_T0_DpT1_.uses_vcc, 1
	.set _ZN2at6native12_GLOBAL__N_125multi_tensor_apply_kernelINS1_18TensorListMetadataILi4EEENS1_32PointwiseOpScalar0dTensorFunctorIN3c107complexIdEELi4ELi2ELi3EEEJSt7dividesIS8_ES8_EEEvT_T0_DpT1_.uses_flat_scratch, 0
	.set _ZN2at6native12_GLOBAL__N_125multi_tensor_apply_kernelINS1_18TensorListMetadataILi4EEENS1_32PointwiseOpScalar0dTensorFunctorIN3c107complexIdEELi4ELi2ELi3EEEJSt7dividesIS8_ES8_EEEvT_T0_DpT1_.has_dyn_sized_stack, 0
	.set _ZN2at6native12_GLOBAL__N_125multi_tensor_apply_kernelINS1_18TensorListMetadataILi4EEENS1_32PointwiseOpScalar0dTensorFunctorIN3c107complexIdEELi4ELi2ELi3EEEJSt7dividesIS8_ES8_EEEvT_T0_DpT1_.has_recursion, 0
	.set _ZN2at6native12_GLOBAL__N_125multi_tensor_apply_kernelINS1_18TensorListMetadataILi4EEENS1_32PointwiseOpScalar0dTensorFunctorIN3c107complexIdEELi4ELi2ELi3EEEJSt7dividesIS8_ES8_EEEvT_T0_DpT1_.has_indirect_call, 0
	.section	.AMDGPU.csdata,"",@progbits
; Kernel info:
; codeLenInByte = 13700
; TotalNumSgprs: 38
; NumVgprs: 66
; ScratchSize: 0
; MemoryBound: 1
; FloatMode: 240
; IeeeMode: 1
; LDSByteSize: 0 bytes/workgroup (compile time only)
; SGPRBlocks: 0
; VGPRBlocks: 4
; NumSGPRsForWavesPerEU: 38
; NumVGPRsForWavesPerEU: 66
; NamedBarCnt: 0
; Occupancy: 12
; WaveLimiterHint : 0
; COMPUTE_PGM_RSRC2:SCRATCH_EN: 0
; COMPUTE_PGM_RSRC2:USER_SGPR: 2
; COMPUTE_PGM_RSRC2:TRAP_HANDLER: 0
; COMPUTE_PGM_RSRC2:TGID_X_EN: 1
; COMPUTE_PGM_RSRC2:TGID_Y_EN: 0
; COMPUTE_PGM_RSRC2:TGID_Z_EN: 0
; COMPUTE_PGM_RSRC2:TIDIG_COMP_CNT: 0
	.section	.text._ZN2at6native12_GLOBAL__N_125multi_tensor_apply_kernelINS1_18TensorListMetadataILi4EEENS1_32PointwiseOpScalar0dTensorFunctorIN3c107complexIfEELi4ELi2ELi3EEEJSt7dividesIS8_ES8_EEEvT_T0_DpT1_,"axG",@progbits,_ZN2at6native12_GLOBAL__N_125multi_tensor_apply_kernelINS1_18TensorListMetadataILi4EEENS1_32PointwiseOpScalar0dTensorFunctorIN3c107complexIfEELi4ELi2ELi3EEEJSt7dividesIS8_ES8_EEEvT_T0_DpT1_,comdat
	.globl	_ZN2at6native12_GLOBAL__N_125multi_tensor_apply_kernelINS1_18TensorListMetadataILi4EEENS1_32PointwiseOpScalar0dTensorFunctorIN3c107complexIfEELi4ELi2ELi3EEEJSt7dividesIS8_ES8_EEEvT_T0_DpT1_ ; -- Begin function _ZN2at6native12_GLOBAL__N_125multi_tensor_apply_kernelINS1_18TensorListMetadataILi4EEENS1_32PointwiseOpScalar0dTensorFunctorIN3c107complexIfEELi4ELi2ELi3EEEJSt7dividesIS8_ES8_EEEvT_T0_DpT1_
	.p2align	8
	.type	_ZN2at6native12_GLOBAL__N_125multi_tensor_apply_kernelINS1_18TensorListMetadataILi4EEENS1_32PointwiseOpScalar0dTensorFunctorIN3c107complexIfEELi4ELi2ELi3EEEJSt7dividesIS8_ES8_EEEvT_T0_DpT1_,@function
_ZN2at6native12_GLOBAL__N_125multi_tensor_apply_kernelINS1_18TensorListMetadataILi4EEENS1_32PointwiseOpScalar0dTensorFunctorIN3c107complexIfEELi4ELi2ELi3EEEJSt7dividesIS8_ES8_EEEvT_T0_DpT1_: ; @_ZN2at6native12_GLOBAL__N_125multi_tensor_apply_kernelINS1_18TensorListMetadataILi4EEENS1_32PointwiseOpScalar0dTensorFunctorIN3c107complexIfEELi4ELi2ELi3EEEJSt7dividesIS8_ES8_EEEvT_T0_DpT1_
; %bb.0:
	s_bfe_u32 s2, ttmp6, 0x4000c
	s_and_b32 s3, ttmp6, 15
	s_add_co_i32 s2, s2, 1
	s_getreg_b32 s4, hwreg(HW_REG_IB_STS2, 6, 4)
	s_mul_i32 s2, ttmp9, s2
	s_delay_alu instid0(SALU_CYCLE_1)
	s_add_co_i32 s3, s3, s2
	s_cmp_eq_u32 s4, 0
	s_cselect_b32 s2, ttmp9, s3
	s_mov_b32 s3, 0
	s_load_u8 s11, s[0:1], s2 offset:0x5a0
	s_add_nc_u64 s[4:5], s[0:1], s[2:3]
	s_mul_u64 s[6:7], s[2:3], 3
	s_delay_alu instid0(SALU_CYCLE_1)
	s_add_nc_u64 s[4:5], s[4:5], s[6:7]
	s_load_b32 s10, s[4:5], 0x6e0
	s_wait_kmcnt 0x0
	s_clause 0x4
	s_load_b64 s[6:7], s[0:1], s11 offset:0x240 scale_offset
	s_load_b64 s[8:9], s[0:1], s11 offset:0x360 scale_offset
	;; [unrolled: 1-line block ×5, first 2 shown]
	s_wait_xcnt 0x0
	s_ashr_i32 s11, s10, 31
	s_delay_alu instid0(SALU_CYCLE_1)
	s_lshl_b64 s[18:19], s[10:11], 19
	s_wait_kmcnt 0x0
	s_add_nc_u64 s[4:5], s[6:7], s[18:19]
	s_add_nc_u64 s[6:7], s[8:9], s[18:19]
	;; [unrolled: 1-line block ×3, first 2 shown]
	s_or_b32 s2, s6, s4
	s_load_b64 s[12:13], s[12:13], 0x0
	s_and_b32 s9, s2, 31
	s_and_b32 s2, s8, 31
	s_cmp_lg_u32 s9, 0
	s_add_nc_u64 s[8:9], s[14:15], s[18:19]
	s_cselect_b32 s20, -1, 0
	s_lshl_b64 s[14:15], s[10:11], 16
	s_load_b64 s[10:11], s[0:1], 0xbf0
	s_and_b64 s[18:19], s[8:9], 31
	s_cmp_lg_u64 s[2:3], 0
	s_sub_nc_u64 s[14:15], s[16:17], s[14:15]
	s_cselect_b32 s21, -1, 0
	s_and_b32 s2, s16, 3
	s_delay_alu instid0(SALU_CYCLE_1) | instskip(SKIP_3) | instid1(SALU_CYCLE_1)
	s_or_b64 s[2:3], s[18:19], s[2:3]
	s_or_b32 s18, s20, s21
	s_cmp_lg_u64 s[2:3], 0
	s_cselect_b32 s2, -1, 0
	s_or_b32 s2, s18, s2
	s_delay_alu instid0(SALU_CYCLE_1)
	s_and_not1_b32 vcc_lo, exec_lo, s2
	s_mov_b32 s2, -1
	s_cbranch_vccz .LBB63_85
; %bb.1:
	v_min_i64 v[18:19], 0x10000, s[14:15]
	v_dual_mov_b32 v21, 0 :: v_dual_lshlrev_b32 v20, 2, v0
	s_mov_b32 s30, exec_lo
	s_delay_alu instid0(VALU_DEP_1)
	v_cmpx_lt_i64_e64 v[20:21], v[18:19]
	s_cbranch_execz .LBB63_84
; %bb.2:
	s_load_b32 s2, s[0:1], 0xc04
	v_dual_mov_b32 v1, v21 :: v_dual_lshlrev_b32 v20, 5, v0
	s_wait_kmcnt 0x0
	s_and_b32 s3, s11, 0x7fffffff
	s_mov_b32 s17, 0
	s_cmp_lg_u32 s3, 0
	v_mov_b64_e32 v[22:23], v[0:1]
	s_cselect_b32 s3, -1, 0
	s_cmp_neq_f32 s10, 1.0
	s_mov_b32 s18, s13
	s_mov_b32 s19, s12
	;; [unrolled: 1-line block ×3, first 2 shown]
	s_cselect_b32 s26, -1, 0
	s_mov_b32 s21, s10
	s_mov_b64 s[22:23], s[4:5]
	s_mov_b64 s[24:25], s[8:9]
	s_mov_b32 s27, s17
	s_mov_b32 s31, s17
	s_or_b32 s33, s26, s3
	s_mov_b64 s[28:29], s[6:7]
	s_and_b32 s16, s2, 0xffff
	s_delay_alu instid0(SALU_CYCLE_1)
	s_lshl_b32 s26, s16, 5
	s_branch .LBB63_5
.LBB63_3:                               ;   in Loop: Header=BB63_5 Depth=1
	s_or_b32 exec_lo, exec_lo, s2
.LBB63_4:                               ;   in Loop: Header=BB63_5 Depth=1
	v_add_nc_u64_e32 v[22:23], s[16:17], v[22:23]
	s_wait_loadcnt 0x0
	v_pk_add_f32 v[8:9], v[8:9], v[26:27]
	v_pk_add_f32 v[6:7], v[6:7], v[24:25]
	;; [unrolled: 1-line block ×4, first 2 shown]
	s_add_nc_u64 s[24:25], s[24:25], s[26:27]
	s_add_nc_u64 s[22:23], s[22:23], s[26:27]
	v_lshlrev_b64_e32 v[10:11], 2, v[22:23]
	s_delay_alu instid0(VALU_DEP_1)
	v_cmp_ge_i64_e32 vcc_lo, v[10:11], v[18:19]
	v_add_nc_u64_e32 v[10:11], s[28:29], v[20:21]
	s_add_nc_u64 s[28:29], s[28:29], s[26:27]
	s_clause 0x1
	global_store_b128 v[10:11], v[6:9], off
	global_store_b128 v[10:11], v[2:5], off offset:16
	s_or_b32 s31, vcc_lo, s31
	s_wait_xcnt 0x0
	s_and_not1_b32 exec_lo, exec_lo, s31
	s_cbranch_execz .LBB63_84
.LBB63_5:                               ; =>This Inner Loop Header: Depth=1
	v_add_nc_u64_e32 v[24:25], s[22:23], v[20:21]
	v_add_nc_u64_e32 v[26:27], s[24:25], v[20:21]
	s_mov_b32 s3, -1
	s_clause 0x1
	global_load_b128 v[14:17], v[24:25], off
	global_load_b128 v[10:13], v[24:25], off offset:16
	s_clause 0x1
	global_load_b128 v[2:5], v[26:27], off offset:16
	global_load_b128 v[6:9], v[26:27], off
                                        ; implicit-def: $vgpr25
	s_wait_loadcnt 0x3
	v_cmp_gt_f32_e32 vcc_lo, 0, v15
	v_cndmask_b32_e64 v1, v15, -v15, vcc_lo
	v_cmp_gt_f32_e32 vcc_lo, 0, v14
	s_wait_xcnt 0x0
	v_cndmask_b32_e64 v26, v14, -v14, vcc_lo
	s_and_b32 vcc_lo, exec_lo, s33
	s_delay_alu instid0(VALU_DEP_1)
	v_cmp_ge_f32_e64 s2, v26, v1
	s_cbranch_vccz .LBB63_15
; %bb.6:                                ;   in Loop: Header=BB63_5 Depth=1
                                        ; implicit-def: $vgpr24_vgpr25
	s_and_saveexec_b32 s3, s2
	s_delay_alu instid0(SALU_CYCLE_1)
	s_xor_b32 s34, exec_lo, s3
	s_cbranch_execz .LBB63_12
; %bb.7:                                ;   in Loop: Header=BB63_5 Depth=1
	v_cmp_neq_f32_e32 vcc_lo, 0, v14
	v_cmp_neq_f32_e64 s3, 0, v15
                                        ; implicit-def: $vgpr24_vgpr25
	s_or_b32 s3, vcc_lo, s3
	s_delay_alu instid0(SALU_CYCLE_1) | instskip(NEXT) | instid1(SALU_CYCLE_1)
	s_and_saveexec_b32 s35, s3
	s_xor_b32 s3, exec_lo, s35
	s_cbranch_execz .LBB63_9
; %bb.8:                                ;   in Loop: Header=BB63_5 Depth=1
	v_div_scale_f32 v24, null, v14, v14, v15
	v_div_scale_f32 v28, vcc_lo, v15, v14, v15
	s_delay_alu instid0(VALU_DEP_2) | instskip(SKIP_1) | instid1(TRANS32_DEP_1)
	v_rcp_f32_e32 v25, v24
	v_nop
	v_fma_f32 v27, -v24, v25, 1.0
	s_delay_alu instid0(VALU_DEP_1) | instskip(NEXT) | instid1(VALU_DEP_1)
	v_fmac_f32_e32 v25, v27, v25
	v_mul_f32_e32 v27, v28, v25
	s_delay_alu instid0(VALU_DEP_1) | instskip(NEXT) | instid1(VALU_DEP_1)
	v_fma_f32 v29, -v24, v27, v28
	v_fmac_f32_e32 v27, v29, v25
	s_delay_alu instid0(VALU_DEP_1) | instskip(NEXT) | instid1(VALU_DEP_1)
	v_fma_f32 v24, -v24, v27, v28
	v_div_fmas_f32 v24, v24, v25, v27
	s_delay_alu instid0(VALU_DEP_1) | instskip(NEXT) | instid1(VALU_DEP_1)
	v_div_fixup_f32 v24, v24, v14, v15
	v_fma_f32 v27, v15, v24, v14
	s_delay_alu instid0(VALU_DEP_1) | instskip(SKIP_1) | instid1(VALU_DEP_2)
	v_div_scale_f32 v25, null, v27, v27, 1.0
	v_div_scale_f32 v30, vcc_lo, 1.0, v27, 1.0
	v_rcp_f32_e32 v32, v25
	v_nop
	s_delay_alu instid0(TRANS32_DEP_1) | instskip(NEXT) | instid1(VALU_DEP_1)
	v_fma_f32 v28, -v25, v32, 1.0
	v_fmac_f32_e32 v32, v28, v32
	s_delay_alu instid0(VALU_DEP_1) | instskip(NEXT) | instid1(VALU_DEP_1)
	v_mul_f32_e32 v33, v30, v32
	v_fma_f32 v28, -v25, v33, v30
	s_delay_alu instid0(VALU_DEP_1) | instskip(SKIP_1) | instid1(VALU_DEP_2)
	v_fmac_f32_e32 v33, v28, v32
	v_mov_b64_e32 v[28:29], s[12:13]
	v_fma_f32 v25, -v25, v33, v30
	v_mov_b64_e32 v[30:31], s[18:19]
	s_delay_alu instid0(VALU_DEP_2) | instskip(NEXT) | instid1(VALU_DEP_2)
	v_div_fmas_f32 v34, v25, v32, v33
	v_pk_fma_f32 v[32:33], v[24:25], v[30:31], v[28:29] op_sel_hi:[0,1,1] neg_lo:[1,0,0] neg_hi:[1,0,0]
	v_pk_fma_f32 v[24:25], v[24:25], v[30:31], v[28:29]
	s_delay_alu instid0(VALU_DEP_2) | instskip(NEXT) | instid1(VALU_DEP_4)
	v_mov_b32_e32 v25, v33
	v_div_fixup_f32 v28, v34, v27, 1.0
	s_delay_alu instid0(VALU_DEP_1)
	v_pk_mul_f32 v[24:25], v[24:25], v[28:29] op_sel_hi:[1,0]
.LBB63_9:                               ;   in Loop: Header=BB63_5 Depth=1
	s_and_not1_saveexec_b32 s35, s3
	s_cbranch_execz .LBB63_11
; %bb.10:                               ;   in Loop: Header=BB63_5 Depth=1
	v_div_scale_f32 v24, null, v1, v1, s13
	v_div_scale_f32 v25, null, v26, v26, s12
	v_div_scale_f32 v31, vcc_lo, s13, v1, s13
	s_delay_alu instid0(VALU_DEP_3) | instskip(NEXT) | instid1(VALU_DEP_2)
	v_rcp_f32_e32 v27, v24
	v_rcp_f32_e32 v28, v25
	s_delay_alu instid0(TRANS32_DEP_2) | instskip(NEXT) | instid1(TRANS32_DEP_1)
	v_fma_f32 v29, -v24, v27, 1.0
	v_fma_f32 v30, -v25, v28, 1.0
	s_delay_alu instid0(VALU_DEP_1) | instskip(SKIP_1) | instid1(VALU_DEP_1)
	v_dual_fmac_f32 v27, v29, v27 :: v_dual_fmac_f32 v28, v30, v28
	v_div_scale_f32 v29, s3, s12, v26, s12
	v_dual_mul_f32 v30, v31, v27 :: v_dual_mul_f32 v32, v29, v28
	s_delay_alu instid0(VALU_DEP_1) | instskip(NEXT) | instid1(VALU_DEP_1)
	v_dual_fma_f32 v33, -v24, v30, v31 :: v_dual_fma_f32 v34, -v25, v32, v29
	v_dual_fmac_f32 v30, v33, v27 :: v_dual_fmac_f32 v32, v34, v28
	s_delay_alu instid0(VALU_DEP_1) | instskip(NEXT) | instid1(VALU_DEP_1)
	v_dual_fma_f32 v24, -v24, v30, v31 :: v_dual_fma_f32 v25, -v25, v32, v29
	v_div_fmas_f32 v24, v24, v27, v30
	s_mov_b32 vcc_lo, s3
	s_delay_alu instid0(VALU_DEP_2) | instskip(NEXT) | instid1(VALU_DEP_2)
	v_div_fmas_f32 v27, v25, v28, v32
	v_div_fixup_f32 v25, v24, v1, s13
	s_delay_alu instid0(VALU_DEP_2)
	v_div_fixup_f32 v24, v27, v26, s12
.LBB63_11:                              ;   in Loop: Header=BB63_5 Depth=1
	s_or_b32 exec_lo, exec_lo, s35
.LBB63_12:                              ;   in Loop: Header=BB63_5 Depth=1
	s_and_not1_saveexec_b32 s3, s34
	s_cbranch_execz .LBB63_14
; %bb.13:                               ;   in Loop: Header=BB63_5 Depth=1
	v_div_scale_f32 v24, null, v15, v15, v14
	v_div_scale_f32 v28, vcc_lo, v14, v15, v14
	s_delay_alu instid0(VALU_DEP_2) | instskip(SKIP_1) | instid1(TRANS32_DEP_1)
	v_rcp_f32_e32 v25, v24
	v_nop
	v_fma_f32 v27, -v24, v25, 1.0
	s_delay_alu instid0(VALU_DEP_1) | instskip(NEXT) | instid1(VALU_DEP_1)
	v_fmac_f32_e32 v25, v27, v25
	v_mul_f32_e32 v27, v28, v25
	s_delay_alu instid0(VALU_DEP_1) | instskip(NEXT) | instid1(VALU_DEP_1)
	v_fma_f32 v29, -v24, v27, v28
	v_fmac_f32_e32 v27, v29, v25
	s_delay_alu instid0(VALU_DEP_1) | instskip(NEXT) | instid1(VALU_DEP_1)
	v_fma_f32 v24, -v24, v27, v28
	v_div_fmas_f32 v24, v24, v25, v27
	s_delay_alu instid0(VALU_DEP_1) | instskip(NEXT) | instid1(VALU_DEP_1)
	v_div_fixup_f32 v24, v24, v15, v14
	v_fma_f32 v27, v14, v24, v15
	s_delay_alu instid0(VALU_DEP_1) | instskip(SKIP_1) | instid1(VALU_DEP_2)
	v_div_scale_f32 v25, null, v27, v27, 1.0
	v_div_scale_f32 v30, vcc_lo, 1.0, v27, 1.0
	v_rcp_f32_e32 v32, v25
	v_nop
	s_delay_alu instid0(TRANS32_DEP_1) | instskip(NEXT) | instid1(VALU_DEP_1)
	v_fma_f32 v28, -v25, v32, 1.0
	v_fmac_f32_e32 v32, v28, v32
	s_delay_alu instid0(VALU_DEP_1) | instskip(NEXT) | instid1(VALU_DEP_1)
	v_mul_f32_e32 v33, v30, v32
	v_fma_f32 v28, -v25, v33, v30
	s_delay_alu instid0(VALU_DEP_1) | instskip(SKIP_1) | instid1(VALU_DEP_2)
	v_fmac_f32_e32 v33, v28, v32
	v_mov_b64_e32 v[28:29], s[18:19]
	v_fma_f32 v25, -v25, v33, v30
	v_mov_b64_e32 v[30:31], s[12:13]
	s_delay_alu instid0(VALU_DEP_2) | instskip(NEXT) | instid1(VALU_DEP_2)
	v_div_fmas_f32 v34, v25, v32, v33
	v_pk_fma_f32 v[32:33], v[24:25], v[30:31], v[28:29] op_sel_hi:[0,1,1] neg_lo:[0,0,1] neg_hi:[0,0,1]
	v_pk_fma_f32 v[24:25], v[24:25], v[30:31], v[28:29]
	s_delay_alu instid0(VALU_DEP_3) | instskip(NEXT) | instid1(VALU_DEP_3)
	v_div_fixup_f32 v28, v34, v27, 1.0
	v_mov_b32_e32 v25, v33
	s_delay_alu instid0(VALU_DEP_1)
	v_pk_mul_f32 v[24:25], v[24:25], v[28:29] op_sel_hi:[1,0]
.LBB63_14:                              ;   in Loop: Header=BB63_5 Depth=1
	s_or_b32 exec_lo, exec_lo, s3
	v_mov_b64_e32 v[28:29], s[20:21]
	v_mov_b64_e32 v[30:31], s[10:11]
	s_mov_b32 s3, 0
	s_delay_alu instid0(VALU_DEP_2) | instskip(NEXT) | instid1(VALU_DEP_2)
	v_pk_mul_f32 v[28:29], v[24:25], v[28:29] op_sel:[1,0]
	v_pk_mul_f32 v[32:33], v[24:25], v[30:31] op_sel_hi:[0,1]
	s_delay_alu instid0(VALU_DEP_2) | instskip(NEXT) | instid1(VALU_DEP_2)
	v_pk_fma_f32 v[24:25], v[24:25], v[30:31], v[28:29] op_sel_hi:[0,1,1]
	v_sub_f32_e32 v24, v32, v28
.LBB63_15:                              ;   in Loop: Header=BB63_5 Depth=1
	s_and_b32 vcc_lo, exec_lo, s3
	s_cbranch_vccz .LBB63_25
; %bb.16:                               ;   in Loop: Header=BB63_5 Depth=1
                                        ; implicit-def: $vgpr25
	s_and_saveexec_b32 s3, s2
	s_delay_alu instid0(SALU_CYCLE_1)
	s_xor_b32 s3, exec_lo, s3
	s_cbranch_execz .LBB63_22
; %bb.17:                               ;   in Loop: Header=BB63_5 Depth=1
	v_cmp_neq_f32_e32 vcc_lo, 0, v14
	v_cmp_neq_f32_e64 s2, 0, v15
                                        ; implicit-def: $vgpr25
	s_or_b32 s2, vcc_lo, s2
	s_delay_alu instid0(SALU_CYCLE_1) | instskip(NEXT) | instid1(SALU_CYCLE_1)
	s_and_saveexec_b32 s34, s2
	s_xor_b32 s2, exec_lo, s34
	s_cbranch_execz .LBB63_19
; %bb.18:                               ;   in Loop: Header=BB63_5 Depth=1
	v_div_scale_f32 v1, null, v14, v14, v15
	v_div_scale_f32 v26, vcc_lo, v15, v14, v15
	s_delay_alu instid0(VALU_DEP_2) | instskip(SKIP_1) | instid1(TRANS32_DEP_1)
	v_rcp_f32_e32 v24, v1
	v_nop
	v_fma_f32 v25, -v1, v24, 1.0
	s_delay_alu instid0(VALU_DEP_1) | instskip(NEXT) | instid1(VALU_DEP_1)
	v_fmac_f32_e32 v24, v25, v24
	v_mul_f32_e32 v25, v26, v24
	s_delay_alu instid0(VALU_DEP_1) | instskip(NEXT) | instid1(VALU_DEP_1)
	v_fma_f32 v27, -v1, v25, v26
	v_fmac_f32_e32 v25, v27, v24
	s_delay_alu instid0(VALU_DEP_1) | instskip(NEXT) | instid1(VALU_DEP_1)
	v_fma_f32 v1, -v1, v25, v26
	v_div_fmas_f32 v1, v1, v24, v25
	s_delay_alu instid0(VALU_DEP_1) | instskip(NEXT) | instid1(VALU_DEP_1)
	v_div_fixup_f32 v24, v1, v14, v15
	v_fma_f32 v1, v15, v24, v14
	s_delay_alu instid0(VALU_DEP_1) | instskip(SKIP_1) | instid1(VALU_DEP_2)
	v_div_scale_f32 v25, null, v1, v1, 1.0
	v_div_scale_f32 v28, vcc_lo, 1.0, v1, 1.0
	v_rcp_f32_e32 v30, v25
	v_nop
	s_delay_alu instid0(TRANS32_DEP_1) | instskip(NEXT) | instid1(VALU_DEP_1)
	v_fma_f32 v26, -v25, v30, 1.0
	v_fmac_f32_e32 v30, v26, v30
	s_delay_alu instid0(VALU_DEP_1) | instskip(NEXT) | instid1(VALU_DEP_1)
	v_mul_f32_e32 v31, v28, v30
	v_fma_f32 v26, -v25, v31, v28
	s_delay_alu instid0(VALU_DEP_1) | instskip(SKIP_1) | instid1(VALU_DEP_2)
	v_fmac_f32_e32 v31, v26, v30
	v_mov_b64_e32 v[26:27], s[12:13]
	v_fma_f32 v25, -v25, v31, v28
	v_mov_b64_e32 v[28:29], s[18:19]
	s_delay_alu instid0(VALU_DEP_2) | instskip(NEXT) | instid1(VALU_DEP_2)
	v_div_fmas_f32 v32, v25, v30, v31
	v_pk_fma_f32 v[30:31], v[24:25], v[28:29], v[26:27] op_sel_hi:[0,1,1] neg_lo:[1,0,0] neg_hi:[1,0,0]
	v_pk_fma_f32 v[24:25], v[24:25], v[28:29], v[26:27]
	s_delay_alu instid0(VALU_DEP_3) | instskip(NEXT) | instid1(VALU_DEP_3)
	v_div_fixup_f32 v26, v32, v1, 1.0
                                        ; implicit-def: $vgpr1
	v_mov_b32_e32 v25, v31
	s_delay_alu instid0(VALU_DEP_1)
	v_pk_mul_f32 v[24:25], v[24:25], v[26:27] op_sel_hi:[1,0]
                                        ; implicit-def: $vgpr26
.LBB63_19:                              ;   in Loop: Header=BB63_5 Depth=1
	s_and_not1_saveexec_b32 s34, s2
	s_cbranch_execz .LBB63_21
; %bb.20:                               ;   in Loop: Header=BB63_5 Depth=1
	v_div_scale_f32 v24, null, v26, v26, s12
	v_div_scale_f32 v25, null, v1, v1, s13
	v_div_scale_f32 v31, vcc_lo, s12, v26, s12
	s_delay_alu instid0(VALU_DEP_3) | instskip(NEXT) | instid1(VALU_DEP_2)
	v_rcp_f32_e32 v27, v24
	v_rcp_f32_e32 v28, v25
	s_delay_alu instid0(TRANS32_DEP_2) | instskip(NEXT) | instid1(TRANS32_DEP_1)
	v_fma_f32 v29, -v24, v27, 1.0
	v_fma_f32 v30, -v25, v28, 1.0
	s_delay_alu instid0(VALU_DEP_1) | instskip(SKIP_1) | instid1(VALU_DEP_1)
	v_dual_fmac_f32 v27, v29, v27 :: v_dual_fmac_f32 v28, v30, v28
	v_div_scale_f32 v29, s2, s13, v1, s13
	v_dual_mul_f32 v30, v31, v27 :: v_dual_mul_f32 v32, v29, v28
	s_delay_alu instid0(VALU_DEP_1) | instskip(NEXT) | instid1(VALU_DEP_1)
	v_dual_fma_f32 v33, -v24, v30, v31 :: v_dual_fma_f32 v34, -v25, v32, v29
	v_dual_fmac_f32 v30, v33, v27 :: v_dual_fmac_f32 v32, v34, v28
	s_delay_alu instid0(VALU_DEP_1) | instskip(NEXT) | instid1(VALU_DEP_1)
	v_dual_fma_f32 v24, -v24, v30, v31 :: v_dual_fma_f32 v25, -v25, v32, v29
	v_div_fmas_f32 v24, v24, v27, v30
	s_mov_b32 vcc_lo, s2
	s_delay_alu instid0(VALU_DEP_2) | instskip(NEXT) | instid1(VALU_DEP_2)
	v_div_fmas_f32 v25, v25, v28, v32
	v_div_fixup_f32 v24, v24, v26, s12
	s_delay_alu instid0(VALU_DEP_2)
	v_div_fixup_f32 v25, v25, v1, s13
.LBB63_21:                              ;   in Loop: Header=BB63_5 Depth=1
	s_or_b32 exec_lo, exec_lo, s34
.LBB63_22:                              ;   in Loop: Header=BB63_5 Depth=1
	s_and_not1_saveexec_b32 s2, s3
	s_cbranch_execz .LBB63_24
; %bb.23:                               ;   in Loop: Header=BB63_5 Depth=1
	v_div_scale_f32 v1, null, v15, v15, v14
	v_div_scale_f32 v26, vcc_lo, v14, v15, v14
	s_delay_alu instid0(VALU_DEP_2) | instskip(SKIP_1) | instid1(TRANS32_DEP_1)
	v_rcp_f32_e32 v24, v1
	v_nop
	v_fma_f32 v25, -v1, v24, 1.0
	s_delay_alu instid0(VALU_DEP_1) | instskip(NEXT) | instid1(VALU_DEP_1)
	v_fmac_f32_e32 v24, v25, v24
	v_mul_f32_e32 v25, v26, v24
	s_delay_alu instid0(VALU_DEP_1) | instskip(NEXT) | instid1(VALU_DEP_1)
	v_fma_f32 v27, -v1, v25, v26
	v_fmac_f32_e32 v25, v27, v24
	s_delay_alu instid0(VALU_DEP_1) | instskip(NEXT) | instid1(VALU_DEP_1)
	v_fma_f32 v1, -v1, v25, v26
	v_div_fmas_f32 v1, v1, v24, v25
	s_delay_alu instid0(VALU_DEP_1) | instskip(NEXT) | instid1(VALU_DEP_1)
	v_div_fixup_f32 v24, v1, v15, v14
	v_fma_f32 v1, v14, v24, v15
	s_delay_alu instid0(VALU_DEP_1) | instskip(SKIP_1) | instid1(VALU_DEP_2)
	v_div_scale_f32 v25, null, v1, v1, 1.0
	v_div_scale_f32 v26, vcc_lo, 1.0, v1, 1.0
	v_rcp_f32_e32 v28, v25
	v_nop
	s_delay_alu instid0(TRANS32_DEP_1) | instskip(NEXT) | instid1(VALU_DEP_1)
	v_fma_f32 v14, -v25, v28, 1.0
	v_fmac_f32_e32 v28, v14, v28
	s_delay_alu instid0(VALU_DEP_1) | instskip(NEXT) | instid1(VALU_DEP_1)
	v_mul_f32_e32 v29, v26, v28
	v_fma_f32 v14, -v25, v29, v26
	s_delay_alu instid0(VALU_DEP_1) | instskip(SKIP_1) | instid1(VALU_DEP_2)
	v_fmac_f32_e32 v29, v14, v28
	v_mov_b64_e32 v[14:15], s[18:19]
	v_fma_f32 v25, -v25, v29, v26
	v_mov_b64_e32 v[26:27], s[12:13]
	s_delay_alu instid0(VALU_DEP_2) | instskip(NEXT) | instid1(VALU_DEP_1)
	v_div_fmas_f32 v25, v25, v28, v29
	v_pk_fma_f32 v[28:29], v[24:25], v[26:27], v[14:15] op_sel_hi:[0,1,1] neg_lo:[0,0,1] neg_hi:[0,0,1]
	v_pk_fma_f32 v[14:15], v[24:25], v[26:27], v[14:15]
	v_div_fixup_f32 v24, v25, v1, 1.0
	s_delay_alu instid0(VALU_DEP_3) | instskip(NEXT) | instid1(VALU_DEP_1)
	v_mov_b32_e32 v15, v29
	v_pk_mul_f32 v[24:25], v[14:15], v[24:25] op_sel_hi:[1,0]
.LBB63_24:                              ;   in Loop: Header=BB63_5 Depth=1
	s_or_b32 exec_lo, exec_lo, s2
.LBB63_25:                              ;   in Loop: Header=BB63_5 Depth=1
	v_cmp_gt_f32_e32 vcc_lo, 0, v17
	s_mov_b32 s3, -1
                                        ; implicit-def: $vgpr27
	v_cndmask_b32_e64 v1, v17, -v17, vcc_lo
	v_cmp_gt_f32_e32 vcc_lo, 0, v16
	v_cndmask_b32_e64 v28, v16, -v16, vcc_lo
	s_and_not1_b32 vcc_lo, exec_lo, s33
	s_delay_alu instid0(VALU_DEP_1)
	v_cmp_ge_f32_e64 s2, v28, v1
	s_cbranch_vccnz .LBB63_35
; %bb.26:                               ;   in Loop: Header=BB63_5 Depth=1
                                        ; implicit-def: $vgpr14_vgpr15
	s_and_saveexec_b32 s3, s2
	s_delay_alu instid0(SALU_CYCLE_1)
	s_xor_b32 s34, exec_lo, s3
	s_cbranch_execz .LBB63_32
; %bb.27:                               ;   in Loop: Header=BB63_5 Depth=1
	v_cmp_neq_f32_e32 vcc_lo, 0, v16
	v_cmp_neq_f32_e64 s3, 0, v17
                                        ; implicit-def: $vgpr14_vgpr15
	s_or_b32 s3, vcc_lo, s3
	s_delay_alu instid0(SALU_CYCLE_1) | instskip(NEXT) | instid1(SALU_CYCLE_1)
	s_and_saveexec_b32 s35, s3
	s_xor_b32 s3, exec_lo, s35
	s_cbranch_execz .LBB63_29
; %bb.28:                               ;   in Loop: Header=BB63_5 Depth=1
	v_div_scale_f32 v14, null, v16, v16, v17
	v_div_scale_f32 v27, vcc_lo, v17, v16, v17
	s_delay_alu instid0(VALU_DEP_2) | instskip(SKIP_1) | instid1(TRANS32_DEP_1)
	v_rcp_f32_e32 v15, v14
	v_nop
	v_fma_f32 v26, -v14, v15, 1.0
	s_delay_alu instid0(VALU_DEP_1) | instskip(NEXT) | instid1(VALU_DEP_1)
	v_fmac_f32_e32 v15, v26, v15
	v_mul_f32_e32 v26, v27, v15
	s_delay_alu instid0(VALU_DEP_1) | instskip(NEXT) | instid1(VALU_DEP_1)
	v_fma_f32 v29, -v14, v26, v27
	v_fmac_f32_e32 v26, v29, v15
	s_delay_alu instid0(VALU_DEP_1) | instskip(NEXT) | instid1(VALU_DEP_1)
	v_fma_f32 v14, -v14, v26, v27
	v_div_fmas_f32 v14, v14, v15, v26
	s_delay_alu instid0(VALU_DEP_1) | instskip(NEXT) | instid1(VALU_DEP_1)
	v_div_fixup_f32 v14, v14, v16, v17
	v_fma_f32 v29, v17, v14, v16
	s_delay_alu instid0(VALU_DEP_1) | instskip(SKIP_1) | instid1(VALU_DEP_2)
	v_div_scale_f32 v15, null, v29, v29, 1.0
	v_div_scale_f32 v30, vcc_lo, 1.0, v29, 1.0
	v_rcp_f32_e32 v32, v15
	v_nop
	s_delay_alu instid0(TRANS32_DEP_1) | instskip(NEXT) | instid1(VALU_DEP_1)
	v_fma_f32 v26, -v15, v32, 1.0
	v_fmac_f32_e32 v32, v26, v32
	s_delay_alu instid0(VALU_DEP_1) | instskip(NEXT) | instid1(VALU_DEP_1)
	v_mul_f32_e32 v33, v30, v32
	v_fma_f32 v26, -v15, v33, v30
	s_delay_alu instid0(VALU_DEP_1) | instskip(SKIP_1) | instid1(VALU_DEP_2)
	v_fmac_f32_e32 v33, v26, v32
	v_mov_b64_e32 v[26:27], s[12:13]
	v_fma_f32 v15, -v15, v33, v30
	v_mov_b64_e32 v[30:31], s[18:19]
	s_delay_alu instid0(VALU_DEP_2) | instskip(NEXT) | instid1(VALU_DEP_2)
	v_div_fmas_f32 v34, v15, v32, v33
	v_pk_fma_f32 v[32:33], v[14:15], v[30:31], v[26:27] op_sel_hi:[0,1,1] neg_lo:[1,0,0] neg_hi:[1,0,0]
	v_pk_fma_f32 v[14:15], v[14:15], v[30:31], v[26:27]
	s_delay_alu instid0(VALU_DEP_3) | instskip(NEXT) | instid1(VALU_DEP_3)
	v_div_fixup_f32 v26, v34, v29, 1.0
	v_mov_b32_e32 v15, v33
	s_delay_alu instid0(VALU_DEP_1)
	v_pk_mul_f32 v[14:15], v[14:15], v[26:27] op_sel_hi:[1,0]
.LBB63_29:                              ;   in Loop: Header=BB63_5 Depth=1
	s_and_not1_saveexec_b32 s35, s3
	s_cbranch_execz .LBB63_31
; %bb.30:                               ;   in Loop: Header=BB63_5 Depth=1
	v_div_scale_f32 v14, null, v1, v1, s13
	v_div_scale_f32 v15, null, v28, v28, s12
	v_div_scale_f32 v31, vcc_lo, s13, v1, s13
	s_delay_alu instid0(VALU_DEP_3) | instskip(NEXT) | instid1(VALU_DEP_2)
	v_rcp_f32_e32 v26, v14
	v_rcp_f32_e32 v27, v15
	s_delay_alu instid0(TRANS32_DEP_2) | instskip(NEXT) | instid1(TRANS32_DEP_1)
	v_fma_f32 v29, -v14, v26, 1.0
	v_fma_f32 v30, -v15, v27, 1.0
	s_delay_alu instid0(VALU_DEP_1) | instskip(SKIP_1) | instid1(VALU_DEP_1)
	v_dual_fmac_f32 v26, v29, v26 :: v_dual_fmac_f32 v27, v30, v27
	v_div_scale_f32 v29, s3, s12, v28, s12
	v_dual_mul_f32 v30, v31, v26 :: v_dual_mul_f32 v32, v29, v27
	s_delay_alu instid0(VALU_DEP_1) | instskip(NEXT) | instid1(VALU_DEP_1)
	v_dual_fma_f32 v33, -v14, v30, v31 :: v_dual_fma_f32 v34, -v15, v32, v29
	v_dual_fmac_f32 v30, v33, v26 :: v_dual_fmac_f32 v32, v34, v27
	s_delay_alu instid0(VALU_DEP_1) | instskip(NEXT) | instid1(VALU_DEP_1)
	v_dual_fma_f32 v14, -v14, v30, v31 :: v_dual_fma_f32 v15, -v15, v32, v29
	v_div_fmas_f32 v14, v14, v26, v30
	s_mov_b32 vcc_lo, s3
	s_delay_alu instid0(VALU_DEP_2) | instskip(NEXT) | instid1(VALU_DEP_2)
	v_div_fmas_f32 v26, v15, v27, v32
	v_div_fixup_f32 v15, v14, v1, s13
	s_delay_alu instid0(VALU_DEP_2)
	v_div_fixup_f32 v14, v26, v28, s12
.LBB63_31:                              ;   in Loop: Header=BB63_5 Depth=1
	s_or_b32 exec_lo, exec_lo, s35
.LBB63_32:                              ;   in Loop: Header=BB63_5 Depth=1
	s_and_not1_saveexec_b32 s3, s34
	s_cbranch_execz .LBB63_34
; %bb.33:                               ;   in Loop: Header=BB63_5 Depth=1
	v_div_scale_f32 v14, null, v17, v17, v16
	v_div_scale_f32 v27, vcc_lo, v16, v17, v16
	s_delay_alu instid0(VALU_DEP_2) | instskip(SKIP_1) | instid1(TRANS32_DEP_1)
	v_rcp_f32_e32 v15, v14
	v_nop
	v_fma_f32 v26, -v14, v15, 1.0
	s_delay_alu instid0(VALU_DEP_1) | instskip(NEXT) | instid1(VALU_DEP_1)
	v_fmac_f32_e32 v15, v26, v15
	v_mul_f32_e32 v26, v27, v15
	s_delay_alu instid0(VALU_DEP_1) | instskip(NEXT) | instid1(VALU_DEP_1)
	v_fma_f32 v29, -v14, v26, v27
	v_fmac_f32_e32 v26, v29, v15
	s_delay_alu instid0(VALU_DEP_1) | instskip(NEXT) | instid1(VALU_DEP_1)
	v_fma_f32 v14, -v14, v26, v27
	v_div_fmas_f32 v14, v14, v15, v26
	s_delay_alu instid0(VALU_DEP_1) | instskip(NEXT) | instid1(VALU_DEP_1)
	v_div_fixup_f32 v14, v14, v17, v16
	v_fma_f32 v29, v16, v14, v17
	s_delay_alu instid0(VALU_DEP_1) | instskip(SKIP_1) | instid1(VALU_DEP_2)
	v_div_scale_f32 v15, null, v29, v29, 1.0
	v_div_scale_f32 v30, vcc_lo, 1.0, v29, 1.0
	v_rcp_f32_e32 v32, v15
	v_nop
	s_delay_alu instid0(TRANS32_DEP_1) | instskip(NEXT) | instid1(VALU_DEP_1)
	v_fma_f32 v26, -v15, v32, 1.0
	v_fmac_f32_e32 v32, v26, v32
	s_delay_alu instid0(VALU_DEP_1) | instskip(NEXT) | instid1(VALU_DEP_1)
	v_mul_f32_e32 v33, v30, v32
	v_fma_f32 v26, -v15, v33, v30
	s_delay_alu instid0(VALU_DEP_1) | instskip(SKIP_1) | instid1(VALU_DEP_2)
	v_fmac_f32_e32 v33, v26, v32
	v_mov_b64_e32 v[26:27], s[18:19]
	v_fma_f32 v15, -v15, v33, v30
	v_mov_b64_e32 v[30:31], s[12:13]
	s_delay_alu instid0(VALU_DEP_2) | instskip(NEXT) | instid1(VALU_DEP_2)
	v_div_fmas_f32 v34, v15, v32, v33
	v_pk_fma_f32 v[32:33], v[14:15], v[30:31], v[26:27] op_sel_hi:[0,1,1] neg_lo:[0,0,1] neg_hi:[0,0,1]
	v_pk_fma_f32 v[14:15], v[14:15], v[30:31], v[26:27]
	s_delay_alu instid0(VALU_DEP_3) | instskip(NEXT) | instid1(VALU_DEP_3)
	v_div_fixup_f32 v26, v34, v29, 1.0
	v_mov_b32_e32 v15, v33
	s_delay_alu instid0(VALU_DEP_1)
	v_pk_mul_f32 v[14:15], v[14:15], v[26:27] op_sel_hi:[1,0]
.LBB63_34:                              ;   in Loop: Header=BB63_5 Depth=1
	s_or_b32 exec_lo, exec_lo, s3
	v_mov_b64_e32 v[26:27], s[20:21]
	v_mov_b64_e32 v[30:31], s[10:11]
	s_mov_b32 s3, 0
	s_delay_alu instid0(VALU_DEP_2) | instskip(NEXT) | instid1(VALU_DEP_2)
	v_pk_mul_f32 v[32:33], v[14:15], v[26:27] op_sel:[1,0]
	v_pk_mul_f32 v[34:35], v[14:15], v[30:31] op_sel_hi:[0,1]
	s_delay_alu instid0(VALU_DEP_2) | instskip(NEXT) | instid1(VALU_DEP_2)
	v_pk_fma_f32 v[26:27], v[14:15], v[30:31], v[32:33] op_sel_hi:[0,1,1]
	v_sub_f32_e32 v26, v34, v32
.LBB63_35:                              ;   in Loop: Header=BB63_5 Depth=1
	s_and_b32 vcc_lo, exec_lo, s3
	s_cbranch_vccz .LBB63_45
; %bb.36:                               ;   in Loop: Header=BB63_5 Depth=1
                                        ; implicit-def: $vgpr27
	s_and_saveexec_b32 s3, s2
	s_delay_alu instid0(SALU_CYCLE_1)
	s_xor_b32 s3, exec_lo, s3
	s_cbranch_execz .LBB63_42
; %bb.37:                               ;   in Loop: Header=BB63_5 Depth=1
	v_cmp_neq_f32_e32 vcc_lo, 0, v16
	v_cmp_neq_f32_e64 s2, 0, v17
                                        ; implicit-def: $vgpr27
	s_or_b32 s2, vcc_lo, s2
	s_delay_alu instid0(SALU_CYCLE_1) | instskip(NEXT) | instid1(SALU_CYCLE_1)
	s_and_saveexec_b32 s34, s2
	s_xor_b32 s2, exec_lo, s34
	s_cbranch_execz .LBB63_39
; %bb.38:                               ;   in Loop: Header=BB63_5 Depth=1
	v_div_scale_f32 v1, null, v16, v16, v17
	v_div_scale_f32 v26, vcc_lo, v17, v16, v17
	s_delay_alu instid0(VALU_DEP_2) | instskip(SKIP_1) | instid1(TRANS32_DEP_1)
	v_rcp_f32_e32 v14, v1
	v_nop
	v_fma_f32 v15, -v1, v14, 1.0
	s_delay_alu instid0(VALU_DEP_1) | instskip(NEXT) | instid1(VALU_DEP_1)
	v_fmac_f32_e32 v14, v15, v14
	v_mul_f32_e32 v15, v26, v14
	s_delay_alu instid0(VALU_DEP_1) | instskip(NEXT) | instid1(VALU_DEP_1)
	v_fma_f32 v27, -v1, v15, v26
	v_fmac_f32_e32 v15, v27, v14
	s_delay_alu instid0(VALU_DEP_1) | instskip(NEXT) | instid1(VALU_DEP_1)
	v_fma_f32 v1, -v1, v15, v26
	v_div_fmas_f32 v1, v1, v14, v15
	s_delay_alu instid0(VALU_DEP_1) | instskip(NEXT) | instid1(VALU_DEP_1)
	v_div_fixup_f32 v14, v1, v16, v17
	v_fmac_f32_e32 v16, v17, v14
	s_delay_alu instid0(VALU_DEP_1) | instskip(SKIP_1) | instid1(VALU_DEP_2)
	v_div_scale_f32 v1, null, v16, v16, 1.0
	v_div_scale_f32 v28, vcc_lo, 1.0, v16, 1.0
	v_rcp_f32_e32 v15, v1
	v_nop
	s_delay_alu instid0(TRANS32_DEP_1) | instskip(NEXT) | instid1(VALU_DEP_1)
	v_fma_f32 v17, -v1, v15, 1.0
	v_fmac_f32_e32 v15, v17, v15
	s_delay_alu instid0(VALU_DEP_1) | instskip(NEXT) | instid1(VALU_DEP_1)
	v_mul_f32_e32 v17, v28, v15
	v_fma_f32 v26, -v1, v17, v28
	s_delay_alu instid0(VALU_DEP_1) | instskip(SKIP_1) | instid1(VALU_DEP_2)
	v_fmac_f32_e32 v17, v26, v15
	v_mov_b64_e32 v[26:27], s[12:13]
	v_fma_f32 v1, -v1, v17, v28
	v_mov_b64_e32 v[28:29], s[18:19]
	s_delay_alu instid0(VALU_DEP_2) | instskip(NEXT) | instid1(VALU_DEP_2)
	v_div_fmas_f32 v1, v1, v15, v17
	v_pk_fma_f32 v[30:31], v[14:15], v[28:29], v[26:27] op_sel_hi:[0,1,1] neg_lo:[1,0,0] neg_hi:[1,0,0]
	v_pk_fma_f32 v[14:15], v[14:15], v[28:29], v[26:27]
	s_delay_alu instid0(VALU_DEP_3) | instskip(NEXT) | instid1(VALU_DEP_3)
	v_div_fixup_f32 v16, v1, v16, 1.0
                                        ; implicit-def: $vgpr28
                                        ; implicit-def: $vgpr1
	v_mov_b32_e32 v15, v31
	s_delay_alu instid0(VALU_DEP_1)
	v_pk_mul_f32 v[26:27], v[14:15], v[16:17] op_sel_hi:[1,0]
.LBB63_39:                              ;   in Loop: Header=BB63_5 Depth=1
	s_and_not1_saveexec_b32 s34, s2
	s_cbranch_execz .LBB63_41
; %bb.40:                               ;   in Loop: Header=BB63_5 Depth=1
	v_div_scale_f32 v14, null, v28, v28, s12
	v_div_scale_f32 v15, null, v1, v1, s13
	v_div_scale_f32 v29, vcc_lo, s12, v28, s12
	s_delay_alu instid0(VALU_DEP_3) | instskip(NEXT) | instid1(VALU_DEP_2)
	v_rcp_f32_e32 v16, v14
	v_rcp_f32_e32 v17, v15
	s_delay_alu instid0(TRANS32_DEP_2) | instskip(NEXT) | instid1(TRANS32_DEP_1)
	v_fma_f32 v26, -v14, v16, 1.0
	v_fma_f32 v27, -v15, v17, 1.0
	s_delay_alu instid0(VALU_DEP_1) | instskip(SKIP_1) | instid1(VALU_DEP_1)
	v_dual_fmac_f32 v16, v26, v16 :: v_dual_fmac_f32 v17, v27, v17
	v_div_scale_f32 v26, s2, s13, v1, s13
	v_dual_mul_f32 v27, v29, v16 :: v_dual_mul_f32 v30, v26, v17
	s_delay_alu instid0(VALU_DEP_1) | instskip(NEXT) | instid1(VALU_DEP_1)
	v_dual_fma_f32 v31, -v14, v27, v29 :: v_dual_fma_f32 v32, -v15, v30, v26
	v_dual_fmac_f32 v27, v31, v16 :: v_dual_fmac_f32 v30, v32, v17
	s_delay_alu instid0(VALU_DEP_1) | instskip(NEXT) | instid1(VALU_DEP_1)
	v_dual_fma_f32 v14, -v14, v27, v29 :: v_dual_fma_f32 v15, -v15, v30, v26
	v_div_fmas_f32 v14, v14, v16, v27
	s_mov_b32 vcc_lo, s2
	s_delay_alu instid0(VALU_DEP_2) | instskip(NEXT) | instid1(VALU_DEP_2)
	v_div_fmas_f32 v15, v15, v17, v30
	v_div_fixup_f32 v26, v14, v28, s12
	s_delay_alu instid0(VALU_DEP_2)
	v_div_fixup_f32 v27, v15, v1, s13
.LBB63_41:                              ;   in Loop: Header=BB63_5 Depth=1
	s_or_b32 exec_lo, exec_lo, s34
                                        ; implicit-def: $vgpr14_vgpr15_vgpr16_vgpr17
.LBB63_42:                              ;   in Loop: Header=BB63_5 Depth=1
	s_and_not1_saveexec_b32 s2, s3
	s_cbranch_execz .LBB63_44
; %bb.43:                               ;   in Loop: Header=BB63_5 Depth=1
	v_div_scale_f32 v1, null, v17, v17, v16
	v_div_scale_f32 v26, vcc_lo, v16, v17, v16
	s_delay_alu instid0(VALU_DEP_2) | instskip(SKIP_1) | instid1(TRANS32_DEP_1)
	v_rcp_f32_e32 v14, v1
	v_nop
	v_fma_f32 v15, -v1, v14, 1.0
	s_delay_alu instid0(VALU_DEP_1) | instskip(NEXT) | instid1(VALU_DEP_1)
	v_fmac_f32_e32 v14, v15, v14
	v_mul_f32_e32 v15, v26, v14
	s_delay_alu instid0(VALU_DEP_1) | instskip(NEXT) | instid1(VALU_DEP_1)
	v_fma_f32 v27, -v1, v15, v26
	v_fmac_f32_e32 v15, v27, v14
	s_delay_alu instid0(VALU_DEP_1) | instskip(NEXT) | instid1(VALU_DEP_1)
	v_fma_f32 v1, -v1, v15, v26
	v_div_fmas_f32 v1, v1, v14, v15
	s_delay_alu instid0(VALU_DEP_1) | instskip(NEXT) | instid1(VALU_DEP_1)
	v_div_fixup_f32 v14, v1, v17, v16
	v_fmac_f32_e32 v17, v16, v14
	s_delay_alu instid0(VALU_DEP_1) | instskip(SKIP_1) | instid1(VALU_DEP_2)
	v_div_scale_f32 v1, null, v17, v17, 1.0
	v_div_scale_f32 v28, vcc_lo, 1.0, v17, 1.0
	v_rcp_f32_e32 v15, v1
	v_nop
	s_delay_alu instid0(TRANS32_DEP_1) | instskip(NEXT) | instid1(VALU_DEP_1)
	v_fma_f32 v16, -v1, v15, 1.0
	v_fmac_f32_e32 v15, v16, v15
	s_delay_alu instid0(VALU_DEP_1) | instskip(NEXT) | instid1(VALU_DEP_1)
	v_mul_f32_e32 v16, v28, v15
	v_fma_f32 v26, -v1, v16, v28
	s_delay_alu instid0(VALU_DEP_1) | instskip(SKIP_1) | instid1(VALU_DEP_2)
	v_fmac_f32_e32 v16, v26, v15
	v_mov_b64_e32 v[26:27], s[18:19]
	v_fma_f32 v1, -v1, v16, v28
	v_mov_b64_e32 v[28:29], s[12:13]
	s_delay_alu instid0(VALU_DEP_2) | instskip(NEXT) | instid1(VALU_DEP_2)
	v_div_fmas_f32 v1, v1, v15, v16
	v_pk_fma_f32 v[30:31], v[14:15], v[28:29], v[26:27] op_sel_hi:[0,1,1] neg_lo:[0,0,1] neg_hi:[0,0,1]
	v_pk_fma_f32 v[14:15], v[14:15], v[28:29], v[26:27]
	s_delay_alu instid0(VALU_DEP_3) | instskip(NEXT) | instid1(VALU_DEP_3)
	v_div_fixup_f32 v16, v1, v17, 1.0
	v_mov_b32_e32 v15, v31
	s_delay_alu instid0(VALU_DEP_1)
	v_pk_mul_f32 v[26:27], v[14:15], v[16:17] op_sel_hi:[1,0]
.LBB63_44:                              ;   in Loop: Header=BB63_5 Depth=1
	s_or_b32 exec_lo, exec_lo, s2
.LBB63_45:                              ;   in Loop: Header=BB63_5 Depth=1
	s_wait_loadcnt 0x2
	v_cmp_gt_f32_e32 vcc_lo, 0, v11
	s_mov_b32 s3, -1
                                        ; implicit-def: $vgpr15
	v_cndmask_b32_e64 v1, v11, -v11, vcc_lo
	v_cmp_gt_f32_e32 vcc_lo, 0, v10
	v_cndmask_b32_e64 v16, v10, -v10, vcc_lo
	s_and_not1_b32 vcc_lo, exec_lo, s33
	s_delay_alu instid0(VALU_DEP_1)
	v_cmp_ge_f32_e64 s2, v16, v1
	s_cbranch_vccnz .LBB63_55
; %bb.46:                               ;   in Loop: Header=BB63_5 Depth=1
                                        ; implicit-def: $vgpr14_vgpr15
	s_and_saveexec_b32 s3, s2
	s_delay_alu instid0(SALU_CYCLE_1)
	s_xor_b32 s34, exec_lo, s3
	s_cbranch_execz .LBB63_52
; %bb.47:                               ;   in Loop: Header=BB63_5 Depth=1
	v_cmp_neq_f32_e32 vcc_lo, 0, v10
	v_cmp_neq_f32_e64 s3, 0, v11
                                        ; implicit-def: $vgpr14_vgpr15
	s_or_b32 s3, vcc_lo, s3
	s_delay_alu instid0(SALU_CYCLE_1) | instskip(NEXT) | instid1(SALU_CYCLE_1)
	s_and_saveexec_b32 s35, s3
	s_xor_b32 s3, exec_lo, s35
	s_cbranch_execz .LBB63_49
; %bb.48:                               ;   in Loop: Header=BB63_5 Depth=1
	v_div_scale_f32 v14, null, v10, v10, v11
	v_div_scale_f32 v28, vcc_lo, v11, v10, v11
	s_delay_alu instid0(VALU_DEP_2) | instskip(SKIP_1) | instid1(TRANS32_DEP_1)
	v_rcp_f32_e32 v15, v14
	v_nop
	v_fma_f32 v17, -v14, v15, 1.0
	s_delay_alu instid0(VALU_DEP_1) | instskip(NEXT) | instid1(VALU_DEP_1)
	v_fmac_f32_e32 v15, v17, v15
	v_mul_f32_e32 v17, v28, v15
	s_delay_alu instid0(VALU_DEP_1) | instskip(NEXT) | instid1(VALU_DEP_1)
	v_fma_f32 v29, -v14, v17, v28
	v_fmac_f32_e32 v17, v29, v15
	s_delay_alu instid0(VALU_DEP_1) | instskip(NEXT) | instid1(VALU_DEP_1)
	v_fma_f32 v14, -v14, v17, v28
	v_div_fmas_f32 v14, v14, v15, v17
	s_delay_alu instid0(VALU_DEP_1) | instskip(NEXT) | instid1(VALU_DEP_1)
	v_div_fixup_f32 v14, v14, v10, v11
	v_fma_f32 v17, v11, v14, v10
	s_delay_alu instid0(VALU_DEP_1) | instskip(SKIP_1) | instid1(VALU_DEP_2)
	v_div_scale_f32 v15, null, v17, v17, 1.0
	v_div_scale_f32 v30, vcc_lo, 1.0, v17, 1.0
	v_rcp_f32_e32 v32, v15
	v_nop
	s_delay_alu instid0(TRANS32_DEP_1) | instskip(NEXT) | instid1(VALU_DEP_1)
	v_fma_f32 v28, -v15, v32, 1.0
	v_fmac_f32_e32 v32, v28, v32
	s_delay_alu instid0(VALU_DEP_1) | instskip(NEXT) | instid1(VALU_DEP_1)
	v_mul_f32_e32 v33, v30, v32
	v_fma_f32 v28, -v15, v33, v30
	s_delay_alu instid0(VALU_DEP_1) | instskip(SKIP_1) | instid1(VALU_DEP_2)
	v_fmac_f32_e32 v33, v28, v32
	v_mov_b64_e32 v[28:29], s[12:13]
	v_fma_f32 v15, -v15, v33, v30
	v_mov_b64_e32 v[30:31], s[18:19]
	s_delay_alu instid0(VALU_DEP_2) | instskip(NEXT) | instid1(VALU_DEP_2)
	v_div_fmas_f32 v34, v15, v32, v33
	v_pk_fma_f32 v[32:33], v[14:15], v[30:31], v[28:29] op_sel_hi:[0,1,1] neg_lo:[1,0,0] neg_hi:[1,0,0]
	v_pk_fma_f32 v[14:15], v[14:15], v[30:31], v[28:29]
	s_delay_alu instid0(VALU_DEP_2) | instskip(NEXT) | instid1(VALU_DEP_4)
	v_mov_b32_e32 v15, v33
	v_div_fixup_f32 v28, v34, v17, 1.0
	s_delay_alu instid0(VALU_DEP_1)
	v_pk_mul_f32 v[14:15], v[14:15], v[28:29] op_sel_hi:[1,0]
.LBB63_49:                              ;   in Loop: Header=BB63_5 Depth=1
	s_and_not1_saveexec_b32 s35, s3
	s_cbranch_execz .LBB63_51
; %bb.50:                               ;   in Loop: Header=BB63_5 Depth=1
	v_div_scale_f32 v14, null, v1, v1, s13
	v_div_scale_f32 v15, null, v16, v16, s12
	v_div_scale_f32 v31, vcc_lo, s13, v1, s13
	s_delay_alu instid0(VALU_DEP_3) | instskip(NEXT) | instid1(VALU_DEP_2)
	v_rcp_f32_e32 v17, v14
	v_rcp_f32_e32 v28, v15
	s_delay_alu instid0(TRANS32_DEP_2) | instskip(NEXT) | instid1(TRANS32_DEP_1)
	v_fma_f32 v29, -v14, v17, 1.0
	v_fma_f32 v30, -v15, v28, 1.0
	s_delay_alu instid0(VALU_DEP_1) | instskip(SKIP_1) | instid1(VALU_DEP_1)
	v_dual_fmac_f32 v17, v29, v17 :: v_dual_fmac_f32 v28, v30, v28
	v_div_scale_f32 v29, s3, s12, v16, s12
	v_dual_mul_f32 v30, v31, v17 :: v_dual_mul_f32 v32, v29, v28
	s_delay_alu instid0(VALU_DEP_1) | instskip(NEXT) | instid1(VALU_DEP_1)
	v_dual_fma_f32 v33, -v14, v30, v31 :: v_dual_fma_f32 v34, -v15, v32, v29
	v_dual_fmac_f32 v30, v33, v17 :: v_dual_fmac_f32 v32, v34, v28
	s_delay_alu instid0(VALU_DEP_1) | instskip(NEXT) | instid1(VALU_DEP_1)
	v_dual_fma_f32 v14, -v14, v30, v31 :: v_dual_fma_f32 v15, -v15, v32, v29
	v_div_fmas_f32 v14, v14, v17, v30
	s_mov_b32 vcc_lo, s3
	s_delay_alu instid0(VALU_DEP_2) | instskip(NEXT) | instid1(VALU_DEP_2)
	v_div_fmas_f32 v17, v15, v28, v32
	v_div_fixup_f32 v15, v14, v1, s13
	s_delay_alu instid0(VALU_DEP_2)
	v_div_fixup_f32 v14, v17, v16, s12
.LBB63_51:                              ;   in Loop: Header=BB63_5 Depth=1
	s_or_b32 exec_lo, exec_lo, s35
.LBB63_52:                              ;   in Loop: Header=BB63_5 Depth=1
	s_and_not1_saveexec_b32 s3, s34
	s_cbranch_execz .LBB63_54
; %bb.53:                               ;   in Loop: Header=BB63_5 Depth=1
	v_div_scale_f32 v14, null, v11, v11, v10
	v_div_scale_f32 v28, vcc_lo, v10, v11, v10
	s_delay_alu instid0(VALU_DEP_2) | instskip(SKIP_1) | instid1(TRANS32_DEP_1)
	v_rcp_f32_e32 v15, v14
	v_nop
	v_fma_f32 v17, -v14, v15, 1.0
	s_delay_alu instid0(VALU_DEP_1) | instskip(NEXT) | instid1(VALU_DEP_1)
	v_fmac_f32_e32 v15, v17, v15
	v_mul_f32_e32 v17, v28, v15
	s_delay_alu instid0(VALU_DEP_1) | instskip(NEXT) | instid1(VALU_DEP_1)
	v_fma_f32 v29, -v14, v17, v28
	v_fmac_f32_e32 v17, v29, v15
	s_delay_alu instid0(VALU_DEP_1) | instskip(NEXT) | instid1(VALU_DEP_1)
	v_fma_f32 v14, -v14, v17, v28
	v_div_fmas_f32 v14, v14, v15, v17
	s_delay_alu instid0(VALU_DEP_1) | instskip(NEXT) | instid1(VALU_DEP_1)
	v_div_fixup_f32 v14, v14, v11, v10
	v_fma_f32 v17, v10, v14, v11
	s_delay_alu instid0(VALU_DEP_1) | instskip(SKIP_1) | instid1(VALU_DEP_2)
	v_div_scale_f32 v15, null, v17, v17, 1.0
	v_div_scale_f32 v30, vcc_lo, 1.0, v17, 1.0
	v_rcp_f32_e32 v32, v15
	v_nop
	s_delay_alu instid0(TRANS32_DEP_1) | instskip(NEXT) | instid1(VALU_DEP_1)
	v_fma_f32 v28, -v15, v32, 1.0
	v_fmac_f32_e32 v32, v28, v32
	s_delay_alu instid0(VALU_DEP_1) | instskip(NEXT) | instid1(VALU_DEP_1)
	v_mul_f32_e32 v33, v30, v32
	v_fma_f32 v28, -v15, v33, v30
	s_delay_alu instid0(VALU_DEP_1) | instskip(SKIP_1) | instid1(VALU_DEP_2)
	v_fmac_f32_e32 v33, v28, v32
	v_mov_b64_e32 v[28:29], s[18:19]
	v_fma_f32 v15, -v15, v33, v30
	v_mov_b64_e32 v[30:31], s[12:13]
	s_delay_alu instid0(VALU_DEP_2) | instskip(NEXT) | instid1(VALU_DEP_2)
	v_div_fmas_f32 v34, v15, v32, v33
	v_pk_fma_f32 v[32:33], v[14:15], v[30:31], v[28:29] op_sel_hi:[0,1,1] neg_lo:[0,0,1] neg_hi:[0,0,1]
	v_pk_fma_f32 v[14:15], v[14:15], v[30:31], v[28:29]
	s_delay_alu instid0(VALU_DEP_3) | instskip(NEXT) | instid1(VALU_DEP_3)
	v_div_fixup_f32 v28, v34, v17, 1.0
	v_mov_b32_e32 v15, v33
	s_delay_alu instid0(VALU_DEP_1)
	v_pk_mul_f32 v[14:15], v[14:15], v[28:29] op_sel_hi:[1,0]
.LBB63_54:                              ;   in Loop: Header=BB63_5 Depth=1
	s_or_b32 exec_lo, exec_lo, s3
	v_mov_b64_e32 v[28:29], s[20:21]
	v_mov_b64_e32 v[30:31], s[10:11]
	s_mov_b32 s3, 0
	s_delay_alu instid0(VALU_DEP_2) | instskip(NEXT) | instid1(VALU_DEP_2)
	v_pk_mul_f32 v[28:29], v[14:15], v[28:29] op_sel:[1,0]
	v_pk_mul_f32 v[32:33], v[14:15], v[30:31] op_sel_hi:[0,1]
	s_delay_alu instid0(VALU_DEP_2) | instskip(NEXT) | instid1(VALU_DEP_2)
	v_pk_fma_f32 v[14:15], v[14:15], v[30:31], v[28:29] op_sel_hi:[0,1,1]
	v_sub_f32_e32 v14, v32, v28
.LBB63_55:                              ;   in Loop: Header=BB63_5 Depth=1
	s_and_b32 vcc_lo, exec_lo, s3
	s_cbranch_vccz .LBB63_65
; %bb.56:                               ;   in Loop: Header=BB63_5 Depth=1
                                        ; implicit-def: $vgpr15
	s_and_saveexec_b32 s3, s2
	s_delay_alu instid0(SALU_CYCLE_1)
	s_xor_b32 s3, exec_lo, s3
	s_cbranch_execz .LBB63_62
; %bb.57:                               ;   in Loop: Header=BB63_5 Depth=1
	v_cmp_neq_f32_e32 vcc_lo, 0, v10
	v_cmp_neq_f32_e64 s2, 0, v11
                                        ; implicit-def: $vgpr15
	s_or_b32 s2, vcc_lo, s2
	s_delay_alu instid0(SALU_CYCLE_1) | instskip(NEXT) | instid1(SALU_CYCLE_1)
	s_and_saveexec_b32 s34, s2
	s_xor_b32 s2, exec_lo, s34
	s_cbranch_execz .LBB63_59
; %bb.58:                               ;   in Loop: Header=BB63_5 Depth=1
	v_div_scale_f32 v1, null, v10, v10, v11
	v_div_scale_f32 v16, vcc_lo, v11, v10, v11
	s_delay_alu instid0(VALU_DEP_2) | instskip(SKIP_1) | instid1(TRANS32_DEP_1)
	v_rcp_f32_e32 v14, v1
	v_nop
	v_fma_f32 v15, -v1, v14, 1.0
	s_delay_alu instid0(VALU_DEP_1) | instskip(NEXT) | instid1(VALU_DEP_1)
	v_fmac_f32_e32 v14, v15, v14
	v_mul_f32_e32 v15, v16, v14
	s_delay_alu instid0(VALU_DEP_1) | instskip(NEXT) | instid1(VALU_DEP_1)
	v_fma_f32 v17, -v1, v15, v16
	v_fmac_f32_e32 v15, v17, v14
	s_delay_alu instid0(VALU_DEP_1) | instskip(NEXT) | instid1(VALU_DEP_1)
	v_fma_f32 v1, -v1, v15, v16
	v_div_fmas_f32 v1, v1, v14, v15
	s_delay_alu instid0(VALU_DEP_1) | instskip(NEXT) | instid1(VALU_DEP_1)
	v_div_fixup_f32 v14, v1, v10, v11
	v_fma_f32 v1, v11, v14, v10
	s_delay_alu instid0(VALU_DEP_1) | instskip(SKIP_1) | instid1(VALU_DEP_2)
	v_div_scale_f32 v15, null, v1, v1, 1.0
	v_div_scale_f32 v28, vcc_lo, 1.0, v1, 1.0
	v_rcp_f32_e32 v30, v15
	v_nop
	s_delay_alu instid0(TRANS32_DEP_1) | instskip(NEXT) | instid1(VALU_DEP_1)
	v_fma_f32 v16, -v15, v30, 1.0
	v_fmac_f32_e32 v30, v16, v30
	s_delay_alu instid0(VALU_DEP_1) | instskip(NEXT) | instid1(VALU_DEP_1)
	v_mul_f32_e32 v31, v28, v30
	v_fma_f32 v16, -v15, v31, v28
	s_delay_alu instid0(VALU_DEP_1) | instskip(SKIP_1) | instid1(VALU_DEP_2)
	v_fmac_f32_e32 v31, v16, v30
	v_mov_b64_e32 v[16:17], s[12:13]
	v_fma_f32 v15, -v15, v31, v28
	v_mov_b64_e32 v[28:29], s[18:19]
	s_delay_alu instid0(VALU_DEP_2) | instskip(NEXT) | instid1(VALU_DEP_2)
	v_div_fmas_f32 v32, v15, v30, v31
	v_pk_fma_f32 v[30:31], v[14:15], v[28:29], v[16:17] op_sel_hi:[0,1,1] neg_lo:[1,0,0] neg_hi:[1,0,0]
	v_pk_fma_f32 v[14:15], v[14:15], v[28:29], v[16:17]
	s_delay_alu instid0(VALU_DEP_3) | instskip(NEXT) | instid1(VALU_DEP_3)
	v_div_fixup_f32 v16, v32, v1, 1.0
                                        ; implicit-def: $vgpr1
	v_mov_b32_e32 v15, v31
	s_delay_alu instid0(VALU_DEP_1)
	v_pk_mul_f32 v[14:15], v[14:15], v[16:17] op_sel_hi:[1,0]
                                        ; implicit-def: $vgpr16
.LBB63_59:                              ;   in Loop: Header=BB63_5 Depth=1
	s_and_not1_saveexec_b32 s34, s2
	s_cbranch_execz .LBB63_61
; %bb.60:                               ;   in Loop: Header=BB63_5 Depth=1
	v_div_scale_f32 v14, null, v16, v16, s12
	v_div_scale_f32 v15, null, v1, v1, s13
	v_div_scale_f32 v31, vcc_lo, s12, v16, s12
	s_delay_alu instid0(VALU_DEP_3) | instskip(NEXT) | instid1(VALU_DEP_2)
	v_rcp_f32_e32 v17, v14
	v_rcp_f32_e32 v28, v15
	s_delay_alu instid0(TRANS32_DEP_2) | instskip(NEXT) | instid1(TRANS32_DEP_1)
	v_fma_f32 v29, -v14, v17, 1.0
	v_fma_f32 v30, -v15, v28, 1.0
	s_delay_alu instid0(VALU_DEP_1) | instskip(SKIP_1) | instid1(VALU_DEP_1)
	v_dual_fmac_f32 v17, v29, v17 :: v_dual_fmac_f32 v28, v30, v28
	v_div_scale_f32 v29, s2, s13, v1, s13
	v_dual_mul_f32 v30, v31, v17 :: v_dual_mul_f32 v32, v29, v28
	s_delay_alu instid0(VALU_DEP_1) | instskip(NEXT) | instid1(VALU_DEP_1)
	v_dual_fma_f32 v33, -v14, v30, v31 :: v_dual_fma_f32 v34, -v15, v32, v29
	v_dual_fmac_f32 v30, v33, v17 :: v_dual_fmac_f32 v32, v34, v28
	s_delay_alu instid0(VALU_DEP_1) | instskip(NEXT) | instid1(VALU_DEP_1)
	v_dual_fma_f32 v14, -v14, v30, v31 :: v_dual_fma_f32 v15, -v15, v32, v29
	v_div_fmas_f32 v14, v14, v17, v30
	s_mov_b32 vcc_lo, s2
	s_delay_alu instid0(VALU_DEP_2) | instskip(NEXT) | instid1(VALU_DEP_2)
	v_div_fmas_f32 v15, v15, v28, v32
	v_div_fixup_f32 v14, v14, v16, s12
	s_delay_alu instid0(VALU_DEP_2)
	v_div_fixup_f32 v15, v15, v1, s13
.LBB63_61:                              ;   in Loop: Header=BB63_5 Depth=1
	s_or_b32 exec_lo, exec_lo, s34
.LBB63_62:                              ;   in Loop: Header=BB63_5 Depth=1
	s_and_not1_saveexec_b32 s2, s3
	s_cbranch_execz .LBB63_64
; %bb.63:                               ;   in Loop: Header=BB63_5 Depth=1
	v_div_scale_f32 v1, null, v11, v11, v10
	v_div_scale_f32 v16, vcc_lo, v10, v11, v10
	s_delay_alu instid0(VALU_DEP_2) | instskip(SKIP_1) | instid1(TRANS32_DEP_1)
	v_rcp_f32_e32 v14, v1
	v_nop
	v_fma_f32 v15, -v1, v14, 1.0
	s_delay_alu instid0(VALU_DEP_1) | instskip(NEXT) | instid1(VALU_DEP_1)
	v_fmac_f32_e32 v14, v15, v14
	v_mul_f32_e32 v15, v16, v14
	s_delay_alu instid0(VALU_DEP_1) | instskip(NEXT) | instid1(VALU_DEP_1)
	v_fma_f32 v17, -v1, v15, v16
	v_fmac_f32_e32 v15, v17, v14
	s_delay_alu instid0(VALU_DEP_1) | instskip(NEXT) | instid1(VALU_DEP_1)
	v_fma_f32 v1, -v1, v15, v16
	v_div_fmas_f32 v1, v1, v14, v15
	s_delay_alu instid0(VALU_DEP_1) | instskip(NEXT) | instid1(VALU_DEP_1)
	v_div_fixup_f32 v14, v1, v11, v10
	v_fma_f32 v1, v10, v14, v11
	s_delay_alu instid0(VALU_DEP_1) | instskip(SKIP_1) | instid1(VALU_DEP_2)
	v_div_scale_f32 v15, null, v1, v1, 1.0
	v_div_scale_f32 v16, vcc_lo, 1.0, v1, 1.0
	v_rcp_f32_e32 v28, v15
	v_nop
	s_delay_alu instid0(TRANS32_DEP_1) | instskip(NEXT) | instid1(VALU_DEP_1)
	v_fma_f32 v10, -v15, v28, 1.0
	v_fmac_f32_e32 v28, v10, v28
	s_delay_alu instid0(VALU_DEP_1) | instskip(NEXT) | instid1(VALU_DEP_1)
	v_mul_f32_e32 v29, v16, v28
	v_fma_f32 v10, -v15, v29, v16
	s_delay_alu instid0(VALU_DEP_1) | instskip(SKIP_1) | instid1(VALU_DEP_2)
	v_fmac_f32_e32 v29, v10, v28
	v_mov_b64_e32 v[10:11], s[18:19]
	v_fma_f32 v15, -v15, v29, v16
	v_mov_b64_e32 v[16:17], s[12:13]
	s_delay_alu instid0(VALU_DEP_2) | instskip(NEXT) | instid1(VALU_DEP_1)
	v_div_fmas_f32 v15, v15, v28, v29
	v_pk_fma_f32 v[28:29], v[14:15], v[16:17], v[10:11] op_sel_hi:[0,1,1] neg_lo:[0,0,1] neg_hi:[0,0,1]
	v_pk_fma_f32 v[10:11], v[14:15], v[16:17], v[10:11]
	v_div_fixup_f32 v14, v15, v1, 1.0
	s_delay_alu instid0(VALU_DEP_3) | instskip(NEXT) | instid1(VALU_DEP_1)
	v_mov_b32_e32 v11, v29
	v_pk_mul_f32 v[14:15], v[10:11], v[14:15] op_sel_hi:[1,0]
.LBB63_64:                              ;   in Loop: Header=BB63_5 Depth=1
	s_or_b32 exec_lo, exec_lo, s2
.LBB63_65:                              ;   in Loop: Header=BB63_5 Depth=1
	v_cmp_gt_f32_e32 vcc_lo, 0, v13
	s_mov_b32 s3, -1
                                        ; implicit-def: $vgpr17
	v_cndmask_b32_e64 v1, v13, -v13, vcc_lo
	v_cmp_gt_f32_e32 vcc_lo, 0, v12
	v_cndmask_b32_e64 v28, v12, -v12, vcc_lo
	s_and_not1_b32 vcc_lo, exec_lo, s33
	s_delay_alu instid0(VALU_DEP_1)
	v_cmp_ge_f32_e64 s2, v28, v1
	s_cbranch_vccnz .LBB63_75
; %bb.66:                               ;   in Loop: Header=BB63_5 Depth=1
                                        ; implicit-def: $vgpr10_vgpr11
	s_and_saveexec_b32 s3, s2
	s_delay_alu instid0(SALU_CYCLE_1)
	s_xor_b32 s34, exec_lo, s3
	s_cbranch_execz .LBB63_72
; %bb.67:                               ;   in Loop: Header=BB63_5 Depth=1
	v_cmp_neq_f32_e32 vcc_lo, 0, v12
	v_cmp_neq_f32_e64 s3, 0, v13
                                        ; implicit-def: $vgpr10_vgpr11
	s_or_b32 s3, vcc_lo, s3
	s_delay_alu instid0(SALU_CYCLE_1) | instskip(NEXT) | instid1(SALU_CYCLE_1)
	s_and_saveexec_b32 s35, s3
	s_xor_b32 s3, exec_lo, s35
	s_cbranch_execz .LBB63_69
; %bb.68:                               ;   in Loop: Header=BB63_5 Depth=1
	v_div_scale_f32 v10, null, v12, v12, v13
	v_div_scale_f32 v17, vcc_lo, v13, v12, v13
	s_delay_alu instid0(VALU_DEP_2) | instskip(SKIP_1) | instid1(TRANS32_DEP_1)
	v_rcp_f32_e32 v11, v10
	v_nop
	v_fma_f32 v16, -v10, v11, 1.0
	s_delay_alu instid0(VALU_DEP_1) | instskip(NEXT) | instid1(VALU_DEP_1)
	v_fmac_f32_e32 v11, v16, v11
	v_mul_f32_e32 v16, v17, v11
	s_delay_alu instid0(VALU_DEP_1) | instskip(NEXT) | instid1(VALU_DEP_1)
	v_fma_f32 v29, -v10, v16, v17
	v_fmac_f32_e32 v16, v29, v11
	s_delay_alu instid0(VALU_DEP_1) | instskip(NEXT) | instid1(VALU_DEP_1)
	v_fma_f32 v10, -v10, v16, v17
	v_div_fmas_f32 v10, v10, v11, v16
	s_delay_alu instid0(VALU_DEP_1) | instskip(NEXT) | instid1(VALU_DEP_1)
	v_div_fixup_f32 v10, v10, v12, v13
	v_fma_f32 v29, v13, v10, v12
	s_delay_alu instid0(VALU_DEP_1) | instskip(SKIP_1) | instid1(VALU_DEP_2)
	v_div_scale_f32 v11, null, v29, v29, 1.0
	v_div_scale_f32 v30, vcc_lo, 1.0, v29, 1.0
	v_rcp_f32_e32 v32, v11
	v_nop
	s_delay_alu instid0(TRANS32_DEP_1) | instskip(NEXT) | instid1(VALU_DEP_1)
	v_fma_f32 v16, -v11, v32, 1.0
	v_fmac_f32_e32 v32, v16, v32
	s_delay_alu instid0(VALU_DEP_1) | instskip(NEXT) | instid1(VALU_DEP_1)
	v_mul_f32_e32 v33, v30, v32
	v_fma_f32 v16, -v11, v33, v30
	s_delay_alu instid0(VALU_DEP_1) | instskip(SKIP_1) | instid1(VALU_DEP_2)
	v_fmac_f32_e32 v33, v16, v32
	v_mov_b64_e32 v[16:17], s[12:13]
	v_fma_f32 v11, -v11, v33, v30
	v_mov_b64_e32 v[30:31], s[18:19]
	s_delay_alu instid0(VALU_DEP_2) | instskip(NEXT) | instid1(VALU_DEP_2)
	v_div_fmas_f32 v34, v11, v32, v33
	v_pk_fma_f32 v[32:33], v[10:11], v[30:31], v[16:17] op_sel_hi:[0,1,1] neg_lo:[1,0,0] neg_hi:[1,0,0]
	v_pk_fma_f32 v[10:11], v[10:11], v[30:31], v[16:17]
	s_delay_alu instid0(VALU_DEP_3) | instskip(NEXT) | instid1(VALU_DEP_3)
	v_div_fixup_f32 v16, v34, v29, 1.0
	v_mov_b32_e32 v11, v33
	s_delay_alu instid0(VALU_DEP_1)
	v_pk_mul_f32 v[10:11], v[10:11], v[16:17] op_sel_hi:[1,0]
.LBB63_69:                              ;   in Loop: Header=BB63_5 Depth=1
	s_and_not1_saveexec_b32 s35, s3
	s_cbranch_execz .LBB63_71
; %bb.70:                               ;   in Loop: Header=BB63_5 Depth=1
	v_div_scale_f32 v10, null, v1, v1, s13
	v_div_scale_f32 v11, null, v28, v28, s12
	v_div_scale_f32 v31, vcc_lo, s13, v1, s13
	s_delay_alu instid0(VALU_DEP_3) | instskip(NEXT) | instid1(VALU_DEP_2)
	v_rcp_f32_e32 v16, v10
	v_rcp_f32_e32 v17, v11
	s_delay_alu instid0(TRANS32_DEP_2) | instskip(NEXT) | instid1(TRANS32_DEP_1)
	v_fma_f32 v29, -v10, v16, 1.0
	v_fma_f32 v30, -v11, v17, 1.0
	s_delay_alu instid0(VALU_DEP_1) | instskip(SKIP_1) | instid1(VALU_DEP_1)
	v_dual_fmac_f32 v16, v29, v16 :: v_dual_fmac_f32 v17, v30, v17
	v_div_scale_f32 v29, s3, s12, v28, s12
	v_dual_mul_f32 v30, v31, v16 :: v_dual_mul_f32 v32, v29, v17
	s_delay_alu instid0(VALU_DEP_1) | instskip(NEXT) | instid1(VALU_DEP_1)
	v_dual_fma_f32 v33, -v10, v30, v31 :: v_dual_fma_f32 v34, -v11, v32, v29
	v_dual_fmac_f32 v30, v33, v16 :: v_dual_fmac_f32 v32, v34, v17
	s_delay_alu instid0(VALU_DEP_1) | instskip(NEXT) | instid1(VALU_DEP_1)
	v_dual_fma_f32 v10, -v10, v30, v31 :: v_dual_fma_f32 v11, -v11, v32, v29
	v_div_fmas_f32 v10, v10, v16, v30
	s_mov_b32 vcc_lo, s3
	s_delay_alu instid0(VALU_DEP_2) | instskip(NEXT) | instid1(VALU_DEP_2)
	v_div_fmas_f32 v16, v11, v17, v32
	v_div_fixup_f32 v11, v10, v1, s13
	s_delay_alu instid0(VALU_DEP_2)
	v_div_fixup_f32 v10, v16, v28, s12
.LBB63_71:                              ;   in Loop: Header=BB63_5 Depth=1
	s_or_b32 exec_lo, exec_lo, s35
.LBB63_72:                              ;   in Loop: Header=BB63_5 Depth=1
	s_and_not1_saveexec_b32 s3, s34
	s_cbranch_execz .LBB63_74
; %bb.73:                               ;   in Loop: Header=BB63_5 Depth=1
	v_div_scale_f32 v10, null, v13, v13, v12
	v_div_scale_f32 v17, vcc_lo, v12, v13, v12
	s_delay_alu instid0(VALU_DEP_2) | instskip(SKIP_1) | instid1(TRANS32_DEP_1)
	v_rcp_f32_e32 v11, v10
	v_nop
	v_fma_f32 v16, -v10, v11, 1.0
	s_delay_alu instid0(VALU_DEP_1) | instskip(NEXT) | instid1(VALU_DEP_1)
	v_fmac_f32_e32 v11, v16, v11
	v_mul_f32_e32 v16, v17, v11
	s_delay_alu instid0(VALU_DEP_1) | instskip(NEXT) | instid1(VALU_DEP_1)
	v_fma_f32 v29, -v10, v16, v17
	v_fmac_f32_e32 v16, v29, v11
	s_delay_alu instid0(VALU_DEP_1) | instskip(NEXT) | instid1(VALU_DEP_1)
	v_fma_f32 v10, -v10, v16, v17
	v_div_fmas_f32 v10, v10, v11, v16
	s_delay_alu instid0(VALU_DEP_1) | instskip(NEXT) | instid1(VALU_DEP_1)
	v_div_fixup_f32 v10, v10, v13, v12
	v_fma_f32 v29, v12, v10, v13
	s_delay_alu instid0(VALU_DEP_1) | instskip(SKIP_1) | instid1(VALU_DEP_2)
	v_div_scale_f32 v11, null, v29, v29, 1.0
	v_div_scale_f32 v30, vcc_lo, 1.0, v29, 1.0
	v_rcp_f32_e32 v32, v11
	v_nop
	s_delay_alu instid0(TRANS32_DEP_1) | instskip(NEXT) | instid1(VALU_DEP_1)
	v_fma_f32 v16, -v11, v32, 1.0
	v_fmac_f32_e32 v32, v16, v32
	s_delay_alu instid0(VALU_DEP_1) | instskip(NEXT) | instid1(VALU_DEP_1)
	v_mul_f32_e32 v33, v30, v32
	v_fma_f32 v16, -v11, v33, v30
	s_delay_alu instid0(VALU_DEP_1) | instskip(SKIP_1) | instid1(VALU_DEP_2)
	v_fmac_f32_e32 v33, v16, v32
	v_mov_b64_e32 v[16:17], s[18:19]
	v_fma_f32 v11, -v11, v33, v30
	v_mov_b64_e32 v[30:31], s[12:13]
	s_delay_alu instid0(VALU_DEP_2) | instskip(NEXT) | instid1(VALU_DEP_2)
	v_div_fmas_f32 v34, v11, v32, v33
	v_pk_fma_f32 v[32:33], v[10:11], v[30:31], v[16:17] op_sel_hi:[0,1,1] neg_lo:[0,0,1] neg_hi:[0,0,1]
	v_pk_fma_f32 v[10:11], v[10:11], v[30:31], v[16:17]
	s_delay_alu instid0(VALU_DEP_3) | instskip(NEXT) | instid1(VALU_DEP_3)
	v_div_fixup_f32 v16, v34, v29, 1.0
	v_mov_b32_e32 v11, v33
	s_delay_alu instid0(VALU_DEP_1)
	v_pk_mul_f32 v[10:11], v[10:11], v[16:17] op_sel_hi:[1,0]
.LBB63_74:                              ;   in Loop: Header=BB63_5 Depth=1
	s_or_b32 exec_lo, exec_lo, s3
	v_mov_b64_e32 v[16:17], s[20:21]
	v_mov_b64_e32 v[30:31], s[10:11]
	s_mov_b32 s3, 0
	s_delay_alu instid0(VALU_DEP_2) | instskip(NEXT) | instid1(VALU_DEP_2)
	v_pk_mul_f32 v[32:33], v[10:11], v[16:17] op_sel:[1,0]
	v_pk_mul_f32 v[34:35], v[10:11], v[30:31] op_sel_hi:[0,1]
	s_delay_alu instid0(VALU_DEP_2) | instskip(NEXT) | instid1(VALU_DEP_2)
	v_pk_fma_f32 v[16:17], v[10:11], v[30:31], v[32:33] op_sel_hi:[0,1,1]
	v_sub_f32_e32 v16, v34, v32
.LBB63_75:                              ;   in Loop: Header=BB63_5 Depth=1
	s_and_b32 vcc_lo, exec_lo, s3
	s_cbranch_vccz .LBB63_4
; %bb.76:                               ;   in Loop: Header=BB63_5 Depth=1
                                        ; implicit-def: $vgpr17
	s_and_saveexec_b32 s3, s2
	s_delay_alu instid0(SALU_CYCLE_1)
	s_xor_b32 s3, exec_lo, s3
	s_cbranch_execz .LBB63_82
; %bb.77:                               ;   in Loop: Header=BB63_5 Depth=1
	v_cmp_neq_f32_e32 vcc_lo, 0, v12
	v_cmp_neq_f32_e64 s2, 0, v13
                                        ; implicit-def: $vgpr17
	s_or_b32 s2, vcc_lo, s2
	s_delay_alu instid0(SALU_CYCLE_1) | instskip(NEXT) | instid1(SALU_CYCLE_1)
	s_and_saveexec_b32 s34, s2
	s_xor_b32 s2, exec_lo, s34
	s_cbranch_execz .LBB63_79
; %bb.78:                               ;   in Loop: Header=BB63_5 Depth=1
	v_div_scale_f32 v1, null, v12, v12, v13
	v_div_scale_f32 v16, vcc_lo, v13, v12, v13
	s_delay_alu instid0(VALU_DEP_2) | instskip(SKIP_1) | instid1(TRANS32_DEP_1)
	v_rcp_f32_e32 v10, v1
	v_nop
	v_fma_f32 v11, -v1, v10, 1.0
	s_delay_alu instid0(VALU_DEP_1) | instskip(NEXT) | instid1(VALU_DEP_1)
	v_fmac_f32_e32 v10, v11, v10
	v_mul_f32_e32 v11, v16, v10
	s_delay_alu instid0(VALU_DEP_1) | instskip(NEXT) | instid1(VALU_DEP_1)
	v_fma_f32 v17, -v1, v11, v16
	v_fmac_f32_e32 v11, v17, v10
	s_delay_alu instid0(VALU_DEP_1) | instskip(NEXT) | instid1(VALU_DEP_1)
	v_fma_f32 v1, -v1, v11, v16
	v_div_fmas_f32 v1, v1, v10, v11
	s_delay_alu instid0(VALU_DEP_1) | instskip(NEXT) | instid1(VALU_DEP_1)
	v_div_fixup_f32 v10, v1, v12, v13
	v_fmac_f32_e32 v12, v13, v10
	s_delay_alu instid0(VALU_DEP_1) | instskip(SKIP_1) | instid1(VALU_DEP_2)
	v_div_scale_f32 v1, null, v12, v12, 1.0
	v_div_scale_f32 v28, vcc_lo, 1.0, v12, 1.0
	v_rcp_f32_e32 v11, v1
	v_nop
	s_delay_alu instid0(TRANS32_DEP_1) | instskip(NEXT) | instid1(VALU_DEP_1)
	v_fma_f32 v13, -v1, v11, 1.0
	v_fmac_f32_e32 v11, v13, v11
	s_delay_alu instid0(VALU_DEP_1) | instskip(NEXT) | instid1(VALU_DEP_1)
	v_mul_f32_e32 v13, v28, v11
	v_fma_f32 v16, -v1, v13, v28
	s_delay_alu instid0(VALU_DEP_1) | instskip(SKIP_1) | instid1(VALU_DEP_2)
	v_fmac_f32_e32 v13, v16, v11
	v_mov_b64_e32 v[16:17], s[12:13]
	v_fma_f32 v1, -v1, v13, v28
	v_mov_b64_e32 v[28:29], s[18:19]
	s_delay_alu instid0(VALU_DEP_2) | instskip(NEXT) | instid1(VALU_DEP_2)
	v_div_fmas_f32 v1, v1, v11, v13
	v_pk_fma_f32 v[30:31], v[10:11], v[28:29], v[16:17] op_sel_hi:[0,1,1] neg_lo:[1,0,0] neg_hi:[1,0,0]
	v_pk_fma_f32 v[10:11], v[10:11], v[28:29], v[16:17]
	s_delay_alu instid0(VALU_DEP_3) | instskip(NEXT) | instid1(VALU_DEP_3)
	v_div_fixup_f32 v12, v1, v12, 1.0
                                        ; implicit-def: $vgpr28
                                        ; implicit-def: $vgpr1
	v_mov_b32_e32 v11, v31
	s_delay_alu instid0(VALU_DEP_1)
	v_pk_mul_f32 v[16:17], v[10:11], v[12:13] op_sel_hi:[1,0]
.LBB63_79:                              ;   in Loop: Header=BB63_5 Depth=1
	s_and_not1_saveexec_b32 s34, s2
	s_cbranch_execz .LBB63_81
; %bb.80:                               ;   in Loop: Header=BB63_5 Depth=1
	v_div_scale_f32 v10, null, v28, v28, s12
	v_div_scale_f32 v11, null, v1, v1, s13
	v_div_scale_f32 v29, vcc_lo, s12, v28, s12
	s_delay_alu instid0(VALU_DEP_3) | instskip(NEXT) | instid1(VALU_DEP_2)
	v_rcp_f32_e32 v12, v10
	v_rcp_f32_e32 v13, v11
	s_delay_alu instid0(TRANS32_DEP_2) | instskip(NEXT) | instid1(TRANS32_DEP_1)
	v_fma_f32 v16, -v10, v12, 1.0
	v_fma_f32 v17, -v11, v13, 1.0
	s_delay_alu instid0(VALU_DEP_1) | instskip(SKIP_1) | instid1(VALU_DEP_1)
	v_dual_fmac_f32 v12, v16, v12 :: v_dual_fmac_f32 v13, v17, v13
	v_div_scale_f32 v16, s2, s13, v1, s13
	v_dual_mul_f32 v17, v29, v12 :: v_dual_mul_f32 v30, v16, v13
	s_delay_alu instid0(VALU_DEP_1) | instskip(NEXT) | instid1(VALU_DEP_1)
	v_dual_fma_f32 v31, -v10, v17, v29 :: v_dual_fma_f32 v32, -v11, v30, v16
	v_dual_fmac_f32 v17, v31, v12 :: v_dual_fmac_f32 v30, v32, v13
	s_delay_alu instid0(VALU_DEP_1) | instskip(NEXT) | instid1(VALU_DEP_1)
	v_dual_fma_f32 v10, -v10, v17, v29 :: v_dual_fma_f32 v11, -v11, v30, v16
	v_div_fmas_f32 v10, v10, v12, v17
	s_mov_b32 vcc_lo, s2
	s_delay_alu instid0(VALU_DEP_2) | instskip(NEXT) | instid1(VALU_DEP_2)
	v_div_fmas_f32 v11, v11, v13, v30
	v_div_fixup_f32 v16, v10, v28, s12
	s_delay_alu instid0(VALU_DEP_2)
	v_div_fixup_f32 v17, v11, v1, s13
.LBB63_81:                              ;   in Loop: Header=BB63_5 Depth=1
	s_or_b32 exec_lo, exec_lo, s34
                                        ; implicit-def: $vgpr10_vgpr11_vgpr12_vgpr13
.LBB63_82:                              ;   in Loop: Header=BB63_5 Depth=1
	s_and_not1_saveexec_b32 s2, s3
	s_cbranch_execz .LBB63_3
; %bb.83:                               ;   in Loop: Header=BB63_5 Depth=1
	v_div_scale_f32 v1, null, v13, v13, v12
	v_div_scale_f32 v16, vcc_lo, v12, v13, v12
	s_delay_alu instid0(VALU_DEP_2) | instskip(SKIP_1) | instid1(TRANS32_DEP_1)
	v_rcp_f32_e32 v10, v1
	v_nop
	v_fma_f32 v11, -v1, v10, 1.0
	s_delay_alu instid0(VALU_DEP_1) | instskip(NEXT) | instid1(VALU_DEP_1)
	v_fmac_f32_e32 v10, v11, v10
	v_mul_f32_e32 v11, v16, v10
	s_delay_alu instid0(VALU_DEP_1) | instskip(NEXT) | instid1(VALU_DEP_1)
	v_fma_f32 v17, -v1, v11, v16
	v_fmac_f32_e32 v11, v17, v10
	s_delay_alu instid0(VALU_DEP_1) | instskip(NEXT) | instid1(VALU_DEP_1)
	v_fma_f32 v1, -v1, v11, v16
	v_div_fmas_f32 v1, v1, v10, v11
	s_delay_alu instid0(VALU_DEP_1) | instskip(NEXT) | instid1(VALU_DEP_1)
	v_div_fixup_f32 v10, v1, v13, v12
	v_fmac_f32_e32 v13, v12, v10
	s_delay_alu instid0(VALU_DEP_1) | instskip(SKIP_1) | instid1(VALU_DEP_2)
	v_div_scale_f32 v1, null, v13, v13, 1.0
	v_div_scale_f32 v28, vcc_lo, 1.0, v13, 1.0
	v_rcp_f32_e32 v11, v1
	v_nop
	s_delay_alu instid0(TRANS32_DEP_1) | instskip(NEXT) | instid1(VALU_DEP_1)
	v_fma_f32 v12, -v1, v11, 1.0
	v_fmac_f32_e32 v11, v12, v11
	s_delay_alu instid0(VALU_DEP_1) | instskip(NEXT) | instid1(VALU_DEP_1)
	v_mul_f32_e32 v12, v28, v11
	v_fma_f32 v16, -v1, v12, v28
	s_delay_alu instid0(VALU_DEP_1) | instskip(SKIP_1) | instid1(VALU_DEP_2)
	v_fmac_f32_e32 v12, v16, v11
	v_mov_b64_e32 v[16:17], s[18:19]
	v_fma_f32 v1, -v1, v12, v28
	v_mov_b64_e32 v[28:29], s[12:13]
	s_delay_alu instid0(VALU_DEP_2) | instskip(NEXT) | instid1(VALU_DEP_2)
	v_div_fmas_f32 v1, v1, v11, v12
	v_pk_fma_f32 v[30:31], v[10:11], v[28:29], v[16:17] op_sel_hi:[0,1,1] neg_lo:[0,0,1] neg_hi:[0,0,1]
	v_pk_fma_f32 v[10:11], v[10:11], v[28:29], v[16:17]
	s_delay_alu instid0(VALU_DEP_3) | instskip(NEXT) | instid1(VALU_DEP_3)
	v_div_fixup_f32 v12, v1, v13, 1.0
	v_mov_b32_e32 v11, v31
	s_delay_alu instid0(VALU_DEP_1)
	v_pk_mul_f32 v[16:17], v[10:11], v[12:13] op_sel_hi:[1,0]
	s_branch .LBB63_3
.LBB63_84:
	s_or_b32 exec_lo, exec_lo, s30
	s_mov_b32 s2, 0
.LBB63_85:
	s_delay_alu instid0(SALU_CYCLE_1)
	s_and_not1_b32 vcc_lo, exec_lo, s2
	s_cbranch_vccnz .LBB63_185
; %bb.86:
	v_cmp_lt_i64_e64 s2, s[14:15], 1
	s_and_b32 vcc_lo, exec_lo, s2
	s_cbranch_vccnz .LBB63_185
; %bb.87:
	s_wait_xcnt 0x0
	s_load_b32 s0, s[0:1], 0xc04
	v_min_i64 v[2:3], 0x10000, s[14:15]
	v_min_u64 v[4:5], 0x10000, s[14:15]
	v_mov_b32_e32 v1, 0
	s_mov_b32 s3, 0
	s_wait_kmcnt 0x0
	s_mov_b32 s14, s13
	s_mov_b32 s15, s12
	;; [unrolled: 1-line block ×7, first 2 shown]
	s_mov_b64 s[24:25], 0
	s_and_b32 s2, s0, 0xffff
	s_cmp_neq_f32 s10, 1.0
	s_mul_i32 s20, s2, 3
	s_cselect_b32 s0, -1, 0
	s_and_b32 s1, s11, 0x7fffffff
	s_delay_alu instid0(SALU_CYCLE_1)
	s_cmp_lg_u32 s1, 0
	s_cselect_b32 s1, -1, 0
	s_lshl_b32 s18, s2, 1
	s_lshl_b32 s22, s2, 2
	s_or_b32 s26, s0, s1
	s_branch .LBB63_89
.LBB63_88:                              ;   in Loop: Header=BB63_89 Depth=1
	s_wait_xcnt 0x0
	s_or_b32 exec_lo, exec_lo, s0
	s_add_nc_u64 s[24:25], s[24:25], s[22:23]
	s_delay_alu instid0(SALU_CYCLE_1)
	v_cmp_ge_i64_e32 vcc_lo, s[24:25], v[2:3]
	s_cbranch_vccnz .LBB63_185
.LBB63_89:                              ; =>This Inner Loop Header: Depth=1
	v_add_nc_u64_e32 v[6:7], s[24:25], v[0:1]
	v_dual_mov_b32 v8, 0 :: v_dual_mov_b32 v9, 0
	v_dual_mov_b32 v28, 0 :: v_dual_mov_b32 v29, 0
	s_mov_b32 s0, exec_lo
	s_delay_alu instid0(VALU_DEP_3)
	v_cmpx_lt_i64_e64 v[6:7], v[2:3]
	s_cbranch_execz .LBB63_91
; %bb.90:                               ;   in Loop: Header=BB63_89 Depth=1
	v_lshlrev_b64_e32 v[8:9], 3, v[6:7]
	s_delay_alu instid0(VALU_DEP_1)
	v_add_nc_u64_e32 v[10:11], s[8:9], v[8:9]
	v_add_nc_u64_e32 v[12:13], s[4:5], v[8:9]
	global_load_b64 v[8:9], v[10:11], off
	global_load_b64 v[28:29], v[12:13], off
.LBB63_91:                              ;   in Loop: Header=BB63_89 Depth=1
	s_wait_xcnt 0x0
	s_or_b32 exec_lo, exec_lo, s0
	v_add_nc_u64_e32 v[12:13], s[2:3], v[6:7]
	v_dual_mov_b32 v10, 0 :: v_dual_mov_b32 v14, 0
	v_dual_mov_b32 v15, 0 :: v_dual_mov_b32 v30, 0
	v_mov_b32_e32 v31, 0
	s_mov_b32 s0, exec_lo
	s_delay_alu instid0(VALU_DEP_4)
	v_cmpx_lt_i64_e64 v[12:13], v[2:3]
	s_cbranch_execz .LBB63_93
; %bb.92:                               ;   in Loop: Header=BB63_89 Depth=1
	v_lshlrev_b64_e32 v[14:15], 3, v[12:13]
	s_delay_alu instid0(VALU_DEP_1)
	v_add_nc_u64_e32 v[16:17], s[8:9], v[14:15]
	v_add_nc_u64_e32 v[18:19], s[4:5], v[14:15]
	global_load_b64 v[14:15], v[16:17], off
	global_load_b64 v[30:31], v[18:19], off
.LBB63_93:                              ;   in Loop: Header=BB63_89 Depth=1
	s_wait_xcnt 0x0
	s_or_b32 exec_lo, exec_lo, s0
	v_add_nc_u64_e32 v[16:17], s[18:19], v[6:7]
	v_dual_mov_b32 v11, 0 :: v_dual_mov_b32 v26, 0
	v_mov_b32_e32 v27, 0
	s_mov_b32 s0, exec_lo
	s_delay_alu instid0(VALU_DEP_3)
	v_cmpx_lt_i64_e64 v[16:17], v[2:3]
	s_cbranch_execz .LBB63_95
; %bb.94:                               ;   in Loop: Header=BB63_89 Depth=1
	v_lshlrev_b64_e32 v[10:11], 3, v[16:17]
	s_delay_alu instid0(VALU_DEP_1)
	v_add_nc_u64_e32 v[18:19], s[8:9], v[10:11]
	v_add_nc_u64_e32 v[20:21], s[4:5], v[10:11]
	global_load_b64 v[10:11], v[18:19], off
	global_load_b64 v[26:27], v[20:21], off
.LBB63_95:                              ;   in Loop: Header=BB63_89 Depth=1
	s_wait_xcnt 0x0
	s_or_b32 exec_lo, exec_lo, s0
	v_add_nc_u64_e32 v[18:19], s[20:21], v[6:7]
	v_dual_mov_b32 v20, 0 :: v_dual_mov_b32 v21, 0
	v_dual_mov_b32 v22, 0 :: v_dual_mov_b32 v23, 0
	s_mov_b32 s0, exec_lo
	s_delay_alu instid0(VALU_DEP_3)
	v_cmpx_lt_i64_e64 v[18:19], v[2:3]
	s_cbranch_execz .LBB63_97
; %bb.96:                               ;   in Loop: Header=BB63_89 Depth=1
	v_lshlrev_b64_e32 v[20:21], 3, v[18:19]
	s_delay_alu instid0(VALU_DEP_1)
	v_add_nc_u64_e32 v[24:25], s[8:9], v[20:21]
	v_add_nc_u64_e32 v[32:33], s[4:5], v[20:21]
	global_load_b64 v[20:21], v[24:25], off
	global_load_b64 v[22:23], v[32:33], off
.LBB63_97:                              ;   in Loop: Header=BB63_89 Depth=1
	s_wait_xcnt 0x0
	s_or_b32 exec_lo, exec_lo, s0
	s_wait_loadcnt 0x0
	v_cmp_gt_f32_e32 vcc_lo, 0, v29
	s_mov_b32 s1, -1
                                        ; implicit-def: $vgpr25
	v_cndmask_b32_e64 v32, v29, -v29, vcc_lo
	v_cmp_gt_f32_e32 vcc_lo, 0, v28
	v_cndmask_b32_e64 v33, v28, -v28, vcc_lo
	s_and_b32 vcc_lo, exec_lo, s26
	s_delay_alu instid0(VALU_DEP_1)
	v_cmp_ge_f32_e64 s0, v33, v32
	s_cbranch_vccz .LBB63_107
; %bb.98:                               ;   in Loop: Header=BB63_89 Depth=1
                                        ; implicit-def: $vgpr24_vgpr25
	s_and_saveexec_b32 s1, s0
	s_delay_alu instid0(SALU_CYCLE_1)
	s_xor_b32 s27, exec_lo, s1
	s_cbranch_execz .LBB63_104
; %bb.99:                               ;   in Loop: Header=BB63_89 Depth=1
	v_cmp_neq_f32_e32 vcc_lo, 0, v28
	v_cmp_neq_f32_e64 s1, 0, v29
                                        ; implicit-def: $vgpr24_vgpr25
	s_or_b32 s1, s1, vcc_lo
	s_delay_alu instid0(SALU_CYCLE_1) | instskip(NEXT) | instid1(SALU_CYCLE_1)
	s_and_saveexec_b32 s28, s1
	s_xor_b32 s1, exec_lo, s28
	s_cbranch_execz .LBB63_101
; %bb.100:                              ;   in Loop: Header=BB63_89 Depth=1
	v_div_scale_f32 v24, null, v28, v28, v29
	v_div_scale_f32 v35, vcc_lo, v29, v28, v29
	s_delay_alu instid0(VALU_DEP_2) | instskip(SKIP_1) | instid1(TRANS32_DEP_1)
	v_rcp_f32_e32 v25, v24
	v_nop
	v_fma_f32 v34, -v24, v25, 1.0
	s_delay_alu instid0(VALU_DEP_1) | instskip(NEXT) | instid1(VALU_DEP_1)
	v_fmac_f32_e32 v25, v34, v25
	v_mul_f32_e32 v34, v35, v25
	s_delay_alu instid0(VALU_DEP_1) | instskip(NEXT) | instid1(VALU_DEP_1)
	v_fma_f32 v36, -v24, v34, v35
	v_fmac_f32_e32 v34, v36, v25
	s_delay_alu instid0(VALU_DEP_1) | instskip(NEXT) | instid1(VALU_DEP_1)
	v_fma_f32 v24, -v24, v34, v35
	v_div_fmas_f32 v24, v24, v25, v34
	s_delay_alu instid0(VALU_DEP_1) | instskip(NEXT) | instid1(VALU_DEP_1)
	v_div_fixup_f32 v24, v24, v28, v29
	v_fma_f32 v40, v29, v24, v28
	s_delay_alu instid0(VALU_DEP_1) | instskip(SKIP_1) | instid1(VALU_DEP_2)
	v_div_scale_f32 v25, null, v40, v40, 1.0
	v_div_scale_f32 v36, vcc_lo, 1.0, v40, 1.0
	v_rcp_f32_e32 v38, v25
	v_nop
	s_delay_alu instid0(TRANS32_DEP_1) | instskip(NEXT) | instid1(VALU_DEP_1)
	v_fma_f32 v34, -v25, v38, 1.0
	v_fmac_f32_e32 v38, v34, v38
	s_delay_alu instid0(VALU_DEP_1) | instskip(NEXT) | instid1(VALU_DEP_1)
	v_mul_f32_e32 v39, v36, v38
	v_fma_f32 v34, -v25, v39, v36
	s_delay_alu instid0(VALU_DEP_1) | instskip(SKIP_1) | instid1(VALU_DEP_2)
	v_fmac_f32_e32 v39, v34, v38
	v_mov_b64_e32 v[34:35], s[12:13]
	v_fma_f32 v25, -v25, v39, v36
	v_mov_b64_e32 v[36:37], s[14:15]
	s_delay_alu instid0(VALU_DEP_2) | instskip(NEXT) | instid1(VALU_DEP_2)
	v_div_fmas_f32 v41, v25, v38, v39
	v_pk_fma_f32 v[38:39], v[24:25], v[36:37], v[34:35] op_sel_hi:[0,1,1] neg_lo:[1,0,0] neg_hi:[1,0,0]
	v_pk_fma_f32 v[24:25], v[24:25], v[36:37], v[34:35]
	s_delay_alu instid0(VALU_DEP_3) | instskip(NEXT) | instid1(VALU_DEP_3)
	v_div_fixup_f32 v34, v41, v40, 1.0
	v_mov_b32_e32 v25, v39
	s_delay_alu instid0(VALU_DEP_1)
	v_pk_mul_f32 v[24:25], v[24:25], v[34:35] op_sel_hi:[1,0]
.LBB63_101:                             ;   in Loop: Header=BB63_89 Depth=1
	s_and_not1_saveexec_b32 s28, s1
	s_cbranch_execz .LBB63_103
; %bb.102:                              ;   in Loop: Header=BB63_89 Depth=1
	v_div_scale_f32 v24, null, v32, v32, s13
	v_div_scale_f32 v25, null, v33, v33, s12
	v_div_scale_f32 v38, vcc_lo, s13, v32, s13
	s_delay_alu instid0(VALU_DEP_3) | instskip(NEXT) | instid1(VALU_DEP_2)
	v_rcp_f32_e32 v34, v24
	v_rcp_f32_e32 v35, v25
	s_delay_alu instid0(TRANS32_DEP_2) | instskip(NEXT) | instid1(TRANS32_DEP_1)
	v_fma_f32 v36, -v24, v34, 1.0
	v_fma_f32 v37, -v25, v35, 1.0
	s_delay_alu instid0(VALU_DEP_1) | instskip(SKIP_1) | instid1(VALU_DEP_1)
	v_dual_fmac_f32 v34, v36, v34 :: v_dual_fmac_f32 v35, v37, v35
	v_div_scale_f32 v36, s1, s12, v33, s12
	v_dual_mul_f32 v37, v38, v34 :: v_dual_mul_f32 v39, v36, v35
	s_delay_alu instid0(VALU_DEP_1) | instskip(NEXT) | instid1(VALU_DEP_1)
	v_dual_fma_f32 v40, -v24, v37, v38 :: v_dual_fma_f32 v41, -v25, v39, v36
	v_dual_fmac_f32 v37, v40, v34 :: v_dual_fmac_f32 v39, v41, v35
	s_delay_alu instid0(VALU_DEP_1) | instskip(NEXT) | instid1(VALU_DEP_1)
	v_dual_fma_f32 v24, -v24, v37, v38 :: v_dual_fma_f32 v25, -v25, v39, v36
	v_div_fmas_f32 v24, v24, v34, v37
	s_mov_b32 vcc_lo, s1
	s_delay_alu instid0(VALU_DEP_2) | instskip(NEXT) | instid1(VALU_DEP_2)
	v_div_fmas_f32 v34, v25, v35, v39
	v_div_fixup_f32 v25, v24, v32, s13
	s_delay_alu instid0(VALU_DEP_2)
	v_div_fixup_f32 v24, v34, v33, s12
.LBB63_103:                             ;   in Loop: Header=BB63_89 Depth=1
	s_or_b32 exec_lo, exec_lo, s28
.LBB63_104:                             ;   in Loop: Header=BB63_89 Depth=1
	s_and_not1_saveexec_b32 s1, s27
	s_cbranch_execz .LBB63_106
; %bb.105:                              ;   in Loop: Header=BB63_89 Depth=1
	v_div_scale_f32 v24, null, v29, v29, v28
	v_div_scale_f32 v35, vcc_lo, v28, v29, v28
	s_delay_alu instid0(VALU_DEP_2) | instskip(SKIP_1) | instid1(TRANS32_DEP_1)
	v_rcp_f32_e32 v25, v24
	v_nop
	v_fma_f32 v34, -v24, v25, 1.0
	s_delay_alu instid0(VALU_DEP_1) | instskip(NEXT) | instid1(VALU_DEP_1)
	v_fmac_f32_e32 v25, v34, v25
	v_mul_f32_e32 v34, v35, v25
	s_delay_alu instid0(VALU_DEP_1) | instskip(NEXT) | instid1(VALU_DEP_1)
	v_fma_f32 v36, -v24, v34, v35
	v_fmac_f32_e32 v34, v36, v25
	s_delay_alu instid0(VALU_DEP_1) | instskip(NEXT) | instid1(VALU_DEP_1)
	v_fma_f32 v24, -v24, v34, v35
	v_div_fmas_f32 v24, v24, v25, v34
	s_delay_alu instid0(VALU_DEP_1) | instskip(NEXT) | instid1(VALU_DEP_1)
	v_div_fixup_f32 v24, v24, v29, v28
	v_fma_f32 v40, v28, v24, v29
	s_delay_alu instid0(VALU_DEP_1) | instskip(SKIP_1) | instid1(VALU_DEP_2)
	v_div_scale_f32 v25, null, v40, v40, 1.0
	v_div_scale_f32 v36, vcc_lo, 1.0, v40, 1.0
	v_rcp_f32_e32 v38, v25
	v_nop
	s_delay_alu instid0(TRANS32_DEP_1) | instskip(NEXT) | instid1(VALU_DEP_1)
	v_fma_f32 v34, -v25, v38, 1.0
	v_fmac_f32_e32 v38, v34, v38
	s_delay_alu instid0(VALU_DEP_1) | instskip(NEXT) | instid1(VALU_DEP_1)
	v_mul_f32_e32 v39, v36, v38
	v_fma_f32 v34, -v25, v39, v36
	s_delay_alu instid0(VALU_DEP_1) | instskip(SKIP_1) | instid1(VALU_DEP_2)
	v_fmac_f32_e32 v39, v34, v38
	v_mov_b64_e32 v[34:35], s[14:15]
	v_fma_f32 v25, -v25, v39, v36
	v_mov_b64_e32 v[36:37], s[12:13]
	s_delay_alu instid0(VALU_DEP_2) | instskip(NEXT) | instid1(VALU_DEP_2)
	v_div_fmas_f32 v41, v25, v38, v39
	v_pk_fma_f32 v[38:39], v[24:25], v[36:37], v[34:35] op_sel_hi:[0,1,1] neg_lo:[0,0,1] neg_hi:[0,0,1]
	v_pk_fma_f32 v[24:25], v[24:25], v[36:37], v[34:35]
	s_delay_alu instid0(VALU_DEP_3) | instskip(NEXT) | instid1(VALU_DEP_3)
	v_div_fixup_f32 v34, v41, v40, 1.0
	v_mov_b32_e32 v25, v39
	s_delay_alu instid0(VALU_DEP_1)
	v_pk_mul_f32 v[24:25], v[24:25], v[34:35] op_sel_hi:[1,0]
.LBB63_106:                             ;   in Loop: Header=BB63_89 Depth=1
	s_or_b32 exec_lo, exec_lo, s1
	v_mov_b64_e32 v[34:35], s[16:17]
	v_mov_b64_e32 v[36:37], s[10:11]
	s_mov_b32 s1, 0
	s_delay_alu instid0(VALU_DEP_2) | instskip(NEXT) | instid1(VALU_DEP_2)
	v_pk_mul_f32 v[34:35], v[24:25], v[34:35] op_sel:[1,0]
	v_pk_mul_f32 v[38:39], v[24:25], v[36:37] op_sel_hi:[0,1]
	s_delay_alu instid0(VALU_DEP_2) | instskip(NEXT) | instid1(VALU_DEP_2)
	v_pk_fma_f32 v[24:25], v[24:25], v[36:37], v[34:35] op_sel_hi:[0,1,1]
	v_sub_f32_e32 v24, v38, v34
.LBB63_107:                             ;   in Loop: Header=BB63_89 Depth=1
	s_and_b32 vcc_lo, exec_lo, s1
	s_cbranch_vccz .LBB63_117
; %bb.108:                              ;   in Loop: Header=BB63_89 Depth=1
                                        ; implicit-def: $vgpr25
	s_and_saveexec_b32 s1, s0
	s_delay_alu instid0(SALU_CYCLE_1)
	s_xor_b32 s1, exec_lo, s1
	s_cbranch_execz .LBB63_114
; %bb.109:                              ;   in Loop: Header=BB63_89 Depth=1
	v_cmp_neq_f32_e32 vcc_lo, 0, v28
	v_cmp_neq_f32_e64 s0, 0, v29
                                        ; implicit-def: $vgpr25
	s_or_b32 s0, s0, vcc_lo
	s_delay_alu instid0(SALU_CYCLE_1) | instskip(NEXT) | instid1(SALU_CYCLE_1)
	s_and_saveexec_b32 s27, s0
	s_xor_b32 s0, exec_lo, s27
	s_cbranch_execz .LBB63_111
; %bb.110:                              ;   in Loop: Header=BB63_89 Depth=1
	v_div_scale_f32 v24, null, v28, v28, v29
	v_div_scale_f32 v33, vcc_lo, v29, v28, v29
	s_delay_alu instid0(VALU_DEP_2) | instskip(SKIP_1) | instid1(TRANS32_DEP_1)
	v_rcp_f32_e32 v25, v24
	v_nop
	v_fma_f32 v32, -v24, v25, 1.0
	s_delay_alu instid0(VALU_DEP_1) | instskip(NEXT) | instid1(VALU_DEP_1)
	v_fmac_f32_e32 v25, v32, v25
	v_mul_f32_e32 v32, v33, v25
	s_delay_alu instid0(VALU_DEP_1) | instskip(NEXT) | instid1(VALU_DEP_1)
	v_fma_f32 v34, -v24, v32, v33
	v_fmac_f32_e32 v32, v34, v25
	s_delay_alu instid0(VALU_DEP_1) | instskip(NEXT) | instid1(VALU_DEP_1)
	v_fma_f32 v24, -v24, v32, v33
	v_div_fmas_f32 v24, v24, v25, v32
	s_delay_alu instid0(VALU_DEP_1) | instskip(NEXT) | instid1(VALU_DEP_1)
	v_div_fixup_f32 v24, v24, v28, v29
	v_fmac_f32_e32 v28, v29, v24
	s_delay_alu instid0(VALU_DEP_1) | instskip(SKIP_1) | instid1(VALU_DEP_2)
	v_div_scale_f32 v25, null, v28, v28, 1.0
	v_div_scale_f32 v34, vcc_lo, 1.0, v28, 1.0
	v_rcp_f32_e32 v29, v25
	v_nop
	s_delay_alu instid0(TRANS32_DEP_1) | instskip(NEXT) | instid1(VALU_DEP_1)
	v_fma_f32 v32, -v25, v29, 1.0
	v_fmac_f32_e32 v29, v32, v29
	s_delay_alu instid0(VALU_DEP_1) | instskip(NEXT) | instid1(VALU_DEP_1)
	v_mul_f32_e32 v36, v34, v29
	v_fma_f32 v32, -v25, v36, v34
	s_delay_alu instid0(VALU_DEP_1) | instskip(SKIP_1) | instid1(VALU_DEP_2)
	v_fmac_f32_e32 v36, v32, v29
	v_mov_b64_e32 v[32:33], s[12:13]
	v_fma_f32 v25, -v25, v36, v34
	v_mov_b64_e32 v[34:35], s[14:15]
	s_delay_alu instid0(VALU_DEP_2) | instskip(NEXT) | instid1(VALU_DEP_2)
	v_div_fmas_f32 v29, v25, v29, v36
	v_pk_fma_f32 v[36:37], v[24:25], v[34:35], v[32:33] op_sel_hi:[0,1,1] neg_lo:[1,0,0] neg_hi:[1,0,0]
	v_pk_fma_f32 v[24:25], v[24:25], v[34:35], v[32:33]
	s_delay_alu instid0(VALU_DEP_3) | instskip(NEXT) | instid1(VALU_DEP_3)
	v_div_fixup_f32 v28, v29, v28, 1.0
                                        ; implicit-def: $vgpr33
                                        ; implicit-def: $vgpr32
	v_mov_b32_e32 v25, v37
	s_delay_alu instid0(VALU_DEP_1)
	v_pk_mul_f32 v[24:25], v[24:25], v[28:29] op_sel_hi:[1,0]
.LBB63_111:                             ;   in Loop: Header=BB63_89 Depth=1
	s_and_not1_saveexec_b32 s27, s0
	s_cbranch_execz .LBB63_113
; %bb.112:                              ;   in Loop: Header=BB63_89 Depth=1
	v_div_scale_f32 v24, null, v33, v33, s12
	v_div_scale_f32 v25, null, v32, v32, s13
	v_div_scale_f32 v36, vcc_lo, s12, v33, s12
	s_delay_alu instid0(VALU_DEP_3) | instskip(NEXT) | instid1(VALU_DEP_2)
	v_rcp_f32_e32 v28, v24
	v_rcp_f32_e32 v29, v25
	s_delay_alu instid0(TRANS32_DEP_2) | instskip(NEXT) | instid1(TRANS32_DEP_1)
	v_fma_f32 v34, -v24, v28, 1.0
	v_fma_f32 v35, -v25, v29, 1.0
	s_delay_alu instid0(VALU_DEP_1) | instskip(SKIP_1) | instid1(VALU_DEP_1)
	v_dual_fmac_f32 v28, v34, v28 :: v_dual_fmac_f32 v29, v35, v29
	v_div_scale_f32 v34, s0, s13, v32, s13
	v_dual_mul_f32 v35, v36, v28 :: v_dual_mul_f32 v37, v34, v29
	s_delay_alu instid0(VALU_DEP_1) | instskip(NEXT) | instid1(VALU_DEP_1)
	v_dual_fma_f32 v38, -v24, v35, v36 :: v_dual_fma_f32 v39, -v25, v37, v34
	v_dual_fmac_f32 v35, v38, v28 :: v_dual_fmac_f32 v37, v39, v29
	s_delay_alu instid0(VALU_DEP_1) | instskip(NEXT) | instid1(VALU_DEP_1)
	v_dual_fma_f32 v24, -v24, v35, v36 :: v_dual_fma_f32 v25, -v25, v37, v34
	v_div_fmas_f32 v24, v24, v28, v35
	s_mov_b32 vcc_lo, s0
	s_delay_alu instid0(VALU_DEP_2) | instskip(NEXT) | instid1(VALU_DEP_2)
	v_div_fmas_f32 v25, v25, v29, v37
	v_div_fixup_f32 v24, v24, v33, s12
	s_delay_alu instid0(VALU_DEP_2)
	v_div_fixup_f32 v25, v25, v32, s13
.LBB63_113:                             ;   in Loop: Header=BB63_89 Depth=1
	s_or_b32 exec_lo, exec_lo, s27
                                        ; implicit-def: $vgpr29
.LBB63_114:                             ;   in Loop: Header=BB63_89 Depth=1
	s_and_not1_saveexec_b32 s0, s1
	s_cbranch_execz .LBB63_116
; %bb.115:                              ;   in Loop: Header=BB63_89 Depth=1
	v_div_scale_f32 v24, null, v29, v29, v28
	v_div_scale_f32 v33, vcc_lo, v28, v29, v28
	s_delay_alu instid0(VALU_DEP_2) | instskip(SKIP_1) | instid1(TRANS32_DEP_1)
	v_rcp_f32_e32 v25, v24
	v_nop
	v_fma_f32 v32, -v24, v25, 1.0
	s_delay_alu instid0(VALU_DEP_1) | instskip(NEXT) | instid1(VALU_DEP_1)
	v_fmac_f32_e32 v25, v32, v25
	v_mul_f32_e32 v32, v33, v25
	s_delay_alu instid0(VALU_DEP_1) | instskip(NEXT) | instid1(VALU_DEP_1)
	v_fma_f32 v34, -v24, v32, v33
	v_fmac_f32_e32 v32, v34, v25
	s_delay_alu instid0(VALU_DEP_1) | instskip(NEXT) | instid1(VALU_DEP_1)
	v_fma_f32 v24, -v24, v32, v33
	v_div_fmas_f32 v24, v24, v25, v32
	s_delay_alu instid0(VALU_DEP_1) | instskip(NEXT) | instid1(VALU_DEP_1)
	v_div_fixup_f32 v24, v24, v29, v28
	v_fmac_f32_e32 v29, v28, v24
	s_delay_alu instid0(VALU_DEP_1) | instskip(SKIP_1) | instid1(VALU_DEP_2)
	v_div_scale_f32 v25, null, v29, v29, 1.0
	v_div_scale_f32 v34, vcc_lo, 1.0, v29, 1.0
	v_rcp_f32_e32 v28, v25
	v_nop
	s_delay_alu instid0(TRANS32_DEP_1) | instskip(NEXT) | instid1(VALU_DEP_1)
	v_fma_f32 v32, -v25, v28, 1.0
	v_fmac_f32_e32 v28, v32, v28
	s_delay_alu instid0(VALU_DEP_1) | instskip(NEXT) | instid1(VALU_DEP_1)
	v_mul_f32_e32 v36, v34, v28
	v_fma_f32 v32, -v25, v36, v34
	s_delay_alu instid0(VALU_DEP_1) | instskip(SKIP_1) | instid1(VALU_DEP_2)
	v_fmac_f32_e32 v36, v32, v28
	v_mov_b64_e32 v[32:33], s[14:15]
	v_fma_f32 v25, -v25, v36, v34
	v_mov_b64_e32 v[34:35], s[12:13]
	s_delay_alu instid0(VALU_DEP_2) | instskip(NEXT) | instid1(VALU_DEP_2)
	v_div_fmas_f32 v28, v25, v28, v36
	v_pk_fma_f32 v[36:37], v[24:25], v[34:35], v[32:33] op_sel_hi:[0,1,1] neg_lo:[0,0,1] neg_hi:[0,0,1]
	v_pk_fma_f32 v[24:25], v[24:25], v[34:35], v[32:33]
	s_delay_alu instid0(VALU_DEP_3) | instskip(NEXT) | instid1(VALU_DEP_3)
	v_div_fixup_f32 v28, v28, v29, 1.0
	v_mov_b32_e32 v25, v37
	s_delay_alu instid0(VALU_DEP_1)
	v_pk_mul_f32 v[24:25], v[24:25], v[28:29] op_sel_hi:[1,0]
.LBB63_116:                             ;   in Loop: Header=BB63_89 Depth=1
	s_or_b32 exec_lo, exec_lo, s0
.LBB63_117:                             ;   in Loop: Header=BB63_89 Depth=1
	v_cmp_gt_f32_e32 vcc_lo, 0, v31
	s_mov_b32 s1, -1
                                        ; implicit-def: $vgpr29
	v_cndmask_b32_e64 v32, v31, -v31, vcc_lo
	v_cmp_gt_f32_e32 vcc_lo, 0, v30
	v_cndmask_b32_e64 v33, v30, -v30, vcc_lo
	s_and_not1_b32 vcc_lo, exec_lo, s26
	s_delay_alu instid0(VALU_DEP_1)
	v_cmp_ge_f32_e64 s0, v33, v32
	s_cbranch_vccnz .LBB63_127
; %bb.118:                              ;   in Loop: Header=BB63_89 Depth=1
                                        ; implicit-def: $vgpr28_vgpr29
	s_and_saveexec_b32 s1, s0
	s_delay_alu instid0(SALU_CYCLE_1)
	s_xor_b32 s27, exec_lo, s1
	s_cbranch_execz .LBB63_124
; %bb.119:                              ;   in Loop: Header=BB63_89 Depth=1
	v_cmp_neq_f32_e32 vcc_lo, 0, v30
	v_cmp_neq_f32_e64 s1, 0, v31
                                        ; implicit-def: $vgpr28_vgpr29
	s_or_b32 s1, s1, vcc_lo
	s_delay_alu instid0(SALU_CYCLE_1) | instskip(NEXT) | instid1(SALU_CYCLE_1)
	s_and_saveexec_b32 s28, s1
	s_xor_b32 s1, exec_lo, s28
	s_cbranch_execz .LBB63_121
; %bb.120:                              ;   in Loop: Header=BB63_89 Depth=1
	v_div_scale_f32 v28, null, v30, v30, v31
	v_div_scale_f32 v35, vcc_lo, v31, v30, v31
	s_delay_alu instid0(VALU_DEP_2) | instskip(SKIP_1) | instid1(TRANS32_DEP_1)
	v_rcp_f32_e32 v29, v28
	v_nop
	v_fma_f32 v34, -v28, v29, 1.0
	s_delay_alu instid0(VALU_DEP_1) | instskip(NEXT) | instid1(VALU_DEP_1)
	v_fmac_f32_e32 v29, v34, v29
	v_mul_f32_e32 v34, v35, v29
	s_delay_alu instid0(VALU_DEP_1) | instskip(NEXT) | instid1(VALU_DEP_1)
	v_fma_f32 v36, -v28, v34, v35
	v_fmac_f32_e32 v34, v36, v29
	s_delay_alu instid0(VALU_DEP_1) | instskip(NEXT) | instid1(VALU_DEP_1)
	v_fma_f32 v28, -v28, v34, v35
	v_div_fmas_f32 v28, v28, v29, v34
	s_delay_alu instid0(VALU_DEP_1) | instskip(NEXT) | instid1(VALU_DEP_1)
	v_div_fixup_f32 v28, v28, v30, v31
	v_fma_f32 v40, v31, v28, v30
	s_delay_alu instid0(VALU_DEP_1) | instskip(SKIP_1) | instid1(VALU_DEP_2)
	v_div_scale_f32 v29, null, v40, v40, 1.0
	v_div_scale_f32 v36, vcc_lo, 1.0, v40, 1.0
	v_rcp_f32_e32 v38, v29
	v_nop
	s_delay_alu instid0(TRANS32_DEP_1) | instskip(NEXT) | instid1(VALU_DEP_1)
	v_fma_f32 v34, -v29, v38, 1.0
	v_fmac_f32_e32 v38, v34, v38
	s_delay_alu instid0(VALU_DEP_1) | instskip(NEXT) | instid1(VALU_DEP_1)
	v_mul_f32_e32 v39, v36, v38
	v_fma_f32 v34, -v29, v39, v36
	s_delay_alu instid0(VALU_DEP_1) | instskip(SKIP_1) | instid1(VALU_DEP_2)
	v_fmac_f32_e32 v39, v34, v38
	v_mov_b64_e32 v[34:35], s[12:13]
	v_fma_f32 v29, -v29, v39, v36
	v_mov_b64_e32 v[36:37], s[14:15]
	s_delay_alu instid0(VALU_DEP_2) | instskip(NEXT) | instid1(VALU_DEP_2)
	v_div_fmas_f32 v41, v29, v38, v39
	v_pk_fma_f32 v[38:39], v[28:29], v[36:37], v[34:35] op_sel_hi:[0,1,1] neg_lo:[1,0,0] neg_hi:[1,0,0]
	v_pk_fma_f32 v[28:29], v[28:29], v[36:37], v[34:35]
	s_delay_alu instid0(VALU_DEP_3) | instskip(NEXT) | instid1(VALU_DEP_3)
	v_div_fixup_f32 v34, v41, v40, 1.0
	v_mov_b32_e32 v29, v39
	s_delay_alu instid0(VALU_DEP_1)
	v_pk_mul_f32 v[28:29], v[28:29], v[34:35] op_sel_hi:[1,0]
.LBB63_121:                             ;   in Loop: Header=BB63_89 Depth=1
	s_and_not1_saveexec_b32 s28, s1
	s_cbranch_execz .LBB63_123
; %bb.122:                              ;   in Loop: Header=BB63_89 Depth=1
	v_div_scale_f32 v28, null, v32, v32, s13
	v_div_scale_f32 v29, null, v33, v33, s12
	v_div_scale_f32 v38, vcc_lo, s13, v32, s13
	s_delay_alu instid0(VALU_DEP_3) | instskip(NEXT) | instid1(VALU_DEP_2)
	v_rcp_f32_e32 v34, v28
	v_rcp_f32_e32 v35, v29
	s_delay_alu instid0(TRANS32_DEP_2) | instskip(NEXT) | instid1(TRANS32_DEP_1)
	v_fma_f32 v36, -v28, v34, 1.0
	v_fma_f32 v37, -v29, v35, 1.0
	s_delay_alu instid0(VALU_DEP_1) | instskip(SKIP_1) | instid1(VALU_DEP_1)
	v_dual_fmac_f32 v34, v36, v34 :: v_dual_fmac_f32 v35, v37, v35
	v_div_scale_f32 v36, s1, s12, v33, s12
	v_dual_mul_f32 v37, v38, v34 :: v_dual_mul_f32 v39, v36, v35
	s_delay_alu instid0(VALU_DEP_1) | instskip(NEXT) | instid1(VALU_DEP_1)
	v_dual_fma_f32 v40, -v28, v37, v38 :: v_dual_fma_f32 v41, -v29, v39, v36
	v_dual_fmac_f32 v37, v40, v34 :: v_dual_fmac_f32 v39, v41, v35
	s_delay_alu instid0(VALU_DEP_1) | instskip(NEXT) | instid1(VALU_DEP_1)
	v_dual_fma_f32 v28, -v28, v37, v38 :: v_dual_fma_f32 v29, -v29, v39, v36
	v_div_fmas_f32 v28, v28, v34, v37
	s_mov_b32 vcc_lo, s1
	s_delay_alu instid0(VALU_DEP_2) | instskip(NEXT) | instid1(VALU_DEP_2)
	v_div_fmas_f32 v34, v29, v35, v39
	v_div_fixup_f32 v29, v28, v32, s13
	s_delay_alu instid0(VALU_DEP_2)
	v_div_fixup_f32 v28, v34, v33, s12
.LBB63_123:                             ;   in Loop: Header=BB63_89 Depth=1
	s_or_b32 exec_lo, exec_lo, s28
.LBB63_124:                             ;   in Loop: Header=BB63_89 Depth=1
	s_and_not1_saveexec_b32 s1, s27
	s_cbranch_execz .LBB63_126
; %bb.125:                              ;   in Loop: Header=BB63_89 Depth=1
	v_div_scale_f32 v28, null, v31, v31, v30
	v_div_scale_f32 v35, vcc_lo, v30, v31, v30
	s_delay_alu instid0(VALU_DEP_2) | instskip(SKIP_1) | instid1(TRANS32_DEP_1)
	v_rcp_f32_e32 v29, v28
	v_nop
	v_fma_f32 v34, -v28, v29, 1.0
	s_delay_alu instid0(VALU_DEP_1) | instskip(NEXT) | instid1(VALU_DEP_1)
	v_fmac_f32_e32 v29, v34, v29
	v_mul_f32_e32 v34, v35, v29
	s_delay_alu instid0(VALU_DEP_1) | instskip(NEXT) | instid1(VALU_DEP_1)
	v_fma_f32 v36, -v28, v34, v35
	v_fmac_f32_e32 v34, v36, v29
	s_delay_alu instid0(VALU_DEP_1) | instskip(NEXT) | instid1(VALU_DEP_1)
	v_fma_f32 v28, -v28, v34, v35
	v_div_fmas_f32 v28, v28, v29, v34
	s_delay_alu instid0(VALU_DEP_1) | instskip(NEXT) | instid1(VALU_DEP_1)
	v_div_fixup_f32 v28, v28, v31, v30
	v_fma_f32 v40, v30, v28, v31
	s_delay_alu instid0(VALU_DEP_1) | instskip(SKIP_1) | instid1(VALU_DEP_2)
	v_div_scale_f32 v29, null, v40, v40, 1.0
	v_div_scale_f32 v36, vcc_lo, 1.0, v40, 1.0
	v_rcp_f32_e32 v38, v29
	v_nop
	s_delay_alu instid0(TRANS32_DEP_1) | instskip(NEXT) | instid1(VALU_DEP_1)
	v_fma_f32 v34, -v29, v38, 1.0
	v_fmac_f32_e32 v38, v34, v38
	s_delay_alu instid0(VALU_DEP_1) | instskip(NEXT) | instid1(VALU_DEP_1)
	v_mul_f32_e32 v39, v36, v38
	v_fma_f32 v34, -v29, v39, v36
	s_delay_alu instid0(VALU_DEP_1) | instskip(SKIP_1) | instid1(VALU_DEP_2)
	v_fmac_f32_e32 v39, v34, v38
	v_mov_b64_e32 v[34:35], s[14:15]
	v_fma_f32 v29, -v29, v39, v36
	v_mov_b64_e32 v[36:37], s[12:13]
	s_delay_alu instid0(VALU_DEP_2) | instskip(NEXT) | instid1(VALU_DEP_2)
	v_div_fmas_f32 v41, v29, v38, v39
	v_pk_fma_f32 v[38:39], v[28:29], v[36:37], v[34:35] op_sel_hi:[0,1,1] neg_lo:[0,0,1] neg_hi:[0,0,1]
	v_pk_fma_f32 v[28:29], v[28:29], v[36:37], v[34:35]
	s_delay_alu instid0(VALU_DEP_3) | instskip(NEXT) | instid1(VALU_DEP_3)
	v_div_fixup_f32 v34, v41, v40, 1.0
	v_mov_b32_e32 v29, v39
	s_delay_alu instid0(VALU_DEP_1)
	v_pk_mul_f32 v[28:29], v[28:29], v[34:35] op_sel_hi:[1,0]
.LBB63_126:                             ;   in Loop: Header=BB63_89 Depth=1
	s_or_b32 exec_lo, exec_lo, s1
	v_mov_b64_e32 v[34:35], s[16:17]
	v_mov_b64_e32 v[36:37], s[10:11]
	s_mov_b32 s1, 0
	s_delay_alu instid0(VALU_DEP_2) | instskip(NEXT) | instid1(VALU_DEP_2)
	v_pk_mul_f32 v[34:35], v[28:29], v[34:35] op_sel:[1,0]
	v_pk_mul_f32 v[38:39], v[28:29], v[36:37] op_sel_hi:[0,1]
	s_delay_alu instid0(VALU_DEP_2) | instskip(NEXT) | instid1(VALU_DEP_2)
	v_pk_fma_f32 v[28:29], v[28:29], v[36:37], v[34:35] op_sel_hi:[0,1,1]
	v_sub_f32_e32 v28, v38, v34
.LBB63_127:                             ;   in Loop: Header=BB63_89 Depth=1
	s_and_b32 vcc_lo, exec_lo, s1
	s_cbranch_vccz .LBB63_137
; %bb.128:                              ;   in Loop: Header=BB63_89 Depth=1
                                        ; implicit-def: $vgpr29
	s_and_saveexec_b32 s1, s0
	s_delay_alu instid0(SALU_CYCLE_1)
	s_xor_b32 s1, exec_lo, s1
	s_cbranch_execz .LBB63_134
; %bb.129:                              ;   in Loop: Header=BB63_89 Depth=1
	v_cmp_neq_f32_e32 vcc_lo, 0, v30
	v_cmp_neq_f32_e64 s0, 0, v31
                                        ; implicit-def: $vgpr29
	s_or_b32 s0, s0, vcc_lo
	s_delay_alu instid0(SALU_CYCLE_1) | instskip(NEXT) | instid1(SALU_CYCLE_1)
	s_and_saveexec_b32 s27, s0
	s_xor_b32 s0, exec_lo, s27
	s_cbranch_execz .LBB63_131
; %bb.130:                              ;   in Loop: Header=BB63_89 Depth=1
	v_div_scale_f32 v28, null, v30, v30, v31
	v_div_scale_f32 v33, vcc_lo, v31, v30, v31
	s_delay_alu instid0(VALU_DEP_2) | instskip(SKIP_1) | instid1(TRANS32_DEP_1)
	v_rcp_f32_e32 v29, v28
	v_nop
	v_fma_f32 v32, -v28, v29, 1.0
	s_delay_alu instid0(VALU_DEP_1) | instskip(NEXT) | instid1(VALU_DEP_1)
	v_fmac_f32_e32 v29, v32, v29
	v_mul_f32_e32 v32, v33, v29
	s_delay_alu instid0(VALU_DEP_1) | instskip(NEXT) | instid1(VALU_DEP_1)
	v_fma_f32 v34, -v28, v32, v33
	v_fmac_f32_e32 v32, v34, v29
	s_delay_alu instid0(VALU_DEP_1) | instskip(NEXT) | instid1(VALU_DEP_1)
	v_fma_f32 v28, -v28, v32, v33
	v_div_fmas_f32 v28, v28, v29, v32
	s_delay_alu instid0(VALU_DEP_1) | instskip(NEXT) | instid1(VALU_DEP_1)
	v_div_fixup_f32 v28, v28, v30, v31
	v_fmac_f32_e32 v30, v31, v28
	s_delay_alu instid0(VALU_DEP_1) | instskip(SKIP_1) | instid1(VALU_DEP_2)
	v_div_scale_f32 v29, null, v30, v30, 1.0
	v_div_scale_f32 v34, vcc_lo, 1.0, v30, 1.0
	v_rcp_f32_e32 v31, v29
	v_nop
	s_delay_alu instid0(TRANS32_DEP_1) | instskip(NEXT) | instid1(VALU_DEP_1)
	v_fma_f32 v32, -v29, v31, 1.0
	v_fmac_f32_e32 v31, v32, v31
	s_delay_alu instid0(VALU_DEP_1) | instskip(NEXT) | instid1(VALU_DEP_1)
	v_mul_f32_e32 v36, v34, v31
	v_fma_f32 v32, -v29, v36, v34
	s_delay_alu instid0(VALU_DEP_1) | instskip(SKIP_1) | instid1(VALU_DEP_2)
	v_fmac_f32_e32 v36, v32, v31
	v_mov_b64_e32 v[32:33], s[12:13]
	v_fma_f32 v29, -v29, v36, v34
	v_mov_b64_e32 v[34:35], s[14:15]
	s_delay_alu instid0(VALU_DEP_2) | instskip(NEXT) | instid1(VALU_DEP_2)
	v_div_fmas_f32 v31, v29, v31, v36
	v_pk_fma_f32 v[36:37], v[28:29], v[34:35], v[32:33] op_sel_hi:[0,1,1] neg_lo:[1,0,0] neg_hi:[1,0,0]
	v_pk_fma_f32 v[28:29], v[28:29], v[34:35], v[32:33]
	s_delay_alu instid0(VALU_DEP_3) | instskip(NEXT) | instid1(VALU_DEP_3)
	v_div_fixup_f32 v30, v31, v30, 1.0
                                        ; implicit-def: $vgpr33
                                        ; implicit-def: $vgpr32
	v_mov_b32_e32 v29, v37
	s_delay_alu instid0(VALU_DEP_1)
	v_pk_mul_f32 v[28:29], v[28:29], v[30:31] op_sel_hi:[1,0]
.LBB63_131:                             ;   in Loop: Header=BB63_89 Depth=1
	s_and_not1_saveexec_b32 s27, s0
	s_cbranch_execz .LBB63_133
; %bb.132:                              ;   in Loop: Header=BB63_89 Depth=1
	v_div_scale_f32 v28, null, v33, v33, s12
	v_div_scale_f32 v29, null, v32, v32, s13
	v_div_scale_f32 v36, vcc_lo, s12, v33, s12
	s_delay_alu instid0(VALU_DEP_3) | instskip(NEXT) | instid1(VALU_DEP_2)
	v_rcp_f32_e32 v30, v28
	v_rcp_f32_e32 v31, v29
	s_delay_alu instid0(TRANS32_DEP_2) | instskip(NEXT) | instid1(TRANS32_DEP_1)
	v_fma_f32 v34, -v28, v30, 1.0
	v_fma_f32 v35, -v29, v31, 1.0
	s_delay_alu instid0(VALU_DEP_1) | instskip(SKIP_1) | instid1(VALU_DEP_1)
	v_dual_fmac_f32 v30, v34, v30 :: v_dual_fmac_f32 v31, v35, v31
	v_div_scale_f32 v34, s0, s13, v32, s13
	v_dual_mul_f32 v35, v36, v30 :: v_dual_mul_f32 v37, v34, v31
	s_delay_alu instid0(VALU_DEP_1) | instskip(NEXT) | instid1(VALU_DEP_1)
	v_dual_fma_f32 v38, -v28, v35, v36 :: v_dual_fma_f32 v39, -v29, v37, v34
	v_dual_fmac_f32 v35, v38, v30 :: v_dual_fmac_f32 v37, v39, v31
	s_delay_alu instid0(VALU_DEP_1) | instskip(NEXT) | instid1(VALU_DEP_1)
	v_dual_fma_f32 v28, -v28, v35, v36 :: v_dual_fma_f32 v29, -v29, v37, v34
	v_div_fmas_f32 v28, v28, v30, v35
	s_mov_b32 vcc_lo, s0
	s_delay_alu instid0(VALU_DEP_2) | instskip(NEXT) | instid1(VALU_DEP_2)
	v_div_fmas_f32 v29, v29, v31, v37
	v_div_fixup_f32 v28, v28, v33, s12
	s_delay_alu instid0(VALU_DEP_2)
	v_div_fixup_f32 v29, v29, v32, s13
.LBB63_133:                             ;   in Loop: Header=BB63_89 Depth=1
	s_or_b32 exec_lo, exec_lo, s27
                                        ; implicit-def: $vgpr31
.LBB63_134:                             ;   in Loop: Header=BB63_89 Depth=1
	s_and_not1_saveexec_b32 s0, s1
	s_cbranch_execz .LBB63_136
; %bb.135:                              ;   in Loop: Header=BB63_89 Depth=1
	v_div_scale_f32 v28, null, v31, v31, v30
	v_div_scale_f32 v33, vcc_lo, v30, v31, v30
	s_delay_alu instid0(VALU_DEP_2) | instskip(SKIP_1) | instid1(TRANS32_DEP_1)
	v_rcp_f32_e32 v29, v28
	v_nop
	v_fma_f32 v32, -v28, v29, 1.0
	s_delay_alu instid0(VALU_DEP_1) | instskip(NEXT) | instid1(VALU_DEP_1)
	v_fmac_f32_e32 v29, v32, v29
	v_mul_f32_e32 v32, v33, v29
	s_delay_alu instid0(VALU_DEP_1) | instskip(NEXT) | instid1(VALU_DEP_1)
	v_fma_f32 v34, -v28, v32, v33
	v_fmac_f32_e32 v32, v34, v29
	s_delay_alu instid0(VALU_DEP_1) | instskip(NEXT) | instid1(VALU_DEP_1)
	v_fma_f32 v28, -v28, v32, v33
	v_div_fmas_f32 v28, v28, v29, v32
	s_delay_alu instid0(VALU_DEP_1) | instskip(NEXT) | instid1(VALU_DEP_1)
	v_div_fixup_f32 v28, v28, v31, v30
	v_fmac_f32_e32 v31, v30, v28
	s_delay_alu instid0(VALU_DEP_1) | instskip(SKIP_1) | instid1(VALU_DEP_2)
	v_div_scale_f32 v29, null, v31, v31, 1.0
	v_div_scale_f32 v34, vcc_lo, 1.0, v31, 1.0
	v_rcp_f32_e32 v30, v29
	v_nop
	s_delay_alu instid0(TRANS32_DEP_1) | instskip(NEXT) | instid1(VALU_DEP_1)
	v_fma_f32 v32, -v29, v30, 1.0
	v_fmac_f32_e32 v30, v32, v30
	s_delay_alu instid0(VALU_DEP_1) | instskip(NEXT) | instid1(VALU_DEP_1)
	v_mul_f32_e32 v36, v34, v30
	v_fma_f32 v32, -v29, v36, v34
	s_delay_alu instid0(VALU_DEP_1) | instskip(SKIP_1) | instid1(VALU_DEP_2)
	v_fmac_f32_e32 v36, v32, v30
	v_mov_b64_e32 v[32:33], s[14:15]
	v_fma_f32 v29, -v29, v36, v34
	v_mov_b64_e32 v[34:35], s[12:13]
	s_delay_alu instid0(VALU_DEP_2) | instskip(NEXT) | instid1(VALU_DEP_2)
	v_div_fmas_f32 v30, v29, v30, v36
	v_pk_fma_f32 v[36:37], v[28:29], v[34:35], v[32:33] op_sel_hi:[0,1,1] neg_lo:[0,0,1] neg_hi:[0,0,1]
	v_pk_fma_f32 v[28:29], v[28:29], v[34:35], v[32:33]
	s_delay_alu instid0(VALU_DEP_3) | instskip(NEXT) | instid1(VALU_DEP_3)
	v_div_fixup_f32 v30, v30, v31, 1.0
	v_mov_b32_e32 v29, v37
	s_delay_alu instid0(VALU_DEP_1)
	v_pk_mul_f32 v[28:29], v[28:29], v[30:31] op_sel_hi:[1,0]
.LBB63_136:                             ;   in Loop: Header=BB63_89 Depth=1
	s_or_b32 exec_lo, exec_lo, s0
.LBB63_137:                             ;   in Loop: Header=BB63_89 Depth=1
	v_cmp_gt_f32_e32 vcc_lo, 0, v27
	s_mov_b32 s1, -1
                                        ; implicit-def: $vgpr31
	v_cndmask_b32_e64 v32, v27, -v27, vcc_lo
	v_cmp_gt_f32_e32 vcc_lo, 0, v26
	v_cndmask_b32_e64 v33, v26, -v26, vcc_lo
	s_and_not1_b32 vcc_lo, exec_lo, s26
	s_delay_alu instid0(VALU_DEP_1)
	v_cmp_ge_f32_e64 s0, v33, v32
	s_cbranch_vccnz .LBB63_147
; %bb.138:                              ;   in Loop: Header=BB63_89 Depth=1
                                        ; implicit-def: $vgpr30_vgpr31
	s_and_saveexec_b32 s1, s0
	s_delay_alu instid0(SALU_CYCLE_1)
	s_xor_b32 s27, exec_lo, s1
	s_cbranch_execz .LBB63_144
; %bb.139:                              ;   in Loop: Header=BB63_89 Depth=1
	v_cmp_neq_f32_e32 vcc_lo, 0, v26
	v_cmp_neq_f32_e64 s1, 0, v27
                                        ; implicit-def: $vgpr30_vgpr31
	s_or_b32 s1, s1, vcc_lo
	s_delay_alu instid0(SALU_CYCLE_1) | instskip(NEXT) | instid1(SALU_CYCLE_1)
	s_and_saveexec_b32 s28, s1
	s_xor_b32 s1, exec_lo, s28
	s_cbranch_execz .LBB63_141
; %bb.140:                              ;   in Loop: Header=BB63_89 Depth=1
	v_div_scale_f32 v30, null, v26, v26, v27
	v_div_scale_f32 v35, vcc_lo, v27, v26, v27
	s_delay_alu instid0(VALU_DEP_2) | instskip(SKIP_1) | instid1(TRANS32_DEP_1)
	v_rcp_f32_e32 v31, v30
	v_nop
	v_fma_f32 v34, -v30, v31, 1.0
	s_delay_alu instid0(VALU_DEP_1) | instskip(NEXT) | instid1(VALU_DEP_1)
	v_fmac_f32_e32 v31, v34, v31
	v_mul_f32_e32 v34, v35, v31
	s_delay_alu instid0(VALU_DEP_1) | instskip(NEXT) | instid1(VALU_DEP_1)
	v_fma_f32 v36, -v30, v34, v35
	v_fmac_f32_e32 v34, v36, v31
	s_delay_alu instid0(VALU_DEP_1) | instskip(NEXT) | instid1(VALU_DEP_1)
	v_fma_f32 v30, -v30, v34, v35
	v_div_fmas_f32 v30, v30, v31, v34
	s_delay_alu instid0(VALU_DEP_1) | instskip(NEXT) | instid1(VALU_DEP_1)
	v_div_fixup_f32 v30, v30, v26, v27
	v_fma_f32 v40, v27, v30, v26
	s_delay_alu instid0(VALU_DEP_1) | instskip(SKIP_1) | instid1(VALU_DEP_2)
	v_div_scale_f32 v31, null, v40, v40, 1.0
	v_div_scale_f32 v36, vcc_lo, 1.0, v40, 1.0
	v_rcp_f32_e32 v38, v31
	v_nop
	s_delay_alu instid0(TRANS32_DEP_1) | instskip(NEXT) | instid1(VALU_DEP_1)
	v_fma_f32 v34, -v31, v38, 1.0
	v_fmac_f32_e32 v38, v34, v38
	s_delay_alu instid0(VALU_DEP_1) | instskip(NEXT) | instid1(VALU_DEP_1)
	v_mul_f32_e32 v39, v36, v38
	v_fma_f32 v34, -v31, v39, v36
	s_delay_alu instid0(VALU_DEP_1) | instskip(SKIP_1) | instid1(VALU_DEP_2)
	v_fmac_f32_e32 v39, v34, v38
	v_mov_b64_e32 v[34:35], s[12:13]
	v_fma_f32 v31, -v31, v39, v36
	v_mov_b64_e32 v[36:37], s[14:15]
	s_delay_alu instid0(VALU_DEP_2) | instskip(NEXT) | instid1(VALU_DEP_2)
	v_div_fmas_f32 v41, v31, v38, v39
	v_pk_fma_f32 v[38:39], v[30:31], v[36:37], v[34:35] op_sel_hi:[0,1,1] neg_lo:[1,0,0] neg_hi:[1,0,0]
	v_pk_fma_f32 v[30:31], v[30:31], v[36:37], v[34:35]
	s_delay_alu instid0(VALU_DEP_3) | instskip(NEXT) | instid1(VALU_DEP_3)
	v_div_fixup_f32 v34, v41, v40, 1.0
	v_mov_b32_e32 v31, v39
	s_delay_alu instid0(VALU_DEP_1)
	v_pk_mul_f32 v[30:31], v[30:31], v[34:35] op_sel_hi:[1,0]
.LBB63_141:                             ;   in Loop: Header=BB63_89 Depth=1
	s_and_not1_saveexec_b32 s28, s1
	s_cbranch_execz .LBB63_143
; %bb.142:                              ;   in Loop: Header=BB63_89 Depth=1
	v_div_scale_f32 v30, null, v32, v32, s13
	v_div_scale_f32 v31, null, v33, v33, s12
	v_div_scale_f32 v38, vcc_lo, s13, v32, s13
	s_delay_alu instid0(VALU_DEP_3) | instskip(NEXT) | instid1(VALU_DEP_2)
	v_rcp_f32_e32 v34, v30
	v_rcp_f32_e32 v35, v31
	s_delay_alu instid0(TRANS32_DEP_2) | instskip(NEXT) | instid1(TRANS32_DEP_1)
	v_fma_f32 v36, -v30, v34, 1.0
	v_fma_f32 v37, -v31, v35, 1.0
	s_delay_alu instid0(VALU_DEP_1) | instskip(SKIP_1) | instid1(VALU_DEP_1)
	v_dual_fmac_f32 v34, v36, v34 :: v_dual_fmac_f32 v35, v37, v35
	v_div_scale_f32 v36, s1, s12, v33, s12
	v_dual_mul_f32 v37, v38, v34 :: v_dual_mul_f32 v39, v36, v35
	s_delay_alu instid0(VALU_DEP_1) | instskip(NEXT) | instid1(VALU_DEP_1)
	v_dual_fma_f32 v40, -v30, v37, v38 :: v_dual_fma_f32 v41, -v31, v39, v36
	v_dual_fmac_f32 v37, v40, v34 :: v_dual_fmac_f32 v39, v41, v35
	s_delay_alu instid0(VALU_DEP_1) | instskip(NEXT) | instid1(VALU_DEP_1)
	v_dual_fma_f32 v30, -v30, v37, v38 :: v_dual_fma_f32 v31, -v31, v39, v36
	v_div_fmas_f32 v30, v30, v34, v37
	s_mov_b32 vcc_lo, s1
	s_delay_alu instid0(VALU_DEP_2) | instskip(NEXT) | instid1(VALU_DEP_2)
	v_div_fmas_f32 v34, v31, v35, v39
	v_div_fixup_f32 v31, v30, v32, s13
	s_delay_alu instid0(VALU_DEP_2)
	v_div_fixup_f32 v30, v34, v33, s12
.LBB63_143:                             ;   in Loop: Header=BB63_89 Depth=1
	s_or_b32 exec_lo, exec_lo, s28
.LBB63_144:                             ;   in Loop: Header=BB63_89 Depth=1
	s_and_not1_saveexec_b32 s1, s27
	s_cbranch_execz .LBB63_146
; %bb.145:                              ;   in Loop: Header=BB63_89 Depth=1
	v_div_scale_f32 v30, null, v27, v27, v26
	v_div_scale_f32 v35, vcc_lo, v26, v27, v26
	s_delay_alu instid0(VALU_DEP_2) | instskip(SKIP_1) | instid1(TRANS32_DEP_1)
	v_rcp_f32_e32 v31, v30
	v_nop
	v_fma_f32 v34, -v30, v31, 1.0
	s_delay_alu instid0(VALU_DEP_1) | instskip(NEXT) | instid1(VALU_DEP_1)
	v_fmac_f32_e32 v31, v34, v31
	v_mul_f32_e32 v34, v35, v31
	s_delay_alu instid0(VALU_DEP_1) | instskip(NEXT) | instid1(VALU_DEP_1)
	v_fma_f32 v36, -v30, v34, v35
	v_fmac_f32_e32 v34, v36, v31
	s_delay_alu instid0(VALU_DEP_1) | instskip(NEXT) | instid1(VALU_DEP_1)
	v_fma_f32 v30, -v30, v34, v35
	v_div_fmas_f32 v30, v30, v31, v34
	s_delay_alu instid0(VALU_DEP_1) | instskip(NEXT) | instid1(VALU_DEP_1)
	v_div_fixup_f32 v30, v30, v27, v26
	v_fma_f32 v40, v26, v30, v27
	s_delay_alu instid0(VALU_DEP_1) | instskip(SKIP_1) | instid1(VALU_DEP_2)
	v_div_scale_f32 v31, null, v40, v40, 1.0
	v_div_scale_f32 v36, vcc_lo, 1.0, v40, 1.0
	v_rcp_f32_e32 v38, v31
	v_nop
	s_delay_alu instid0(TRANS32_DEP_1) | instskip(NEXT) | instid1(VALU_DEP_1)
	v_fma_f32 v34, -v31, v38, 1.0
	v_fmac_f32_e32 v38, v34, v38
	s_delay_alu instid0(VALU_DEP_1) | instskip(NEXT) | instid1(VALU_DEP_1)
	v_mul_f32_e32 v39, v36, v38
	v_fma_f32 v34, -v31, v39, v36
	s_delay_alu instid0(VALU_DEP_1) | instskip(SKIP_1) | instid1(VALU_DEP_2)
	v_fmac_f32_e32 v39, v34, v38
	v_mov_b64_e32 v[34:35], s[14:15]
	v_fma_f32 v31, -v31, v39, v36
	v_mov_b64_e32 v[36:37], s[12:13]
	s_delay_alu instid0(VALU_DEP_2) | instskip(NEXT) | instid1(VALU_DEP_2)
	v_div_fmas_f32 v41, v31, v38, v39
	v_pk_fma_f32 v[38:39], v[30:31], v[36:37], v[34:35] op_sel_hi:[0,1,1] neg_lo:[0,0,1] neg_hi:[0,0,1]
	v_pk_fma_f32 v[30:31], v[30:31], v[36:37], v[34:35]
	s_delay_alu instid0(VALU_DEP_3) | instskip(NEXT) | instid1(VALU_DEP_3)
	v_div_fixup_f32 v34, v41, v40, 1.0
	v_mov_b32_e32 v31, v39
	s_delay_alu instid0(VALU_DEP_1)
	v_pk_mul_f32 v[30:31], v[30:31], v[34:35] op_sel_hi:[1,0]
.LBB63_146:                             ;   in Loop: Header=BB63_89 Depth=1
	s_or_b32 exec_lo, exec_lo, s1
	v_mov_b64_e32 v[34:35], s[16:17]
	v_mov_b64_e32 v[36:37], s[10:11]
	s_mov_b32 s1, 0
	s_delay_alu instid0(VALU_DEP_2) | instskip(NEXT) | instid1(VALU_DEP_2)
	v_pk_mul_f32 v[34:35], v[30:31], v[34:35] op_sel:[1,0]
	v_pk_mul_f32 v[38:39], v[30:31], v[36:37] op_sel_hi:[0,1]
	s_delay_alu instid0(VALU_DEP_2) | instskip(NEXT) | instid1(VALU_DEP_2)
	v_pk_fma_f32 v[30:31], v[30:31], v[36:37], v[34:35] op_sel_hi:[0,1,1]
	v_sub_f32_e32 v30, v38, v34
.LBB63_147:                             ;   in Loop: Header=BB63_89 Depth=1
	s_and_b32 vcc_lo, exec_lo, s1
	s_cbranch_vccz .LBB63_157
; %bb.148:                              ;   in Loop: Header=BB63_89 Depth=1
                                        ; implicit-def: $vgpr31
	s_and_saveexec_b32 s1, s0
	s_delay_alu instid0(SALU_CYCLE_1)
	s_xor_b32 s1, exec_lo, s1
	s_cbranch_execz .LBB63_154
; %bb.149:                              ;   in Loop: Header=BB63_89 Depth=1
	v_cmp_neq_f32_e32 vcc_lo, 0, v26
	v_cmp_neq_f32_e64 s0, 0, v27
                                        ; implicit-def: $vgpr31
	s_or_b32 s0, s0, vcc_lo
	s_delay_alu instid0(SALU_CYCLE_1) | instskip(NEXT) | instid1(SALU_CYCLE_1)
	s_and_saveexec_b32 s27, s0
	s_xor_b32 s0, exec_lo, s27
	s_cbranch_execz .LBB63_151
; %bb.150:                              ;   in Loop: Header=BB63_89 Depth=1
	v_div_scale_f32 v30, null, v26, v26, v27
	v_div_scale_f32 v33, vcc_lo, v27, v26, v27
	s_delay_alu instid0(VALU_DEP_2) | instskip(SKIP_1) | instid1(TRANS32_DEP_1)
	v_rcp_f32_e32 v31, v30
	v_nop
	v_fma_f32 v32, -v30, v31, 1.0
	s_delay_alu instid0(VALU_DEP_1) | instskip(NEXT) | instid1(VALU_DEP_1)
	v_fmac_f32_e32 v31, v32, v31
	v_mul_f32_e32 v32, v33, v31
	s_delay_alu instid0(VALU_DEP_1) | instskip(NEXT) | instid1(VALU_DEP_1)
	v_fma_f32 v34, -v30, v32, v33
	v_fmac_f32_e32 v32, v34, v31
	s_delay_alu instid0(VALU_DEP_1) | instskip(NEXT) | instid1(VALU_DEP_1)
	v_fma_f32 v30, -v30, v32, v33
	v_div_fmas_f32 v30, v30, v31, v32
	s_delay_alu instid0(VALU_DEP_1) | instskip(NEXT) | instid1(VALU_DEP_1)
	v_div_fixup_f32 v30, v30, v26, v27
	v_fmac_f32_e32 v26, v27, v30
	s_delay_alu instid0(VALU_DEP_1) | instskip(SKIP_1) | instid1(VALU_DEP_2)
	v_div_scale_f32 v27, null, v26, v26, 1.0
	v_div_scale_f32 v34, vcc_lo, 1.0, v26, 1.0
	v_rcp_f32_e32 v31, v27
	v_nop
	s_delay_alu instid0(TRANS32_DEP_1) | instskip(NEXT) | instid1(VALU_DEP_1)
	v_fma_f32 v32, -v27, v31, 1.0
	v_fmac_f32_e32 v31, v32, v31
	s_delay_alu instid0(VALU_DEP_1) | instskip(NEXT) | instid1(VALU_DEP_1)
	v_mul_f32_e32 v36, v34, v31
	v_fma_f32 v32, -v27, v36, v34
	s_delay_alu instid0(VALU_DEP_1) | instskip(SKIP_1) | instid1(VALU_DEP_2)
	v_fmac_f32_e32 v36, v32, v31
	v_mov_b64_e32 v[32:33], s[12:13]
	v_fma_f32 v27, -v27, v36, v34
	v_mov_b64_e32 v[34:35], s[14:15]
	s_delay_alu instid0(VALU_DEP_2) | instskip(NEXT) | instid1(VALU_DEP_2)
	v_div_fmas_f32 v27, v27, v31, v36
	v_pk_fma_f32 v[36:37], v[30:31], v[34:35], v[32:33] op_sel_hi:[0,1,1] neg_lo:[1,0,0] neg_hi:[1,0,0]
	v_pk_fma_f32 v[30:31], v[30:31], v[34:35], v[32:33]
	s_delay_alu instid0(VALU_DEP_3) | instskip(NEXT) | instid1(VALU_DEP_3)
	v_div_fixup_f32 v26, v27, v26, 1.0
                                        ; implicit-def: $vgpr33
                                        ; implicit-def: $vgpr32
	v_mov_b32_e32 v31, v37
	s_delay_alu instid0(VALU_DEP_1)
	v_pk_mul_f32 v[30:31], v[30:31], v[26:27] op_sel_hi:[1,0]
.LBB63_151:                             ;   in Loop: Header=BB63_89 Depth=1
	s_and_not1_saveexec_b32 s27, s0
	s_cbranch_execz .LBB63_153
; %bb.152:                              ;   in Loop: Header=BB63_89 Depth=1
	v_div_scale_f32 v26, null, v33, v33, s12
	v_div_scale_f32 v27, null, v32, v32, s13
	v_div_scale_f32 v36, vcc_lo, s12, v33, s12
	s_delay_alu instid0(VALU_DEP_3) | instskip(NEXT) | instid1(VALU_DEP_2)
	v_rcp_f32_e32 v30, v26
	v_rcp_f32_e32 v31, v27
	s_delay_alu instid0(TRANS32_DEP_2) | instskip(NEXT) | instid1(TRANS32_DEP_1)
	v_fma_f32 v34, -v26, v30, 1.0
	v_fma_f32 v35, -v27, v31, 1.0
	s_delay_alu instid0(VALU_DEP_1) | instskip(SKIP_1) | instid1(VALU_DEP_1)
	v_dual_fmac_f32 v30, v34, v30 :: v_dual_fmac_f32 v31, v35, v31
	v_div_scale_f32 v34, s0, s13, v32, s13
	v_dual_mul_f32 v35, v36, v30 :: v_dual_mul_f32 v37, v34, v31
	s_delay_alu instid0(VALU_DEP_1) | instskip(NEXT) | instid1(VALU_DEP_1)
	v_dual_fma_f32 v38, -v26, v35, v36 :: v_dual_fma_f32 v39, -v27, v37, v34
	v_dual_fmac_f32 v35, v38, v30 :: v_dual_fmac_f32 v37, v39, v31
	s_delay_alu instid0(VALU_DEP_1) | instskip(NEXT) | instid1(VALU_DEP_1)
	v_dual_fma_f32 v26, -v26, v35, v36 :: v_dual_fma_f32 v27, -v27, v37, v34
	v_div_fmas_f32 v26, v26, v30, v35
	s_mov_b32 vcc_lo, s0
	s_delay_alu instid0(VALU_DEP_2) | instskip(NEXT) | instid1(VALU_DEP_2)
	v_div_fmas_f32 v27, v27, v31, v37
	v_div_fixup_f32 v30, v26, v33, s12
	s_delay_alu instid0(VALU_DEP_2)
	v_div_fixup_f32 v31, v27, v32, s13
.LBB63_153:                             ;   in Loop: Header=BB63_89 Depth=1
	s_or_b32 exec_lo, exec_lo, s27
                                        ; implicit-def: $vgpr27
.LBB63_154:                             ;   in Loop: Header=BB63_89 Depth=1
	s_and_not1_saveexec_b32 s0, s1
	s_cbranch_execz .LBB63_156
; %bb.155:                              ;   in Loop: Header=BB63_89 Depth=1
	v_div_scale_f32 v30, null, v27, v27, v26
	v_div_scale_f32 v33, vcc_lo, v26, v27, v26
	s_delay_alu instid0(VALU_DEP_2) | instskip(SKIP_1) | instid1(TRANS32_DEP_1)
	v_rcp_f32_e32 v31, v30
	v_nop
	v_fma_f32 v32, -v30, v31, 1.0
	s_delay_alu instid0(VALU_DEP_1) | instskip(NEXT) | instid1(VALU_DEP_1)
	v_fmac_f32_e32 v31, v32, v31
	v_mul_f32_e32 v32, v33, v31
	s_delay_alu instid0(VALU_DEP_1) | instskip(NEXT) | instid1(VALU_DEP_1)
	v_fma_f32 v34, -v30, v32, v33
	v_fmac_f32_e32 v32, v34, v31
	s_delay_alu instid0(VALU_DEP_1) | instskip(NEXT) | instid1(VALU_DEP_1)
	v_fma_f32 v30, -v30, v32, v33
	v_div_fmas_f32 v30, v30, v31, v32
	s_delay_alu instid0(VALU_DEP_1) | instskip(NEXT) | instid1(VALU_DEP_1)
	v_div_fixup_f32 v30, v30, v27, v26
	v_fmac_f32_e32 v27, v26, v30
	s_delay_alu instid0(VALU_DEP_1) | instskip(SKIP_1) | instid1(VALU_DEP_2)
	v_div_scale_f32 v26, null, v27, v27, 1.0
	v_div_scale_f32 v34, vcc_lo, 1.0, v27, 1.0
	v_rcp_f32_e32 v31, v26
	v_nop
	s_delay_alu instid0(TRANS32_DEP_1) | instskip(NEXT) | instid1(VALU_DEP_1)
	v_fma_f32 v32, -v26, v31, 1.0
	v_fmac_f32_e32 v31, v32, v31
	s_delay_alu instid0(VALU_DEP_1) | instskip(NEXT) | instid1(VALU_DEP_1)
	v_mul_f32_e32 v36, v34, v31
	v_fma_f32 v32, -v26, v36, v34
	s_delay_alu instid0(VALU_DEP_1) | instskip(SKIP_1) | instid1(VALU_DEP_2)
	v_fmac_f32_e32 v36, v32, v31
	v_mov_b64_e32 v[32:33], s[14:15]
	v_fma_f32 v26, -v26, v36, v34
	v_mov_b64_e32 v[34:35], s[12:13]
	s_delay_alu instid0(VALU_DEP_2) | instskip(NEXT) | instid1(VALU_DEP_2)
	v_div_fmas_f32 v26, v26, v31, v36
	v_pk_fma_f32 v[36:37], v[30:31], v[34:35], v[32:33] op_sel_hi:[0,1,1] neg_lo:[0,0,1] neg_hi:[0,0,1]
	v_pk_fma_f32 v[30:31], v[30:31], v[34:35], v[32:33]
	s_delay_alu instid0(VALU_DEP_3) | instskip(NEXT) | instid1(VALU_DEP_3)
	v_div_fixup_f32 v26, v26, v27, 1.0
	v_mov_b32_e32 v31, v37
	s_delay_alu instid0(VALU_DEP_1)
	v_pk_mul_f32 v[30:31], v[30:31], v[26:27] op_sel_hi:[1,0]
.LBB63_156:                             ;   in Loop: Header=BB63_89 Depth=1
	s_or_b32 exec_lo, exec_lo, s0
.LBB63_157:                             ;   in Loop: Header=BB63_89 Depth=1
	v_cmp_gt_f32_e32 vcc_lo, 0, v23
	s_mov_b32 s1, -1
                                        ; implicit-def: $vgpr27
	v_cndmask_b32_e64 v32, v23, -v23, vcc_lo
	v_cmp_gt_f32_e32 vcc_lo, 0, v22
	v_cndmask_b32_e64 v33, v22, -v22, vcc_lo
	s_and_not1_b32 vcc_lo, exec_lo, s26
	s_delay_alu instid0(VALU_DEP_1)
	v_cmp_ge_f32_e64 s0, v33, v32
	s_cbranch_vccz .LBB63_163
; %bb.158:                              ;   in Loop: Header=BB63_89 Depth=1
	s_and_b32 vcc_lo, exec_lo, s1
	s_cbranch_vccnz .LBB63_172
.LBB63_159:                             ;   in Loop: Header=BB63_89 Depth=1
	s_mov_b32 s0, exec_lo
	v_cmpx_lt_u64_e64 v[6:7], v[4:5]
	s_xor_b32 s0, exec_lo, s0
	s_cbranch_execnz .LBB63_181
.LBB63_160:                             ;   in Loop: Header=BB63_89 Depth=1
	s_or_b32 exec_lo, exec_lo, s0
	s_delay_alu instid0(SALU_CYCLE_1)
	s_mov_b32 s0, exec_lo
	v_cmpx_lt_u64_e64 v[12:13], v[4:5]
	s_cbranch_execnz .LBB63_182
.LBB63_161:                             ;   in Loop: Header=BB63_89 Depth=1
	s_or_b32 exec_lo, exec_lo, s0
	s_delay_alu instid0(SALU_CYCLE_1)
	s_mov_b32 s0, exec_lo
	v_cmpx_lt_u64_e64 v[16:17], v[4:5]
	s_cbranch_execnz .LBB63_183
.LBB63_162:                             ;   in Loop: Header=BB63_89 Depth=1
	s_or_b32 exec_lo, exec_lo, s0
	s_delay_alu instid0(SALU_CYCLE_1)
	s_mov_b32 s0, exec_lo
	v_cmpx_lt_u64_e64 v[18:19], v[4:5]
	s_cbranch_execz .LBB63_88
	s_branch .LBB63_184
.LBB63_163:                             ;   in Loop: Header=BB63_89 Depth=1
                                        ; implicit-def: $vgpr26_vgpr27
	s_and_saveexec_b32 s1, s0
	s_delay_alu instid0(SALU_CYCLE_1)
	s_xor_b32 s27, exec_lo, s1
	s_cbranch_execz .LBB63_169
; %bb.164:                              ;   in Loop: Header=BB63_89 Depth=1
	v_cmp_neq_f32_e32 vcc_lo, 0, v22
	v_cmp_neq_f32_e64 s1, 0, v23
                                        ; implicit-def: $vgpr26_vgpr27
	s_or_b32 s1, s1, vcc_lo
	s_delay_alu instid0(SALU_CYCLE_1) | instskip(NEXT) | instid1(SALU_CYCLE_1)
	s_and_saveexec_b32 s28, s1
	s_xor_b32 s1, exec_lo, s28
	s_cbranch_execz .LBB63_166
; %bb.165:                              ;   in Loop: Header=BB63_89 Depth=1
	v_div_scale_f32 v26, null, v22, v22, v23
	v_div_scale_f32 v35, vcc_lo, v23, v22, v23
	s_delay_alu instid0(VALU_DEP_2) | instskip(SKIP_1) | instid1(TRANS32_DEP_1)
	v_rcp_f32_e32 v27, v26
	v_nop
	v_fma_f32 v34, -v26, v27, 1.0
	s_delay_alu instid0(VALU_DEP_1) | instskip(NEXT) | instid1(VALU_DEP_1)
	v_fmac_f32_e32 v27, v34, v27
	v_mul_f32_e32 v34, v35, v27
	s_delay_alu instid0(VALU_DEP_1) | instskip(NEXT) | instid1(VALU_DEP_1)
	v_fma_f32 v36, -v26, v34, v35
	v_fmac_f32_e32 v34, v36, v27
	s_delay_alu instid0(VALU_DEP_1) | instskip(NEXT) | instid1(VALU_DEP_1)
	v_fma_f32 v26, -v26, v34, v35
	v_div_fmas_f32 v26, v26, v27, v34
	s_delay_alu instid0(VALU_DEP_1) | instskip(NEXT) | instid1(VALU_DEP_1)
	v_div_fixup_f32 v26, v26, v22, v23
	v_fma_f32 v40, v23, v26, v22
	s_delay_alu instid0(VALU_DEP_1) | instskip(SKIP_1) | instid1(VALU_DEP_2)
	v_div_scale_f32 v27, null, v40, v40, 1.0
	v_div_scale_f32 v36, vcc_lo, 1.0, v40, 1.0
	v_rcp_f32_e32 v38, v27
	v_nop
	s_delay_alu instid0(TRANS32_DEP_1) | instskip(NEXT) | instid1(VALU_DEP_1)
	v_fma_f32 v34, -v27, v38, 1.0
	v_fmac_f32_e32 v38, v34, v38
	s_delay_alu instid0(VALU_DEP_1) | instskip(NEXT) | instid1(VALU_DEP_1)
	v_mul_f32_e32 v39, v36, v38
	v_fma_f32 v34, -v27, v39, v36
	s_delay_alu instid0(VALU_DEP_1) | instskip(SKIP_1) | instid1(VALU_DEP_2)
	v_fmac_f32_e32 v39, v34, v38
	v_mov_b64_e32 v[34:35], s[12:13]
	v_fma_f32 v27, -v27, v39, v36
	v_mov_b64_e32 v[36:37], s[14:15]
	s_delay_alu instid0(VALU_DEP_2) | instskip(NEXT) | instid1(VALU_DEP_2)
	v_div_fmas_f32 v41, v27, v38, v39
	v_pk_fma_f32 v[38:39], v[26:27], v[36:37], v[34:35] op_sel_hi:[0,1,1] neg_lo:[1,0,0] neg_hi:[1,0,0]
	v_pk_fma_f32 v[26:27], v[26:27], v[36:37], v[34:35]
	s_delay_alu instid0(VALU_DEP_3) | instskip(NEXT) | instid1(VALU_DEP_3)
	v_div_fixup_f32 v34, v41, v40, 1.0
	v_mov_b32_e32 v27, v39
	s_delay_alu instid0(VALU_DEP_1)
	v_pk_mul_f32 v[26:27], v[26:27], v[34:35] op_sel_hi:[1,0]
.LBB63_166:                             ;   in Loop: Header=BB63_89 Depth=1
	s_and_not1_saveexec_b32 s28, s1
	s_cbranch_execz .LBB63_168
; %bb.167:                              ;   in Loop: Header=BB63_89 Depth=1
	v_div_scale_f32 v26, null, v32, v32, s13
	v_div_scale_f32 v27, null, v33, v33, s12
	v_div_scale_f32 v38, vcc_lo, s13, v32, s13
	s_delay_alu instid0(VALU_DEP_3) | instskip(NEXT) | instid1(VALU_DEP_2)
	v_rcp_f32_e32 v34, v26
	v_rcp_f32_e32 v35, v27
	s_delay_alu instid0(TRANS32_DEP_2) | instskip(NEXT) | instid1(TRANS32_DEP_1)
	v_fma_f32 v36, -v26, v34, 1.0
	v_fma_f32 v37, -v27, v35, 1.0
	s_delay_alu instid0(VALU_DEP_1) | instskip(SKIP_1) | instid1(VALU_DEP_1)
	v_dual_fmac_f32 v34, v36, v34 :: v_dual_fmac_f32 v35, v37, v35
	v_div_scale_f32 v36, s1, s12, v33, s12
	v_dual_mul_f32 v37, v38, v34 :: v_dual_mul_f32 v39, v36, v35
	s_delay_alu instid0(VALU_DEP_1) | instskip(NEXT) | instid1(VALU_DEP_1)
	v_dual_fma_f32 v40, -v26, v37, v38 :: v_dual_fma_f32 v41, -v27, v39, v36
	v_dual_fmac_f32 v37, v40, v34 :: v_dual_fmac_f32 v39, v41, v35
	s_delay_alu instid0(VALU_DEP_1) | instskip(NEXT) | instid1(VALU_DEP_1)
	v_dual_fma_f32 v26, -v26, v37, v38 :: v_dual_fma_f32 v27, -v27, v39, v36
	v_div_fmas_f32 v26, v26, v34, v37
	s_mov_b32 vcc_lo, s1
	s_delay_alu instid0(VALU_DEP_2) | instskip(NEXT) | instid1(VALU_DEP_2)
	v_div_fmas_f32 v34, v27, v35, v39
	v_div_fixup_f32 v27, v26, v32, s13
	s_delay_alu instid0(VALU_DEP_2)
	v_div_fixup_f32 v26, v34, v33, s12
.LBB63_168:                             ;   in Loop: Header=BB63_89 Depth=1
	s_or_b32 exec_lo, exec_lo, s28
.LBB63_169:                             ;   in Loop: Header=BB63_89 Depth=1
	s_and_not1_saveexec_b32 s1, s27
	s_cbranch_execz .LBB63_171
; %bb.170:                              ;   in Loop: Header=BB63_89 Depth=1
	v_div_scale_f32 v26, null, v23, v23, v22
	v_div_scale_f32 v35, vcc_lo, v22, v23, v22
	s_delay_alu instid0(VALU_DEP_2) | instskip(SKIP_1) | instid1(TRANS32_DEP_1)
	v_rcp_f32_e32 v27, v26
	v_nop
	v_fma_f32 v34, -v26, v27, 1.0
	s_delay_alu instid0(VALU_DEP_1) | instskip(NEXT) | instid1(VALU_DEP_1)
	v_fmac_f32_e32 v27, v34, v27
	v_mul_f32_e32 v34, v35, v27
	s_delay_alu instid0(VALU_DEP_1) | instskip(NEXT) | instid1(VALU_DEP_1)
	v_fma_f32 v36, -v26, v34, v35
	v_fmac_f32_e32 v34, v36, v27
	s_delay_alu instid0(VALU_DEP_1) | instskip(NEXT) | instid1(VALU_DEP_1)
	v_fma_f32 v26, -v26, v34, v35
	v_div_fmas_f32 v26, v26, v27, v34
	s_delay_alu instid0(VALU_DEP_1) | instskip(NEXT) | instid1(VALU_DEP_1)
	v_div_fixup_f32 v26, v26, v23, v22
	v_fma_f32 v40, v22, v26, v23
	s_delay_alu instid0(VALU_DEP_1) | instskip(SKIP_1) | instid1(VALU_DEP_2)
	v_div_scale_f32 v27, null, v40, v40, 1.0
	v_div_scale_f32 v36, vcc_lo, 1.0, v40, 1.0
	v_rcp_f32_e32 v38, v27
	v_nop
	s_delay_alu instid0(TRANS32_DEP_1) | instskip(NEXT) | instid1(VALU_DEP_1)
	v_fma_f32 v34, -v27, v38, 1.0
	v_fmac_f32_e32 v38, v34, v38
	s_delay_alu instid0(VALU_DEP_1) | instskip(NEXT) | instid1(VALU_DEP_1)
	v_mul_f32_e32 v39, v36, v38
	v_fma_f32 v34, -v27, v39, v36
	s_delay_alu instid0(VALU_DEP_1) | instskip(SKIP_1) | instid1(VALU_DEP_2)
	v_fmac_f32_e32 v39, v34, v38
	v_mov_b64_e32 v[34:35], s[14:15]
	v_fma_f32 v27, -v27, v39, v36
	v_mov_b64_e32 v[36:37], s[12:13]
	s_delay_alu instid0(VALU_DEP_2) | instskip(NEXT) | instid1(VALU_DEP_2)
	v_div_fmas_f32 v41, v27, v38, v39
	v_pk_fma_f32 v[38:39], v[26:27], v[36:37], v[34:35] op_sel_hi:[0,1,1] neg_lo:[0,0,1] neg_hi:[0,0,1]
	v_pk_fma_f32 v[26:27], v[26:27], v[36:37], v[34:35]
	s_delay_alu instid0(VALU_DEP_3) | instskip(NEXT) | instid1(VALU_DEP_3)
	v_div_fixup_f32 v34, v41, v40, 1.0
	v_mov_b32_e32 v27, v39
	s_delay_alu instid0(VALU_DEP_1)
	v_pk_mul_f32 v[26:27], v[26:27], v[34:35] op_sel_hi:[1,0]
.LBB63_171:                             ;   in Loop: Header=BB63_89 Depth=1
	s_or_b32 exec_lo, exec_lo, s1
	v_mov_b64_e32 v[34:35], s[16:17]
	v_mov_b64_e32 v[36:37], s[10:11]
	s_delay_alu instid0(VALU_DEP_2) | instskip(NEXT) | instid1(VALU_DEP_2)
	v_pk_mul_f32 v[34:35], v[26:27], v[34:35] op_sel:[1,0]
	v_pk_mul_f32 v[38:39], v[26:27], v[36:37] op_sel_hi:[0,1]
	s_delay_alu instid0(VALU_DEP_2) | instskip(NEXT) | instid1(VALU_DEP_2)
	v_pk_fma_f32 v[26:27], v[26:27], v[36:37], v[34:35] op_sel_hi:[0,1,1]
	v_sub_f32_e32 v26, v38, v34
	s_branch .LBB63_159
.LBB63_172:                             ;   in Loop: Header=BB63_89 Depth=1
                                        ; implicit-def: $vgpr27
	s_and_saveexec_b32 s1, s0
	s_delay_alu instid0(SALU_CYCLE_1)
	s_xor_b32 s1, exec_lo, s1
	s_cbranch_execz .LBB63_178
; %bb.173:                              ;   in Loop: Header=BB63_89 Depth=1
	v_cmp_neq_f32_e32 vcc_lo, 0, v22
	v_cmp_neq_f32_e64 s0, 0, v23
                                        ; implicit-def: $vgpr27
	s_or_b32 s0, s0, vcc_lo
	s_delay_alu instid0(SALU_CYCLE_1) | instskip(NEXT) | instid1(SALU_CYCLE_1)
	s_and_saveexec_b32 s27, s0
	s_xor_b32 s0, exec_lo, s27
	s_cbranch_execz .LBB63_175
; %bb.174:                              ;   in Loop: Header=BB63_89 Depth=1
	v_div_scale_f32 v26, null, v22, v22, v23
	v_div_scale_f32 v33, vcc_lo, v23, v22, v23
	s_delay_alu instid0(VALU_DEP_2) | instskip(SKIP_1) | instid1(TRANS32_DEP_1)
	v_rcp_f32_e32 v27, v26
	v_nop
	v_fma_f32 v32, -v26, v27, 1.0
	s_delay_alu instid0(VALU_DEP_1) | instskip(NEXT) | instid1(VALU_DEP_1)
	v_fmac_f32_e32 v27, v32, v27
	v_mul_f32_e32 v32, v33, v27
	s_delay_alu instid0(VALU_DEP_1) | instskip(NEXT) | instid1(VALU_DEP_1)
	v_fma_f32 v34, -v26, v32, v33
	v_fmac_f32_e32 v32, v34, v27
	s_delay_alu instid0(VALU_DEP_1) | instskip(NEXT) | instid1(VALU_DEP_1)
	v_fma_f32 v26, -v26, v32, v33
	v_div_fmas_f32 v26, v26, v27, v32
	s_delay_alu instid0(VALU_DEP_1) | instskip(NEXT) | instid1(VALU_DEP_1)
	v_div_fixup_f32 v26, v26, v22, v23
	v_fmac_f32_e32 v22, v23, v26
	s_delay_alu instid0(VALU_DEP_1) | instskip(SKIP_1) | instid1(VALU_DEP_2)
	v_div_scale_f32 v23, null, v22, v22, 1.0
	v_div_scale_f32 v34, vcc_lo, 1.0, v22, 1.0
	v_rcp_f32_e32 v27, v23
	v_nop
	s_delay_alu instid0(TRANS32_DEP_1) | instskip(NEXT) | instid1(VALU_DEP_1)
	v_fma_f32 v32, -v23, v27, 1.0
	v_fmac_f32_e32 v27, v32, v27
	s_delay_alu instid0(VALU_DEP_1) | instskip(NEXT) | instid1(VALU_DEP_1)
	v_mul_f32_e32 v36, v34, v27
	v_fma_f32 v32, -v23, v36, v34
	s_delay_alu instid0(VALU_DEP_1) | instskip(SKIP_1) | instid1(VALU_DEP_2)
	v_fmac_f32_e32 v36, v32, v27
	v_mov_b64_e32 v[32:33], s[12:13]
	v_fma_f32 v23, -v23, v36, v34
	v_mov_b64_e32 v[34:35], s[14:15]
	s_delay_alu instid0(VALU_DEP_2) | instskip(NEXT) | instid1(VALU_DEP_2)
	v_div_fmas_f32 v23, v23, v27, v36
	v_pk_fma_f32 v[36:37], v[26:27], v[34:35], v[32:33] op_sel_hi:[0,1,1] neg_lo:[1,0,0] neg_hi:[1,0,0]
	v_pk_fma_f32 v[26:27], v[26:27], v[34:35], v[32:33]
	s_delay_alu instid0(VALU_DEP_3) | instskip(NEXT) | instid1(VALU_DEP_3)
	v_div_fixup_f32 v22, v23, v22, 1.0
                                        ; implicit-def: $vgpr33
                                        ; implicit-def: $vgpr32
	v_mov_b32_e32 v27, v37
	s_delay_alu instid0(VALU_DEP_1)
	v_pk_mul_f32 v[26:27], v[26:27], v[22:23] op_sel_hi:[1,0]
.LBB63_175:                             ;   in Loop: Header=BB63_89 Depth=1
	s_and_not1_saveexec_b32 s27, s0
	s_cbranch_execz .LBB63_177
; %bb.176:                              ;   in Loop: Header=BB63_89 Depth=1
	v_div_scale_f32 v22, null, v33, v33, s12
	v_div_scale_f32 v23, null, v32, v32, s13
	v_div_scale_f32 v36, vcc_lo, s12, v33, s12
	s_delay_alu instid0(VALU_DEP_3) | instskip(NEXT) | instid1(VALU_DEP_2)
	v_rcp_f32_e32 v26, v22
	v_rcp_f32_e32 v27, v23
	s_delay_alu instid0(TRANS32_DEP_2) | instskip(NEXT) | instid1(TRANS32_DEP_1)
	v_fma_f32 v34, -v22, v26, 1.0
	v_fma_f32 v35, -v23, v27, 1.0
	s_delay_alu instid0(VALU_DEP_1) | instskip(SKIP_1) | instid1(VALU_DEP_1)
	v_dual_fmac_f32 v26, v34, v26 :: v_dual_fmac_f32 v27, v35, v27
	v_div_scale_f32 v34, s0, s13, v32, s13
	v_dual_mul_f32 v35, v36, v26 :: v_dual_mul_f32 v37, v34, v27
	s_delay_alu instid0(VALU_DEP_1) | instskip(NEXT) | instid1(VALU_DEP_1)
	v_dual_fma_f32 v38, -v22, v35, v36 :: v_dual_fma_f32 v39, -v23, v37, v34
	v_dual_fmac_f32 v35, v38, v26 :: v_dual_fmac_f32 v37, v39, v27
	s_delay_alu instid0(VALU_DEP_1) | instskip(NEXT) | instid1(VALU_DEP_1)
	v_dual_fma_f32 v22, -v22, v35, v36 :: v_dual_fma_f32 v23, -v23, v37, v34
	v_div_fmas_f32 v22, v22, v26, v35
	s_mov_b32 vcc_lo, s0
	s_delay_alu instid0(VALU_DEP_2) | instskip(NEXT) | instid1(VALU_DEP_2)
	v_div_fmas_f32 v23, v23, v27, v37
	v_div_fixup_f32 v26, v22, v33, s12
	s_delay_alu instid0(VALU_DEP_2)
	v_div_fixup_f32 v27, v23, v32, s13
.LBB63_177:                             ;   in Loop: Header=BB63_89 Depth=1
	s_or_b32 exec_lo, exec_lo, s27
                                        ; implicit-def: $vgpr23
.LBB63_178:                             ;   in Loop: Header=BB63_89 Depth=1
	s_and_not1_saveexec_b32 s0, s1
	s_cbranch_execz .LBB63_180
; %bb.179:                              ;   in Loop: Header=BB63_89 Depth=1
	v_div_scale_f32 v26, null, v23, v23, v22
	v_div_scale_f32 v33, vcc_lo, v22, v23, v22
	s_delay_alu instid0(VALU_DEP_2) | instskip(SKIP_1) | instid1(TRANS32_DEP_1)
	v_rcp_f32_e32 v27, v26
	v_nop
	v_fma_f32 v32, -v26, v27, 1.0
	s_delay_alu instid0(VALU_DEP_1) | instskip(NEXT) | instid1(VALU_DEP_1)
	v_fmac_f32_e32 v27, v32, v27
	v_mul_f32_e32 v32, v33, v27
	s_delay_alu instid0(VALU_DEP_1) | instskip(NEXT) | instid1(VALU_DEP_1)
	v_fma_f32 v34, -v26, v32, v33
	v_fmac_f32_e32 v32, v34, v27
	s_delay_alu instid0(VALU_DEP_1) | instskip(NEXT) | instid1(VALU_DEP_1)
	v_fma_f32 v26, -v26, v32, v33
	v_div_fmas_f32 v26, v26, v27, v32
	s_delay_alu instid0(VALU_DEP_1) | instskip(NEXT) | instid1(VALU_DEP_1)
	v_div_fixup_f32 v26, v26, v23, v22
	v_fmac_f32_e32 v23, v22, v26
	s_delay_alu instid0(VALU_DEP_1) | instskip(SKIP_1) | instid1(VALU_DEP_2)
	v_div_scale_f32 v22, null, v23, v23, 1.0
	v_div_scale_f32 v34, vcc_lo, 1.0, v23, 1.0
	v_rcp_f32_e32 v27, v22
	v_nop
	s_delay_alu instid0(TRANS32_DEP_1) | instskip(NEXT) | instid1(VALU_DEP_1)
	v_fma_f32 v32, -v22, v27, 1.0
	v_fmac_f32_e32 v27, v32, v27
	s_delay_alu instid0(VALU_DEP_1) | instskip(NEXT) | instid1(VALU_DEP_1)
	v_mul_f32_e32 v36, v34, v27
	v_fma_f32 v32, -v22, v36, v34
	s_delay_alu instid0(VALU_DEP_1) | instskip(SKIP_1) | instid1(VALU_DEP_2)
	v_fmac_f32_e32 v36, v32, v27
	v_mov_b64_e32 v[32:33], s[14:15]
	v_fma_f32 v22, -v22, v36, v34
	v_mov_b64_e32 v[34:35], s[12:13]
	s_delay_alu instid0(VALU_DEP_2) | instskip(NEXT) | instid1(VALU_DEP_2)
	v_div_fmas_f32 v22, v22, v27, v36
	v_pk_fma_f32 v[36:37], v[26:27], v[34:35], v[32:33] op_sel_hi:[0,1,1] neg_lo:[0,0,1] neg_hi:[0,0,1]
	v_pk_fma_f32 v[26:27], v[26:27], v[34:35], v[32:33]
	s_delay_alu instid0(VALU_DEP_3) | instskip(NEXT) | instid1(VALU_DEP_3)
	v_div_fixup_f32 v22, v22, v23, 1.0
	v_mov_b32_e32 v27, v37
	s_delay_alu instid0(VALU_DEP_1)
	v_pk_mul_f32 v[26:27], v[26:27], v[22:23] op_sel_hi:[1,0]
.LBB63_180:                             ;   in Loop: Header=BB63_89 Depth=1
	s_or_b32 exec_lo, exec_lo, s0
	s_delay_alu instid0(SALU_CYCLE_1)
	s_mov_b32 s0, exec_lo
	v_cmpx_lt_u64_e64 v[6:7], v[4:5]
	s_xor_b32 s0, exec_lo, s0
	s_cbranch_execz .LBB63_160
.LBB63_181:                             ;   in Loop: Header=BB63_89 Depth=1
	v_pk_add_f32 v[8:9], v[8:9], v[24:25]
	v_lshl_add_u64 v[6:7], v[6:7], 3, s[6:7]
	global_store_b64 v[6:7], v[8:9], off
	s_wait_xcnt 0x0
	s_or_b32 exec_lo, exec_lo, s0
	s_delay_alu instid0(SALU_CYCLE_1)
	s_mov_b32 s0, exec_lo
	v_cmpx_lt_u64_e64 v[12:13], v[4:5]
	s_cbranch_execz .LBB63_161
.LBB63_182:                             ;   in Loop: Header=BB63_89 Depth=1
	v_pk_add_f32 v[6:7], v[14:15], v[28:29]
	v_lshl_add_u64 v[8:9], v[12:13], 3, s[6:7]
	global_store_b64 v[8:9], v[6:7], off
	s_wait_xcnt 0x0
	s_or_b32 exec_lo, exec_lo, s0
	s_delay_alu instid0(SALU_CYCLE_1)
	s_mov_b32 s0, exec_lo
	v_cmpx_lt_u64_e64 v[16:17], v[4:5]
	s_cbranch_execz .LBB63_162
.LBB63_183:                             ;   in Loop: Header=BB63_89 Depth=1
	v_pk_add_f32 v[6:7], v[10:11], v[30:31]
	v_lshl_add_u64 v[8:9], v[16:17], 3, s[6:7]
	global_store_b64 v[8:9], v[6:7], off
	s_wait_xcnt 0x0
	s_or_b32 exec_lo, exec_lo, s0
	s_delay_alu instid0(SALU_CYCLE_1)
	s_mov_b32 s0, exec_lo
	v_cmpx_lt_u64_e64 v[18:19], v[4:5]
	s_cbranch_execz .LBB63_88
.LBB63_184:                             ;   in Loop: Header=BB63_89 Depth=1
	v_pk_add_f32 v[6:7], v[20:21], v[26:27]
	v_lshl_add_u64 v[8:9], v[18:19], 3, s[6:7]
	global_store_b64 v[8:9], v[6:7], off
	s_branch .LBB63_88
.LBB63_185:
	s_endpgm
	.section	.rodata,"a",@progbits
	.p2align	6, 0x0
	.amdhsa_kernel _ZN2at6native12_GLOBAL__N_125multi_tensor_apply_kernelINS1_18TensorListMetadataILi4EEENS1_32PointwiseOpScalar0dTensorFunctorIN3c107complexIfEELi4ELi2ELi3EEEJSt7dividesIS8_ES8_EEEvT_T0_DpT1_
		.amdhsa_group_segment_fixed_size 0
		.amdhsa_private_segment_fixed_size 0
		.amdhsa_kernarg_size 3320
		.amdhsa_user_sgpr_count 2
		.amdhsa_user_sgpr_dispatch_ptr 0
		.amdhsa_user_sgpr_queue_ptr 0
		.amdhsa_user_sgpr_kernarg_segment_ptr 1
		.amdhsa_user_sgpr_dispatch_id 0
		.amdhsa_user_sgpr_kernarg_preload_length 0
		.amdhsa_user_sgpr_kernarg_preload_offset 0
		.amdhsa_user_sgpr_private_segment_size 0
		.amdhsa_wavefront_size32 1
		.amdhsa_uses_dynamic_stack 0
		.amdhsa_enable_private_segment 0
		.amdhsa_system_sgpr_workgroup_id_x 1
		.amdhsa_system_sgpr_workgroup_id_y 0
		.amdhsa_system_sgpr_workgroup_id_z 0
		.amdhsa_system_sgpr_workgroup_info 0
		.amdhsa_system_vgpr_workitem_id 0
		.amdhsa_next_free_vgpr 42
		.amdhsa_next_free_sgpr 36
		.amdhsa_named_barrier_count 0
		.amdhsa_reserve_vcc 1
		.amdhsa_float_round_mode_32 0
		.amdhsa_float_round_mode_16_64 0
		.amdhsa_float_denorm_mode_32 3
		.amdhsa_float_denorm_mode_16_64 3
		.amdhsa_fp16_overflow 0
		.amdhsa_memory_ordered 1
		.amdhsa_forward_progress 1
		.amdhsa_inst_pref_size 110
		.amdhsa_round_robin_scheduling 0
		.amdhsa_exception_fp_ieee_invalid_op 0
		.amdhsa_exception_fp_denorm_src 0
		.amdhsa_exception_fp_ieee_div_zero 0
		.amdhsa_exception_fp_ieee_overflow 0
		.amdhsa_exception_fp_ieee_underflow 0
		.amdhsa_exception_fp_ieee_inexact 0
		.amdhsa_exception_int_div_zero 0
	.end_amdhsa_kernel
	.section	.text._ZN2at6native12_GLOBAL__N_125multi_tensor_apply_kernelINS1_18TensorListMetadataILi4EEENS1_32PointwiseOpScalar0dTensorFunctorIN3c107complexIfEELi4ELi2ELi3EEEJSt7dividesIS8_ES8_EEEvT_T0_DpT1_,"axG",@progbits,_ZN2at6native12_GLOBAL__N_125multi_tensor_apply_kernelINS1_18TensorListMetadataILi4EEENS1_32PointwiseOpScalar0dTensorFunctorIN3c107complexIfEELi4ELi2ELi3EEEJSt7dividesIS8_ES8_EEEvT_T0_DpT1_,comdat
.Lfunc_end63:
	.size	_ZN2at6native12_GLOBAL__N_125multi_tensor_apply_kernelINS1_18TensorListMetadataILi4EEENS1_32PointwiseOpScalar0dTensorFunctorIN3c107complexIfEELi4ELi2ELi3EEEJSt7dividesIS8_ES8_EEEvT_T0_DpT1_, .Lfunc_end63-_ZN2at6native12_GLOBAL__N_125multi_tensor_apply_kernelINS1_18TensorListMetadataILi4EEENS1_32PointwiseOpScalar0dTensorFunctorIN3c107complexIfEELi4ELi2ELi3EEEJSt7dividesIS8_ES8_EEEvT_T0_DpT1_
                                        ; -- End function
	.set _ZN2at6native12_GLOBAL__N_125multi_tensor_apply_kernelINS1_18TensorListMetadataILi4EEENS1_32PointwiseOpScalar0dTensorFunctorIN3c107complexIfEELi4ELi2ELi3EEEJSt7dividesIS8_ES8_EEEvT_T0_DpT1_.num_vgpr, 42
	.set _ZN2at6native12_GLOBAL__N_125multi_tensor_apply_kernelINS1_18TensorListMetadataILi4EEENS1_32PointwiseOpScalar0dTensorFunctorIN3c107complexIfEELi4ELi2ELi3EEEJSt7dividesIS8_ES8_EEEvT_T0_DpT1_.num_agpr, 0
	.set _ZN2at6native12_GLOBAL__N_125multi_tensor_apply_kernelINS1_18TensorListMetadataILi4EEENS1_32PointwiseOpScalar0dTensorFunctorIN3c107complexIfEELi4ELi2ELi3EEEJSt7dividesIS8_ES8_EEEvT_T0_DpT1_.numbered_sgpr, 36
	.set _ZN2at6native12_GLOBAL__N_125multi_tensor_apply_kernelINS1_18TensorListMetadataILi4EEENS1_32PointwiseOpScalar0dTensorFunctorIN3c107complexIfEELi4ELi2ELi3EEEJSt7dividesIS8_ES8_EEEvT_T0_DpT1_.num_named_barrier, 0
	.set _ZN2at6native12_GLOBAL__N_125multi_tensor_apply_kernelINS1_18TensorListMetadataILi4EEENS1_32PointwiseOpScalar0dTensorFunctorIN3c107complexIfEELi4ELi2ELi3EEEJSt7dividesIS8_ES8_EEEvT_T0_DpT1_.private_seg_size, 0
	.set _ZN2at6native12_GLOBAL__N_125multi_tensor_apply_kernelINS1_18TensorListMetadataILi4EEENS1_32PointwiseOpScalar0dTensorFunctorIN3c107complexIfEELi4ELi2ELi3EEEJSt7dividesIS8_ES8_EEEvT_T0_DpT1_.uses_vcc, 1
	.set _ZN2at6native12_GLOBAL__N_125multi_tensor_apply_kernelINS1_18TensorListMetadataILi4EEENS1_32PointwiseOpScalar0dTensorFunctorIN3c107complexIfEELi4ELi2ELi3EEEJSt7dividesIS8_ES8_EEEvT_T0_DpT1_.uses_flat_scratch, 0
	.set _ZN2at6native12_GLOBAL__N_125multi_tensor_apply_kernelINS1_18TensorListMetadataILi4EEENS1_32PointwiseOpScalar0dTensorFunctorIN3c107complexIfEELi4ELi2ELi3EEEJSt7dividesIS8_ES8_EEEvT_T0_DpT1_.has_dyn_sized_stack, 0
	.set _ZN2at6native12_GLOBAL__N_125multi_tensor_apply_kernelINS1_18TensorListMetadataILi4EEENS1_32PointwiseOpScalar0dTensorFunctorIN3c107complexIfEELi4ELi2ELi3EEEJSt7dividesIS8_ES8_EEEvT_T0_DpT1_.has_recursion, 0
	.set _ZN2at6native12_GLOBAL__N_125multi_tensor_apply_kernelINS1_18TensorListMetadataILi4EEENS1_32PointwiseOpScalar0dTensorFunctorIN3c107complexIfEELi4ELi2ELi3EEEJSt7dividesIS8_ES8_EEEvT_T0_DpT1_.has_indirect_call, 0
	.section	.AMDGPU.csdata,"",@progbits
; Kernel info:
; codeLenInByte = 14020
; TotalNumSgprs: 38
; NumVgprs: 42
; ScratchSize: 0
; MemoryBound: 0
; FloatMode: 240
; IeeeMode: 1
; LDSByteSize: 0 bytes/workgroup (compile time only)
; SGPRBlocks: 0
; VGPRBlocks: 2
; NumSGPRsForWavesPerEU: 38
; NumVGPRsForWavesPerEU: 42
; NamedBarCnt: 0
; Occupancy: 16
; WaveLimiterHint : 0
; COMPUTE_PGM_RSRC2:SCRATCH_EN: 0
; COMPUTE_PGM_RSRC2:USER_SGPR: 2
; COMPUTE_PGM_RSRC2:TRAP_HANDLER: 0
; COMPUTE_PGM_RSRC2:TGID_X_EN: 1
; COMPUTE_PGM_RSRC2:TGID_Y_EN: 0
; COMPUTE_PGM_RSRC2:TGID_Z_EN: 0
; COMPUTE_PGM_RSRC2:TIDIG_COMP_CNT: 0
	.section	.text._ZN2at6native12_GLOBAL__N_125multi_tensor_apply_kernelINS1_18TensorListMetadataILi4EEENS1_32PointwiseOpScalar0dTensorFunctorIN3c104HalfELi4ELi2ELi3EEEJSt7dividesIfEfEEEvT_T0_DpT1_,"axG",@progbits,_ZN2at6native12_GLOBAL__N_125multi_tensor_apply_kernelINS1_18TensorListMetadataILi4EEENS1_32PointwiseOpScalar0dTensorFunctorIN3c104HalfELi4ELi2ELi3EEEJSt7dividesIfEfEEEvT_T0_DpT1_,comdat
	.globl	_ZN2at6native12_GLOBAL__N_125multi_tensor_apply_kernelINS1_18TensorListMetadataILi4EEENS1_32PointwiseOpScalar0dTensorFunctorIN3c104HalfELi4ELi2ELi3EEEJSt7dividesIfEfEEEvT_T0_DpT1_ ; -- Begin function _ZN2at6native12_GLOBAL__N_125multi_tensor_apply_kernelINS1_18TensorListMetadataILi4EEENS1_32PointwiseOpScalar0dTensorFunctorIN3c104HalfELi4ELi2ELi3EEEJSt7dividesIfEfEEEvT_T0_DpT1_
	.p2align	8
	.type	_ZN2at6native12_GLOBAL__N_125multi_tensor_apply_kernelINS1_18TensorListMetadataILi4EEENS1_32PointwiseOpScalar0dTensorFunctorIN3c104HalfELi4ELi2ELi3EEEJSt7dividesIfEfEEEvT_T0_DpT1_,@function
_ZN2at6native12_GLOBAL__N_125multi_tensor_apply_kernelINS1_18TensorListMetadataILi4EEENS1_32PointwiseOpScalar0dTensorFunctorIN3c104HalfELi4ELi2ELi3EEEJSt7dividesIfEfEEEvT_T0_DpT1_: ; @_ZN2at6native12_GLOBAL__N_125multi_tensor_apply_kernelINS1_18TensorListMetadataILi4EEENS1_32PointwiseOpScalar0dTensorFunctorIN3c104HalfELi4ELi2ELi3EEEJSt7dividesIfEfEEEvT_T0_DpT1_
; %bb.0:
	s_bfe_u32 s2, ttmp6, 0x4000c
	s_and_b32 s3, ttmp6, 15
	s_add_co_i32 s2, s2, 1
	s_getreg_b32 s4, hwreg(HW_REG_IB_STS2, 6, 4)
	s_mul_i32 s2, ttmp9, s2
	v_mov_b32_e32 v5, 0
	s_add_co_i32 s3, s3, s2
	s_cmp_eq_u32 s4, 0
	s_load_b32 s12, s[0:1], 0xbec
	s_cselect_b32 s2, ttmp9, s3
	s_mov_b32 s3, 0
	s_load_u8 s8, s[0:1], s2 offset:0x5a0
	s_add_nc_u64 s[4:5], s[0:1], s[2:3]
	s_mul_u64 s[6:7], s[2:3], 3
	s_delay_alu instid0(SALU_CYCLE_1)
	s_add_nc_u64 s[4:5], s[4:5], s[6:7]
	s_load_b32 s20, s[4:5], 0x6e0
	s_wait_kmcnt 0x0
	s_clause 0x2
	s_load_b64 s[6:7], s[0:1], s8 offset:0x120 scale_offset
	s_load_b64 s[14:15], s[0:1], s8 offset:0x240 scale_offset
	;; [unrolled: 1-line block ×3, first 2 shown]
	s_ashr_i32 s21, s20, 31
	s_wait_kmcnt 0x0
	global_load_u16 v1, v5, s[6:7]
	s_clause 0x1
	s_load_b64 s[18:19], s[0:1], s8 offset:0x0 scale_offset
	s_load_b64 s[22:23], s[0:1], s8 offset:0x480 scale_offset
	s_lshl_b64 s[4:5], s[20:21], 17
	s_wait_xcnt 0x0
	s_add_nc_u64 s[8:9], s[6:7], s[4:5]
	s_add_nc_u64 s[10:11], s[16:17], s[4:5]
	s_and_b32 s2, s8, 7
	s_add_nc_u64 s[8:9], s[14:15], s[4:5]
	s_wait_kmcnt 0x0
	s_add_nc_u64 s[6:7], s[18:19], s[4:5]
	s_delay_alu instid0(SALU_CYCLE_1) | instskip(SKIP_3) | instid1(SALU_CYCLE_1)
	s_and_b64 s[24:25], s[6:7], 7
	s_cmp_lg_u64 s[2:3], 0
	s_cselect_b32 s13, -1, 0
	s_or_b32 s2, s10, s8
	s_and_b32 s2, s2, 7
	s_delay_alu instid0(SALU_CYCLE_1)
	s_cmp_lg_u32 s2, 0
	s_cselect_b32 s26, -1, 0
	s_and_b32 s2, s22, 3
	s_or_b32 s13, s26, s13
	s_or_b64 s[2:3], s[24:25], s[2:3]
	s_lshl_b64 s[20:21], s[20:21], 16
	s_cmp_lg_u64 s[2:3], 0
	s_sub_nc_u64 s[20:21], s[22:23], s[20:21]
	s_cselect_b32 s2, -1, 0
	s_delay_alu instid0(SALU_CYCLE_1) | instskip(NEXT) | instid1(SALU_CYCLE_1)
	s_or_b32 s2, s13, s2
	s_and_not1_b32 vcc_lo, exec_lo, s2
	s_mov_b32 s2, -1
	s_wait_loadcnt 0x0
	v_cvt_f32_f16_e32 v14, v1
	s_cbranch_vccz .LBB64_5
; %bb.1:
	v_min_i64 v[2:3], 0x10000, s[20:21]
	v_lshlrev_b32_e32 v4, 2, v0
	s_mov_b32 s26, exec_lo
	s_delay_alu instid0(VALU_DEP_1)
	v_cmpx_lt_i64_e64 v[4:5], v[2:3]
	s_cbranch_execz .LBB64_4
; %bb.2:
	s_load_b32 s3, s[0:1], 0xbfc
	v_dual_mov_b32 v1, v5 :: v_dual_lshlrev_b32 v8, 3, v0
	v_dual_mov_b32 v9, 0 :: v_dual_mov_b32 v4, s12
	s_mov_b32 s13, s12
	s_cmp_eq_f32 s12, 1.0
	v_mov_b64_e32 v[6:7], s[12:13]
	s_delay_alu instid0(VALU_DEP_2)
	v_add_nc_u64_e32 v[8:9], s[4:5], v[8:9]
	v_mov_b64_e32 v[10:11], v[0:1]
	v_mov_b32_e32 v5, s12
	s_mov_b32 s23, 0
	s_cselect_b32 s2, -1, 0
	s_mov_b32 s25, s23
	s_mov_b32 s13, s23
	s_wait_kmcnt 0x0
	s_and_b32 s22, s3, 0xffff
	s_delay_alu instid0(SALU_CYCLE_1)
	s_lshl_b32 s24, s22, 3
.LBB64_3:                               ; =>This Inner Loop Header: Depth=1
	v_add_nc_u64_e32 v[12:13], s[14:15], v[8:9]
	v_add_nc_u64_e32 v[16:17], s[18:19], v[8:9]
	;; [unrolled: 1-line block ×3, first 2 shown]
	global_load_b64 v[18:19], v[12:13], off
	global_load_b64 v[20:21], v[16:17], off
	s_wait_xcnt 0x1
	v_lshlrev_b64_e32 v[12:13], 2, v[10:11]
	s_wait_loadcnt 0x0
	v_dual_lshrrev_b32 v22, 16, v19 :: v_dual_lshrrev_b32 v1, 16, v20
	v_lshrrev_b32_e32 v15, 16, v21
	v_cvt_f32_f16_e32 v23, v19
	v_lshrrev_b32_e32 v19, 16, v18
	v_cvt_f32_f16_e32 v18, v18
	s_wait_xcnt 0x0
	v_cvt_f32_f16_e32 v16, v20
	v_cvt_f32_f16_e32 v20, v21
	;; [unrolled: 1-line block ×4, first 2 shown]
	v_div_scale_f32 v19, null, v18, v18, v14
	v_cvt_f32_f16_e32 v17, v1
	v_cvt_f32_f16_e32 v1, v22
	v_div_scale_f32 v24, null, v23, v23, v14
	s_delay_alu instid0(VALU_DEP_4) | instskip(SKIP_1) | instid1(VALU_DEP_3)
	v_rcp_f32_e32 v26, v19
	v_div_scale_f32 v27, null, v15, v15, v14
	v_div_scale_f32 v29, null, v1, v1, v14
	s_delay_alu instid0(VALU_DEP_3) | instskip(NEXT) | instid1(VALU_DEP_2)
	v_rcp_f32_e32 v30, v24
	v_rcp_f32_e32 v32, v27
	s_delay_alu instid0(TRANS32_DEP_3) | instskip(NEXT) | instid1(VALU_DEP_2)
	v_fma_f32 v34, -v19, v26, 1.0
	v_rcp_f32_e32 v33, v29
	v_div_scale_f32 v22, vcc_lo, v14, v18, v14
	v_div_scale_f32 v25, s3, v14, v23, v14
	s_delay_alu instid0(TRANS32_DEP_3) | instskip(SKIP_3) | instid1(VALU_DEP_4)
	v_fma_f32 v35, -v24, v30, 1.0
	v_fmac_f32_e32 v26, v34, v26
	v_fma_f32 v34, -v27, v32, 1.0
	v_div_scale_f32 v28, s4, v14, v15, v14
	v_fmac_f32_e32 v30, v35, v30
	v_fma_f32 v35, -v29, v33, 1.0
	s_delay_alu instid0(VALU_DEP_4) | instskip(SKIP_2) | instid1(VALU_DEP_3)
	v_fmac_f32_e32 v32, v34, v32
	v_mul_f32_e32 v36, v22, v26
	v_div_scale_f32 v31, s5, v14, v1, v14
	v_dual_fmac_f32 v33, v35, v33 :: v_dual_mul_f32 v37, v28, v32
	s_delay_alu instid0(VALU_DEP_3) | instskip(NEXT) | instid1(VALU_DEP_1)
	v_dual_mul_f32 v34, v25, v30 :: v_dual_fma_f32 v35, -v19, v36, v22
	v_dual_mul_f32 v39, v31, v33 :: v_dual_fma_f32 v38, -v24, v34, v25
	s_delay_alu instid0(VALU_DEP_2) | instskip(NEXT) | instid1(VALU_DEP_2)
	v_fmac_f32_e32 v36, v35, v26
	v_dual_fma_f32 v35, -v27, v37, v28 :: v_dual_fmac_f32 v34, v38, v30
	s_delay_alu instid0(VALU_DEP_2) | instskip(NEXT) | instid1(VALU_DEP_2)
	v_dual_fma_f32 v38, -v29, v39, v31 :: v_dual_fma_f32 v19, -v19, v36, v22
	v_fmac_f32_e32 v37, v35, v32
	s_delay_alu instid0(VALU_DEP_2) | instskip(NEXT) | instid1(VALU_DEP_3)
	v_dual_fma_f32 v22, -v24, v34, v25 :: v_dual_fmac_f32 v39, v38, v33
	v_div_fmas_f32 v19, v19, v26, v36
	s_delay_alu instid0(VALU_DEP_3) | instskip(SKIP_1) | instid1(VALU_DEP_3)
	v_fma_f32 v24, -v27, v37, v28
	s_mov_b32 vcc_lo, s4
	v_fma_f32 v25, -v29, v39, v31
	s_delay_alu instid0(VALU_DEP_3) | instskip(NEXT) | instid1(VALU_DEP_3)
	v_div_fixup_f32 v18, v19, v18, v14
	v_div_fmas_f32 v19, v24, v32, v37
	s_mov_b32 vcc_lo, s3
	v_div_fmas_f32 v22, v22, v30, v34
	s_mov_b32 vcc_lo, s5
	s_delay_alu instid0(VALU_DEP_2)
	v_div_fixup_f32 v19, v19, v15, v14
	v_div_fmas_f32 v24, v25, v33, v39
	v_cmp_ge_i64_e32 vcc_lo, v[12:13], v[2:3]
	v_div_fixup_f32 v22, v22, v23, v14
	v_add_nc_u64_e32 v[12:13], s[16:17], v[8:9]
	v_add_nc_u64_e32 v[8:9], s[24:25], v[8:9]
	v_div_fixup_f32 v23, v24, v1, v14
	v_pk_add_f32 v[24:25], v[18:19], v[16:17]
	v_pk_fma_f32 v[16:17], v[6:7], v[18:19], v[16:17]
	s_or_b32 s13, vcc_lo, s13
	s_delay_alu instid0(VALU_DEP_3) | instskip(SKIP_1) | instid1(VALU_DEP_3)
	v_pk_add_f32 v[18:19], v[22:23], v[20:21]
	v_pk_fma_f32 v[20:21], v[4:5], v[22:23], v[20:21]
	v_dual_cndmask_b32 v1, v17, v25, s2 :: v_dual_cndmask_b32 v15, v16, v24, s2
	s_delay_alu instid0(VALU_DEP_2) | instskip(NEXT) | instid1(VALU_DEP_2)
	v_dual_cndmask_b32 v17, v21, v19, s2 :: v_dual_cndmask_b32 v18, v20, v18, s2
	v_cvt_pk_f16_f32 v16, v15, v1
	s_delay_alu instid0(VALU_DEP_2)
	v_cvt_pk_f16_f32 v17, v18, v17
	global_store_b64 v[12:13], v[16:17], off
	s_wait_xcnt 0x0
	s_and_not1_b32 exec_lo, exec_lo, s13
	s_cbranch_execnz .LBB64_3
.LBB64_4:
	s_or_b32 exec_lo, exec_lo, s26
	s_mov_b32 s2, 0
.LBB64_5:
	s_delay_alu instid0(SALU_CYCLE_1)
	s_and_not1_b32 vcc_lo, exec_lo, s2
	s_cbranch_vccnz .LBB64_25
; %bb.6:
	v_cmp_lt_i64_e64 s2, s[20:21], 1
	s_and_b32 vcc_lo, exec_lo, s2
	s_cbranch_vccnz .LBB64_25
; %bb.7:
	v_min_i64 v[2:3], 0x10000, s[20:21]
	v_min_u64 v[4:5], 0x10000, s[20:21]
	s_load_b32 s0, s[0:1], 0xbfc
	v_mov_b32_e32 v1, 0
	s_mov_b32 s3, 0
	s_mov_b64 s[18:19], 0
	s_mov_b32 s5, s3
	s_mov_b32 s15, s3
	;; [unrolled: 1-line block ×3, first 2 shown]
	s_wait_kmcnt 0x0
	s_and_b32 s2, s0, 0xffff
	s_cmp_eq_f32 s12, 1.0
	s_mul_i32 s14, s2, 3
	s_cselect_b32 s0, -1, 0
	s_lshl_b32 s4, s2, 1
	s_lshl_b32 s16, s2, 2
	s_branch .LBB64_9
.LBB64_8:                               ;   in Loop: Header=BB64_9 Depth=1
	s_wait_xcnt 0x0
	s_or_b32 exec_lo, exec_lo, s1
	s_add_nc_u64 s[18:19], s[18:19], s[16:17]
	s_delay_alu instid0(SALU_CYCLE_1)
	v_cmp_ge_i64_e32 vcc_lo, s[18:19], v[2:3]
	s_cbranch_vccnz .LBB64_25
.LBB64_9:                               ; =>This Inner Loop Header: Depth=1
	v_add_nc_u64_e32 v[12:13], s[18:19], v[0:1]
	v_dual_mov_b32 v22, 0 :: v_dual_mov_b32 v21, 0
	s_mov_b32 s1, exec_lo
	s_delay_alu instid0(VALU_DEP_2)
	v_cmpx_lt_i64_e64 v[12:13], v[2:3]
	s_cbranch_execz .LBB64_11
; %bb.10:                               ;   in Loop: Header=BB64_9 Depth=1
	v_lshlrev_b64_e32 v[6:7], 1, v[12:13]
	s_delay_alu instid0(VALU_DEP_1)
	v_add_nc_u64_e32 v[8:9], s[6:7], v[6:7]
	v_add_nc_u64_e32 v[6:7], s[8:9], v[6:7]
	global_load_u16 v10, v[8:9], off
	global_load_u16 v11, v[6:7], off
	s_wait_loadcnt 0x1
	v_cvt_f32_f16_e32 v21, v10
	s_wait_loadcnt 0x0
	v_cvt_f32_f16_e32 v22, v11
.LBB64_11:                              ;   in Loop: Header=BB64_9 Depth=1
	s_wait_xcnt 0x0
	s_or_b32 exec_lo, exec_lo, s1
	v_add_nc_u64_e32 v[10:11], s[2:3], v[12:13]
	v_dual_mov_b32 v15, 0 :: v_dual_mov_b32 v20, 0
	v_mov_b32_e32 v19, 0
	s_mov_b32 s1, exec_lo
	s_delay_alu instid0(VALU_DEP_3)
	v_cmpx_lt_i64_e64 v[10:11], v[2:3]
	s_cbranch_execz .LBB64_13
; %bb.12:                               ;   in Loop: Header=BB64_9 Depth=1
	v_lshlrev_b64_e32 v[6:7], 1, v[10:11]
	s_delay_alu instid0(VALU_DEP_1)
	v_add_nc_u64_e32 v[8:9], s[6:7], v[6:7]
	v_add_nc_u64_e32 v[6:7], s[8:9], v[6:7]
	global_load_u16 v16, v[8:9], off
	global_load_u16 v17, v[6:7], off
	s_wait_loadcnt 0x1
	v_cvt_f32_f16_e32 v19, v16
	s_wait_loadcnt 0x0
	v_cvt_f32_f16_e32 v20, v17
.LBB64_13:                              ;   in Loop: Header=BB64_9 Depth=1
	s_wait_xcnt 0x0
	s_or_b32 exec_lo, exec_lo, s1
	v_add_nc_u64_e32 v[8:9], s[4:5], v[12:13]
	v_mov_b32_e32 v18, 0
	s_mov_b32 s1, exec_lo
	s_delay_alu instid0(VALU_DEP_2)
	v_cmpx_lt_i64_e64 v[8:9], v[2:3]
	s_cbranch_execz .LBB64_15
; %bb.14:                               ;   in Loop: Header=BB64_9 Depth=1
	v_lshlrev_b64_e32 v[6:7], 1, v[8:9]
	s_delay_alu instid0(VALU_DEP_1)
	v_add_nc_u64_e32 v[16:17], s[6:7], v[6:7]
	v_add_nc_u64_e32 v[6:7], s[8:9], v[6:7]
	global_load_u16 v15, v[16:17], off
	global_load_u16 v23, v[6:7], off
	s_wait_loadcnt 0x1
	v_cvt_f32_f16_e32 v18, v15
	s_wait_loadcnt 0x0
	v_cvt_f32_f16_e32 v15, v23
.LBB64_15:                              ;   in Loop: Header=BB64_9 Depth=1
	s_wait_xcnt 0x0
	s_or_b32 exec_lo, exec_lo, s1
	v_add_nc_u64_e32 v[6:7], s[14:15], v[12:13]
	v_dual_mov_b32 v17, 0 :: v_dual_mov_b32 v16, 0
	s_mov_b32 s1, exec_lo
	s_delay_alu instid0(VALU_DEP_2)
	v_cmpx_lt_i64_e64 v[6:7], v[2:3]
	s_cbranch_execnz .LBB64_20
; %bb.16:                               ;   in Loop: Header=BB64_9 Depth=1
	s_or_b32 exec_lo, exec_lo, s1
	s_delay_alu instid0(SALU_CYCLE_1)
	s_mov_b32 s1, exec_lo
	v_cmpx_lt_u64_e64 v[12:13], v[4:5]
	s_cbranch_execnz .LBB64_21
.LBB64_17:                              ;   in Loop: Header=BB64_9 Depth=1
	s_or_b32 exec_lo, exec_lo, s1
	s_delay_alu instid0(SALU_CYCLE_1)
	s_mov_b32 s1, exec_lo
	v_cmpx_lt_u64_e64 v[10:11], v[4:5]
	s_cbranch_execnz .LBB64_22
.LBB64_18:                              ;   in Loop: Header=BB64_9 Depth=1
	s_or_b32 exec_lo, exec_lo, s1
	s_delay_alu instid0(SALU_CYCLE_1)
	s_mov_b32 s1, exec_lo
	v_cmpx_lt_u64_e64 v[8:9], v[4:5]
	s_cbranch_execnz .LBB64_23
.LBB64_19:                              ;   in Loop: Header=BB64_9 Depth=1
	s_or_b32 exec_lo, exec_lo, s1
	s_delay_alu instid0(SALU_CYCLE_1)
	s_mov_b32 s1, exec_lo
	v_cmpx_lt_u64_e64 v[6:7], v[4:5]
	s_cbranch_execz .LBB64_8
	s_branch .LBB64_24
.LBB64_20:                              ;   in Loop: Header=BB64_9 Depth=1
	v_lshlrev_b64_e32 v[16:17], 1, v[6:7]
	s_delay_alu instid0(VALU_DEP_1)
	v_add_nc_u64_e32 v[24:25], s[6:7], v[16:17]
	v_add_nc_u64_e32 v[16:17], s[8:9], v[16:17]
	global_load_u16 v23, v[24:25], off
	global_load_u16 v26, v[16:17], off
	s_wait_loadcnt 0x1
	s_wait_xcnt 0x0
	v_cvt_f32_f16_e32 v16, v23
	s_wait_loadcnt 0x0
	v_cvt_f32_f16_e32 v17, v26
	s_or_b32 exec_lo, exec_lo, s1
	s_delay_alu instid0(SALU_CYCLE_1)
	s_mov_b32 s1, exec_lo
	v_cmpx_lt_u64_e64 v[12:13], v[4:5]
	s_cbranch_execz .LBB64_17
.LBB64_21:                              ;   in Loop: Header=BB64_9 Depth=1
	v_div_scale_f32 v23, null, v22, v22, v14
	v_div_scale_f32 v26, vcc_lo, v14, v22, v14
	v_lshl_add_u64 v[12:13], v[12:13], 1, s[10:11]
	s_delay_alu instid0(VALU_DEP_3) | instskip(SKIP_1) | instid1(TRANS32_DEP_1)
	v_rcp_f32_e32 v24, v23
	v_nop
	v_fma_f32 v25, -v23, v24, 1.0
	s_delay_alu instid0(VALU_DEP_1) | instskip(NEXT) | instid1(VALU_DEP_1)
	v_fmac_f32_e32 v24, v25, v24
	v_mul_f32_e32 v25, v26, v24
	s_delay_alu instid0(VALU_DEP_1) | instskip(NEXT) | instid1(VALU_DEP_1)
	v_fma_f32 v27, -v23, v25, v26
	v_fmac_f32_e32 v25, v27, v24
	s_delay_alu instid0(VALU_DEP_1) | instskip(NEXT) | instid1(VALU_DEP_1)
	v_fma_f32 v23, -v23, v25, v26
	v_div_fmas_f32 v23, v23, v24, v25
	s_delay_alu instid0(VALU_DEP_1) | instskip(NEXT) | instid1(VALU_DEP_1)
	v_div_fixup_f32 v22, v23, v22, v14
	v_dual_add_f32 v23, v22, v21 :: v_dual_fmac_f32 v21, s12, v22
	s_delay_alu instid0(VALU_DEP_1) | instskip(NEXT) | instid1(VALU_DEP_1)
	v_cndmask_b32_e64 v21, v21, v23, s0
	v_cvt_f16_f32_e32 v21, v21
	global_store_b16 v[12:13], v21, off
	s_wait_xcnt 0x0
	s_or_b32 exec_lo, exec_lo, s1
	s_delay_alu instid0(SALU_CYCLE_1)
	s_mov_b32 s1, exec_lo
	v_cmpx_lt_u64_e64 v[10:11], v[4:5]
	s_cbranch_execz .LBB64_18
.LBB64_22:                              ;   in Loop: Header=BB64_9 Depth=1
	v_div_scale_f32 v12, null, v20, v20, v14
	v_div_scale_f32 v22, vcc_lo, v14, v20, v14
	v_lshl_add_u64 v[10:11], v[10:11], 1, s[10:11]
	s_delay_alu instid0(VALU_DEP_3) | instskip(SKIP_1) | instid1(TRANS32_DEP_1)
	v_rcp_f32_e32 v13, v12
	v_nop
	v_fma_f32 v21, -v12, v13, 1.0
	s_delay_alu instid0(VALU_DEP_1) | instskip(NEXT) | instid1(VALU_DEP_1)
	v_fmac_f32_e32 v13, v21, v13
	v_mul_f32_e32 v21, v22, v13
	s_delay_alu instid0(VALU_DEP_1) | instskip(NEXT) | instid1(VALU_DEP_1)
	v_fma_f32 v23, -v12, v21, v22
	v_fmac_f32_e32 v21, v23, v13
	s_delay_alu instid0(VALU_DEP_1) | instskip(NEXT) | instid1(VALU_DEP_1)
	v_fma_f32 v12, -v12, v21, v22
	v_div_fmas_f32 v12, v12, v13, v21
	s_delay_alu instid0(VALU_DEP_1) | instskip(NEXT) | instid1(VALU_DEP_1)
	v_div_fixup_f32 v12, v12, v20, v14
	v_dual_add_f32 v13, v12, v19 :: v_dual_fmac_f32 v19, s12, v12
	s_delay_alu instid0(VALU_DEP_1) | instskip(NEXT) | instid1(VALU_DEP_1)
	v_cndmask_b32_e64 v12, v19, v13, s0
	v_cvt_f16_f32_e32 v12, v12
	global_store_b16 v[10:11], v12, off
	s_wait_xcnt 0x0
	s_or_b32 exec_lo, exec_lo, s1
	s_delay_alu instid0(SALU_CYCLE_1)
	s_mov_b32 s1, exec_lo
	v_cmpx_lt_u64_e64 v[8:9], v[4:5]
	s_cbranch_execz .LBB64_19
.LBB64_23:                              ;   in Loop: Header=BB64_9 Depth=1
	v_div_scale_f32 v10, null, v15, v15, v14
	v_div_scale_f32 v13, vcc_lo, v14, v15, v14
	v_lshl_add_u64 v[8:9], v[8:9], 1, s[10:11]
	s_delay_alu instid0(VALU_DEP_3) | instskip(SKIP_1) | instid1(TRANS32_DEP_1)
	v_rcp_f32_e32 v11, v10
	v_nop
	v_fma_f32 v12, -v10, v11, 1.0
	s_delay_alu instid0(VALU_DEP_1) | instskip(NEXT) | instid1(VALU_DEP_1)
	v_fmac_f32_e32 v11, v12, v11
	v_mul_f32_e32 v12, v13, v11
	s_delay_alu instid0(VALU_DEP_1) | instskip(NEXT) | instid1(VALU_DEP_1)
	v_fma_f32 v19, -v10, v12, v13
	v_fmac_f32_e32 v12, v19, v11
	s_delay_alu instid0(VALU_DEP_1) | instskip(NEXT) | instid1(VALU_DEP_1)
	v_fma_f32 v10, -v10, v12, v13
	v_div_fmas_f32 v10, v10, v11, v12
	s_delay_alu instid0(VALU_DEP_1) | instskip(NEXT) | instid1(VALU_DEP_1)
	v_div_fixup_f32 v10, v10, v15, v14
	v_add_f32_e32 v11, v10, v18
	v_fmac_f32_e32 v18, s12, v10
	s_delay_alu instid0(VALU_DEP_1) | instskip(NEXT) | instid1(VALU_DEP_1)
	v_cndmask_b32_e64 v10, v18, v11, s0
	v_cvt_f16_f32_e32 v10, v10
	global_store_b16 v[8:9], v10, off
	s_wait_xcnt 0x0
	s_or_b32 exec_lo, exec_lo, s1
	s_delay_alu instid0(SALU_CYCLE_1)
	s_mov_b32 s1, exec_lo
	v_cmpx_lt_u64_e64 v[6:7], v[4:5]
	s_cbranch_execz .LBB64_8
.LBB64_24:                              ;   in Loop: Header=BB64_9 Depth=1
	v_div_scale_f32 v8, null, v17, v17, v14
	v_div_scale_f32 v11, vcc_lo, v14, v17, v14
	v_lshl_add_u64 v[6:7], v[6:7], 1, s[10:11]
	s_delay_alu instid0(VALU_DEP_3) | instskip(SKIP_1) | instid1(TRANS32_DEP_1)
	v_rcp_f32_e32 v9, v8
	v_nop
	v_fma_f32 v10, -v8, v9, 1.0
	s_delay_alu instid0(VALU_DEP_1) | instskip(NEXT) | instid1(VALU_DEP_1)
	v_fmac_f32_e32 v9, v10, v9
	v_mul_f32_e32 v10, v11, v9
	s_delay_alu instid0(VALU_DEP_1) | instskip(NEXT) | instid1(VALU_DEP_1)
	v_fma_f32 v12, -v8, v10, v11
	v_fmac_f32_e32 v10, v12, v9
	s_delay_alu instid0(VALU_DEP_1) | instskip(NEXT) | instid1(VALU_DEP_1)
	v_fma_f32 v8, -v8, v10, v11
	v_div_fmas_f32 v8, v8, v9, v10
	s_delay_alu instid0(VALU_DEP_1) | instskip(NEXT) | instid1(VALU_DEP_1)
	v_div_fixup_f32 v8, v8, v17, v14
	v_add_f32_e32 v9, v8, v16
	v_fmac_f32_e32 v16, s12, v8
	s_delay_alu instid0(VALU_DEP_1) | instskip(NEXT) | instid1(VALU_DEP_1)
	v_cndmask_b32_e64 v8, v16, v9, s0
	v_cvt_f16_f32_e32 v8, v8
	global_store_b16 v[6:7], v8, off
	s_branch .LBB64_8
.LBB64_25:
	s_endpgm
	.section	.rodata,"a",@progbits
	.p2align	6, 0x0
	.amdhsa_kernel _ZN2at6native12_GLOBAL__N_125multi_tensor_apply_kernelINS1_18TensorListMetadataILi4EEENS1_32PointwiseOpScalar0dTensorFunctorIN3c104HalfELi4ELi2ELi3EEEJSt7dividesIfEfEEEvT_T0_DpT1_
		.amdhsa_group_segment_fixed_size 0
		.amdhsa_private_segment_fixed_size 0
		.amdhsa_kernarg_size 3312
		.amdhsa_user_sgpr_count 2
		.amdhsa_user_sgpr_dispatch_ptr 0
		.amdhsa_user_sgpr_queue_ptr 0
		.amdhsa_user_sgpr_kernarg_segment_ptr 1
		.amdhsa_user_sgpr_dispatch_id 0
		.amdhsa_user_sgpr_kernarg_preload_length 0
		.amdhsa_user_sgpr_kernarg_preload_offset 0
		.amdhsa_user_sgpr_private_segment_size 0
		.amdhsa_wavefront_size32 1
		.amdhsa_uses_dynamic_stack 0
		.amdhsa_enable_private_segment 0
		.amdhsa_system_sgpr_workgroup_id_x 1
		.amdhsa_system_sgpr_workgroup_id_y 0
		.amdhsa_system_sgpr_workgroup_id_z 0
		.amdhsa_system_sgpr_workgroup_info 0
		.amdhsa_system_vgpr_workitem_id 0
		.amdhsa_next_free_vgpr 40
		.amdhsa_next_free_sgpr 27
		.amdhsa_named_barrier_count 0
		.amdhsa_reserve_vcc 1
		.amdhsa_float_round_mode_32 0
		.amdhsa_float_round_mode_16_64 0
		.amdhsa_float_denorm_mode_32 3
		.amdhsa_float_denorm_mode_16_64 3
		.amdhsa_fp16_overflow 0
		.amdhsa_memory_ordered 1
		.amdhsa_forward_progress 1
		.amdhsa_inst_pref_size 18
		.amdhsa_round_robin_scheduling 0
		.amdhsa_exception_fp_ieee_invalid_op 0
		.amdhsa_exception_fp_denorm_src 0
		.amdhsa_exception_fp_ieee_div_zero 0
		.amdhsa_exception_fp_ieee_overflow 0
		.amdhsa_exception_fp_ieee_underflow 0
		.amdhsa_exception_fp_ieee_inexact 0
		.amdhsa_exception_int_div_zero 0
	.end_amdhsa_kernel
	.section	.text._ZN2at6native12_GLOBAL__N_125multi_tensor_apply_kernelINS1_18TensorListMetadataILi4EEENS1_32PointwiseOpScalar0dTensorFunctorIN3c104HalfELi4ELi2ELi3EEEJSt7dividesIfEfEEEvT_T0_DpT1_,"axG",@progbits,_ZN2at6native12_GLOBAL__N_125multi_tensor_apply_kernelINS1_18TensorListMetadataILi4EEENS1_32PointwiseOpScalar0dTensorFunctorIN3c104HalfELi4ELi2ELi3EEEJSt7dividesIfEfEEEvT_T0_DpT1_,comdat
.Lfunc_end64:
	.size	_ZN2at6native12_GLOBAL__N_125multi_tensor_apply_kernelINS1_18TensorListMetadataILi4EEENS1_32PointwiseOpScalar0dTensorFunctorIN3c104HalfELi4ELi2ELi3EEEJSt7dividesIfEfEEEvT_T0_DpT1_, .Lfunc_end64-_ZN2at6native12_GLOBAL__N_125multi_tensor_apply_kernelINS1_18TensorListMetadataILi4EEENS1_32PointwiseOpScalar0dTensorFunctorIN3c104HalfELi4ELi2ELi3EEEJSt7dividesIfEfEEEvT_T0_DpT1_
                                        ; -- End function
	.set _ZN2at6native12_GLOBAL__N_125multi_tensor_apply_kernelINS1_18TensorListMetadataILi4EEENS1_32PointwiseOpScalar0dTensorFunctorIN3c104HalfELi4ELi2ELi3EEEJSt7dividesIfEfEEEvT_T0_DpT1_.num_vgpr, 40
	.set _ZN2at6native12_GLOBAL__N_125multi_tensor_apply_kernelINS1_18TensorListMetadataILi4EEENS1_32PointwiseOpScalar0dTensorFunctorIN3c104HalfELi4ELi2ELi3EEEJSt7dividesIfEfEEEvT_T0_DpT1_.num_agpr, 0
	.set _ZN2at6native12_GLOBAL__N_125multi_tensor_apply_kernelINS1_18TensorListMetadataILi4EEENS1_32PointwiseOpScalar0dTensorFunctorIN3c104HalfELi4ELi2ELi3EEEJSt7dividesIfEfEEEvT_T0_DpT1_.numbered_sgpr, 27
	.set _ZN2at6native12_GLOBAL__N_125multi_tensor_apply_kernelINS1_18TensorListMetadataILi4EEENS1_32PointwiseOpScalar0dTensorFunctorIN3c104HalfELi4ELi2ELi3EEEJSt7dividesIfEfEEEvT_T0_DpT1_.num_named_barrier, 0
	.set _ZN2at6native12_GLOBAL__N_125multi_tensor_apply_kernelINS1_18TensorListMetadataILi4EEENS1_32PointwiseOpScalar0dTensorFunctorIN3c104HalfELi4ELi2ELi3EEEJSt7dividesIfEfEEEvT_T0_DpT1_.private_seg_size, 0
	.set _ZN2at6native12_GLOBAL__N_125multi_tensor_apply_kernelINS1_18TensorListMetadataILi4EEENS1_32PointwiseOpScalar0dTensorFunctorIN3c104HalfELi4ELi2ELi3EEEJSt7dividesIfEfEEEvT_T0_DpT1_.uses_vcc, 1
	.set _ZN2at6native12_GLOBAL__N_125multi_tensor_apply_kernelINS1_18TensorListMetadataILi4EEENS1_32PointwiseOpScalar0dTensorFunctorIN3c104HalfELi4ELi2ELi3EEEJSt7dividesIfEfEEEvT_T0_DpT1_.uses_flat_scratch, 0
	.set _ZN2at6native12_GLOBAL__N_125multi_tensor_apply_kernelINS1_18TensorListMetadataILi4EEENS1_32PointwiseOpScalar0dTensorFunctorIN3c104HalfELi4ELi2ELi3EEEJSt7dividesIfEfEEEvT_T0_DpT1_.has_dyn_sized_stack, 0
	.set _ZN2at6native12_GLOBAL__N_125multi_tensor_apply_kernelINS1_18TensorListMetadataILi4EEENS1_32PointwiseOpScalar0dTensorFunctorIN3c104HalfELi4ELi2ELi3EEEJSt7dividesIfEfEEEvT_T0_DpT1_.has_recursion, 0
	.set _ZN2at6native12_GLOBAL__N_125multi_tensor_apply_kernelINS1_18TensorListMetadataILi4EEENS1_32PointwiseOpScalar0dTensorFunctorIN3c104HalfELi4ELi2ELi3EEEJSt7dividesIfEfEEEvT_T0_DpT1_.has_indirect_call, 0
	.section	.AMDGPU.csdata,"",@progbits
; Kernel info:
; codeLenInByte = 2296
; TotalNumSgprs: 29
; NumVgprs: 40
; ScratchSize: 0
; MemoryBound: 0
; FloatMode: 240
; IeeeMode: 1
; LDSByteSize: 0 bytes/workgroup (compile time only)
; SGPRBlocks: 0
; VGPRBlocks: 2
; NumSGPRsForWavesPerEU: 29
; NumVGPRsForWavesPerEU: 40
; NamedBarCnt: 0
; Occupancy: 16
; WaveLimiterHint : 0
; COMPUTE_PGM_RSRC2:SCRATCH_EN: 0
; COMPUTE_PGM_RSRC2:USER_SGPR: 2
; COMPUTE_PGM_RSRC2:TRAP_HANDLER: 0
; COMPUTE_PGM_RSRC2:TGID_X_EN: 1
; COMPUTE_PGM_RSRC2:TGID_Y_EN: 0
; COMPUTE_PGM_RSRC2:TGID_Z_EN: 0
; COMPUTE_PGM_RSRC2:TIDIG_COMP_CNT: 0
	.section	.text._ZN2at6native12_GLOBAL__N_125multi_tensor_apply_kernelINS1_18TensorListMetadataILi4EEENS1_32PointwiseOpScalar0dTensorFunctorIN3c108BFloat16ELi4ELi2ELi3EEEJSt7dividesIfEfEEEvT_T0_DpT1_,"axG",@progbits,_ZN2at6native12_GLOBAL__N_125multi_tensor_apply_kernelINS1_18TensorListMetadataILi4EEENS1_32PointwiseOpScalar0dTensorFunctorIN3c108BFloat16ELi4ELi2ELi3EEEJSt7dividesIfEfEEEvT_T0_DpT1_,comdat
	.globl	_ZN2at6native12_GLOBAL__N_125multi_tensor_apply_kernelINS1_18TensorListMetadataILi4EEENS1_32PointwiseOpScalar0dTensorFunctorIN3c108BFloat16ELi4ELi2ELi3EEEJSt7dividesIfEfEEEvT_T0_DpT1_ ; -- Begin function _ZN2at6native12_GLOBAL__N_125multi_tensor_apply_kernelINS1_18TensorListMetadataILi4EEENS1_32PointwiseOpScalar0dTensorFunctorIN3c108BFloat16ELi4ELi2ELi3EEEJSt7dividesIfEfEEEvT_T0_DpT1_
	.p2align	8
	.type	_ZN2at6native12_GLOBAL__N_125multi_tensor_apply_kernelINS1_18TensorListMetadataILi4EEENS1_32PointwiseOpScalar0dTensorFunctorIN3c108BFloat16ELi4ELi2ELi3EEEJSt7dividesIfEfEEEvT_T0_DpT1_,@function
_ZN2at6native12_GLOBAL__N_125multi_tensor_apply_kernelINS1_18TensorListMetadataILi4EEENS1_32PointwiseOpScalar0dTensorFunctorIN3c108BFloat16ELi4ELi2ELi3EEEJSt7dividesIfEfEEEvT_T0_DpT1_: ; @_ZN2at6native12_GLOBAL__N_125multi_tensor_apply_kernelINS1_18TensorListMetadataILi4EEENS1_32PointwiseOpScalar0dTensorFunctorIN3c108BFloat16ELi4ELi2ELi3EEEJSt7dividesIfEfEEEvT_T0_DpT1_
; %bb.0:
	s_bfe_u32 s2, ttmp6, 0x4000c
	s_and_b32 s3, ttmp6, 15
	s_add_co_i32 s2, s2, 1
	s_getreg_b32 s4, hwreg(HW_REG_IB_STS2, 6, 4)
	s_mul_i32 s2, ttmp9, s2
	s_load_b32 s24, s[0:1], 0xbec
	s_add_co_i32 s3, s3, s2
	s_cmp_eq_u32 s4, 0
	s_cselect_b32 s2, ttmp9, s3
	s_mov_b32 s3, 0
	s_load_u8 s10, s[0:1], s2 offset:0x5a0
	s_add_nc_u64 s[4:5], s[0:1], s[2:3]
	s_mul_u64 s[6:7], s[2:3], 3
	s_delay_alu instid0(SALU_CYCLE_1)
	s_add_nc_u64 s[4:5], s[4:5], s[6:7]
	s_load_b32 s18, s[4:5], 0x6e0
	s_wait_kmcnt 0x0
	s_clause 0x4
	s_load_b64 s[8:9], s[0:1], s10 offset:0x120 scale_offset
	s_load_b64 s[12:13], s[0:1], s10 offset:0x0 scale_offset
	;; [unrolled: 1-line block ×5, first 2 shown]
	s_ashr_i32 s19, s18, 31
	s_wait_kmcnt 0x0
	s_load_u16 s25, s[8:9], 0x0
	s_lshl_b64 s[4:5], s[18:19], 17
	s_delay_alu instid0(SALU_CYCLE_1)
	s_add_nc_u64 s[10:11], s[8:9], s[4:5]
	s_add_nc_u64 s[6:7], s[12:13], s[4:5]
	s_and_b32 s2, s10, 7
	s_and_b64 s[22:23], s[6:7], 7
	s_wait_xcnt 0x0
	s_add_nc_u64 s[8:9], s[14:15], s[4:5]
	s_cmp_lg_u64 s[2:3], 0
	s_add_nc_u64 s[10:11], s[16:17], s[4:5]
	s_cselect_b32 s26, -1, 0
	s_or_b32 s2, s10, s8
	s_delay_alu instid0(SALU_CYCLE_1) | instskip(NEXT) | instid1(SALU_CYCLE_1)
	s_and_b32 s2, s2, 7
	s_cmp_lg_u32 s2, 0
	s_cselect_b32 s27, -1, 0
	s_and_b32 s2, s20, 3
	s_lshl_b64 s[18:19], s[18:19], 16
	s_or_b64 s[2:3], s[22:23], s[2:3]
	s_or_b32 s26, s27, s26
	s_wait_kmcnt 0x0
	s_lshl_b32 s25, s25, 16
	s_cmp_lg_u64 s[2:3], 0
	s_sub_nc_u64 s[18:19], s[20:21], s[18:19]
	s_cselect_b32 s2, -1, 0
	s_delay_alu instid0(SALU_CYCLE_1) | instskip(NEXT) | instid1(SALU_CYCLE_1)
	s_or_b32 s2, s26, s2
	s_and_not1_b32 vcc_lo, exec_lo, s2
	s_mov_b32 s2, -1
	s_cbranch_vccz .LBB65_5
; %bb.1:
	v_min_i64 v[2:3], 0x10000, s[18:19]
	v_dual_mov_b32 v5, 0 :: v_dual_lshlrev_b32 v4, 2, v0
	s_mov_b32 s26, exec_lo
	s_delay_alu instid0(VALU_DEP_1)
	v_cmpx_lt_i64_e64 v[4:5], v[2:3]
	s_cbranch_execz .LBB65_4
; %bb.2:
	s_load_b32 s3, s[0:1], 0xbfc
	v_dual_mov_b32 v1, v5 :: v_dual_lshlrev_b32 v4, 3, v0
	s_cmp_eq_f32 s24, 1.0
	s_mov_b32 s21, 0
	s_delay_alu instid0(VALU_DEP_1) | instskip(NEXT) | instid1(VALU_DEP_2)
	v_add_nc_u64_e32 v[4:5], s[4:5], v[4:5]
	v_mov_b64_e32 v[6:7], v[0:1]
	s_cselect_b32 s2, -1, 0
	s_mov_b32 s23, s21
	s_mov_b32 s27, s21
	s_wait_kmcnt 0x0
	s_and_b32 s20, s3, 0xffff
	s_delay_alu instid0(SALU_CYCLE_1)
	s_lshl_b32 s22, s20, 3
.LBB65_3:                               ; =>This Inner Loop Header: Depth=1
	v_add_nc_u64_e32 v[8:9], s[14:15], v[4:5]
	v_add_nc_u64_e32 v[10:11], s[12:13], v[4:5]
	;; [unrolled: 1-line block ×3, first 2 shown]
	global_load_b64 v[12:13], v[8:9], off
	global_load_b64 v[14:15], v[10:11], off
	s_wait_xcnt 0x1
	v_lshlrev_b64_e32 v[8:9], 2, v[6:7]
	s_wait_loadcnt 0x1
	v_and_b32_e32 v16, 0xffff0000, v12
	s_wait_loadcnt 0x0
	s_wait_xcnt 0x0
	v_dual_lshlrev_b32 v1, 16, v14 :: v_dual_lshlrev_b32 v10, 16, v12
	v_alignbit_b32 v12, v13, v12, 16
	v_and_b32_e32 v13, 0xffff0000, v13
	v_div_scale_f32 v21, null, v16, v16, s25
	s_delay_alu instid0(VALU_DEP_4) | instskip(NEXT) | instid1(VALU_DEP_4)
	v_div_scale_f32 v19, null, v10, v10, s25
	v_and_b32_e32 v12, 0xffff0000, v12
	s_delay_alu instid0(VALU_DEP_4) | instskip(NEXT) | instid1(VALU_DEP_3)
	v_div_scale_f32 v24, null, v13, v13, s25
	v_rcp_f32_e32 v26, v19
	v_rcp_f32_e32 v27, v21
	s_delay_alu instid0(VALU_DEP_2) | instskip(NEXT) | instid1(VALU_DEP_2)
	v_div_scale_f32 v28, null, v12, v12, s25
	v_rcp_f32_e32 v29, v24
	v_div_scale_f32 v20, vcc_lo, s25, v10, s25
	s_delay_alu instid0(TRANS32_DEP_3) | instskip(NEXT) | instid1(VALU_DEP_3)
	v_fma_f32 v32, -v19, v26, 1.0
	v_rcp_f32_e32 v31, v28
	s_delay_alu instid0(TRANS32_DEP_3) | instskip(SKIP_1) | instid1(TRANS32_DEP_2)
	v_fma_f32 v33, -v21, v27, 1.0
	v_div_scale_f32 v22, s3, s25, v16, s25
	v_fma_f32 v34, -v24, v29, 1.0
	s_delay_alu instid0(VALU_DEP_3) | instskip(NEXT) | instid1(TRANS32_DEP_1)
	v_dual_fmac_f32 v26, v32, v26 :: v_dual_fmac_f32 v27, v33, v27
	v_fma_f32 v32, -v28, v31, 1.0
	v_div_scale_f32 v25, s4, s25, v13, s25
	s_delay_alu instid0(VALU_DEP_3) | instskip(SKIP_2) | instid1(VALU_DEP_3)
	v_dual_fmac_f32 v29, v34, v29 :: v_dual_mul_f32 v33, v20, v26
	v_div_scale_f32 v30, s5, s25, v12, s25
	v_mul_f32_e32 v34, v22, v27
	v_dual_fmac_f32 v31, v32, v31 :: v_dual_fma_f32 v35, -v19, v33, v20
	s_delay_alu instid0(VALU_DEP_4) | instskip(SKIP_1) | instid1(VALU_DEP_3)
	v_mul_f32_e32 v32, v25, v29
	v_and_b32_e32 v11, 0xffff0000, v14
	v_dual_fma_f32 v36, -v21, v34, v22 :: v_dual_mul_f32 v37, v30, v31
	s_delay_alu instid0(VALU_DEP_4) | instskip(SKIP_2) | instid1(VALU_DEP_4)
	v_fmac_f32_e32 v33, v35, v26
	v_alignbit_b32 v17, v15, v14, 16
	v_and_b32_e32 v18, 0xffff0000, v15
	v_fmac_f32_e32 v34, v36, v27
	s_delay_alu instid0(VALU_DEP_4) | instskip(SKIP_2) | instid1(VALU_DEP_3)
	v_dual_fma_f32 v38, -v24, v32, v25 :: v_dual_fma_f32 v19, -v19, v33, v20
	v_fma_f32 v35, -v28, v37, v30
	v_and_b32_e32 v23, 0xffff0000, v17
	v_dual_fma_f32 v20, -v21, v34, v22 :: v_dual_fmac_f32 v32, v38, v29
	s_delay_alu instid0(VALU_DEP_4) | instskip(SKIP_1) | instid1(VALU_DEP_2)
	v_div_fmas_f32 v19, v19, v26, v33
	s_mov_b32 vcc_lo, s3
	v_div_fmas_f32 v20, v20, v27, v34
	s_mov_b32 vcc_lo, s5
	s_delay_alu instid0(VALU_DEP_2) | instskip(SKIP_1) | instid1(VALU_DEP_3)
	v_div_fixup_f32 v10, v19, v10, s25
	v_fmac_f32_e32 v37, v35, v31
	v_div_fixup_f32 v16, v20, v16, s25
	s_delay_alu instid0(VALU_DEP_3) | instskip(NEXT) | instid1(VALU_DEP_3)
	v_add_f32_e32 v1, v10, v1
	v_fma_f32 v22, -v28, v37, v30
	v_fma_mix_f32_bf16 v10, s24, v10, v14 op_sel_hi:[0,0,1]
	v_fma_f32 v21, -v24, v32, v25
	v_fma_mix_f32_bf16 v14, s24, v16, v14 op_sel:[0,0,1] op_sel_hi:[0,0,1]
	s_delay_alu instid0(VALU_DEP_4) | instskip(SKIP_3) | instid1(VALU_DEP_3)
	v_div_fmas_f32 v19, v22, v31, v37
	s_mov_b32 vcc_lo, s4
	v_cndmask_b32_e64 v1, v10, v1, s2
	v_div_fmas_f32 v20, v21, v29, v32
	v_div_fixup_f32 v12, v19, v12, s25
	s_delay_alu instid0(VALU_DEP_3) | instskip(NEXT) | instid1(VALU_DEP_3)
	v_cmp_o_f32_e32 vcc_lo, v1, v1
	v_div_fixup_f32 v13, v20, v13, s25
	s_delay_alu instid0(VALU_DEP_1) | instskip(SKIP_3) | instid1(VALU_DEP_4)
	v_dual_add_f32 v11, v16, v11 :: v_dual_add_f32 v16, v13, v18
	v_fma_mix_f32_bf16 v13, s24, v13, v15 op_sel:[0,0,1] op_sel_hi:[0,0,1]
	v_add_f32_e32 v10, v12, v23
	v_fma_mix_f32_bf16 v12, s24, v12, v17 op_sel:[0,0,1] op_sel_hi:[0,0,1]
	v_cndmask_b32_e64 v11, v14, v11, s2
	v_bfe_u32 v14, v1, 16, 1
	s_delay_alu instid0(VALU_DEP_3) | instskip(NEXT) | instid1(VALU_DEP_3)
	v_dual_cndmask_b32 v10, v12, v10, s2 :: v_dual_cndmask_b32 v12, v13, v16, s2
	v_bfe_u32 v13, v11, 16, 1
	s_delay_alu instid0(VALU_DEP_3) | instskip(SKIP_1) | instid1(VALU_DEP_4)
	v_add3_u32 v14, v1, v14, 0x7fff
	v_cmp_o_f32_e64 s3, v11, v11
	v_bfe_u32 v15, v10, 16, 1
	v_bfe_u32 v16, v12, 16, 1
	v_add3_u32 v13, v11, v13, 0x7fff
	s_delay_alu instid0(VALU_DEP_3) | instskip(SKIP_1) | instid1(VALU_DEP_4)
	v_add3_u32 v1, v10, v15, 0x7fff
	v_lshrrev_b32_e32 v14, 16, v14
	v_add3_u32 v15, v12, v16, 0x7fff
	s_delay_alu instid0(VALU_DEP_4) | instskip(NEXT) | instid1(VALU_DEP_4)
	v_and_b32_e32 v13, 0xffff0000, v13
	v_lshrrev_b32_e32 v1, 16, v1
	s_delay_alu instid0(VALU_DEP_4) | instskip(NEXT) | instid1(VALU_DEP_4)
	v_cndmask_b32_e32 v11, 0x7fc0, v14, vcc_lo
	v_and_b32_e32 v14, 0xffff0000, v15
	s_delay_alu instid0(VALU_DEP_4) | instskip(SKIP_2) | instid1(VALU_DEP_3)
	v_cndmask_b32_e64 v13, 0x7fc00000, v13, s3
	v_cmp_o_f32_e32 vcc_lo, v10, v10
	v_cmp_o_f32_e64 s3, v12, v12
	v_or_b32_e32 v12, v11, v13
	v_cndmask_b32_e32 v1, 0x7fc0, v1, vcc_lo
	s_delay_alu instid0(VALU_DEP_3) | instskip(SKIP_3) | instid1(VALU_DEP_4)
	v_cndmask_b32_e64 v10, 0x7fc00000, v14, s3
	v_cmp_ge_i64_e32 vcc_lo, v[8:9], v[2:3]
	v_add_nc_u64_e32 v[8:9], s[16:17], v[4:5]
	v_add_nc_u64_e32 v[4:5], s[22:23], v[4:5]
	v_or3_b32 v11, 0, v1, v10
	v_or3_b32 v10, v12, 0, 0
	s_or_b32 s27, vcc_lo, s27
	global_store_b64 v[8:9], v[10:11], off
	s_wait_xcnt 0x0
	s_and_not1_b32 exec_lo, exec_lo, s27
	s_cbranch_execnz .LBB65_3
.LBB65_4:
	s_or_b32 exec_lo, exec_lo, s26
	s_mov_b32 s2, 0
.LBB65_5:
	s_delay_alu instid0(SALU_CYCLE_1)
	s_and_not1_b32 vcc_lo, exec_lo, s2
	s_cbranch_vccnz .LBB65_25
; %bb.6:
	v_cmp_lt_i64_e64 s2, s[18:19], 1
	s_and_b32 vcc_lo, exec_lo, s2
	s_cbranch_vccnz .LBB65_25
; %bb.7:
	v_min_i64 v[2:3], 0x10000, s[18:19]
	v_min_u64 v[4:5], 0x10000, s[18:19]
	s_load_b32 s0, s[0:1], 0xbfc
	v_mov_b32_e32 v1, 0
	s_mov_b32 s3, 0
	s_mov_b64 s[16:17], 0
	s_mov_b32 s5, s3
	s_mov_b32 s13, s3
	;; [unrolled: 1-line block ×3, first 2 shown]
	s_wait_kmcnt 0x0
	s_and_b32 s2, s0, 0xffff
	s_cmp_eq_f32 s24, 1.0
	s_mul_i32 s12, s2, 3
	s_cselect_b32 s0, -1, 0
	s_lshl_b32 s4, s2, 1
	s_lshl_b32 s14, s2, 2
	s_branch .LBB65_9
.LBB65_8:                               ;   in Loop: Header=BB65_9 Depth=1
	s_wait_xcnt 0x0
	s_or_b32 exec_lo, exec_lo, s1
	s_add_nc_u64 s[16:17], s[16:17], s[14:15]
	s_delay_alu instid0(SALU_CYCLE_1)
	v_cmp_ge_i64_e32 vcc_lo, s[16:17], v[2:3]
	s_cbranch_vccnz .LBB65_25
.LBB65_9:                               ; =>This Inner Loop Header: Depth=1
	v_add_nc_u64_e32 v[16:17], s[16:17], v[0:1]
	v_mov_b64_e32 v[8:9], 0
	v_mov_b64_e32 v[6:7], 0
	s_mov_b32 s1, exec_lo
	s_delay_alu instid0(VALU_DEP_3)
	v_cmpx_lt_i64_e64 v[16:17], v[2:3]
	s_cbranch_execz .LBB65_11
; %bb.10:                               ;   in Loop: Header=BB65_9 Depth=1
	v_lshlrev_b64_e32 v[6:7], 1, v[16:17]
	s_delay_alu instid0(VALU_DEP_1)
	v_add_nc_u64_e32 v[8:9], s[6:7], v[6:7]
	v_add_nc_u64_e32 v[6:7], s[8:9], v[6:7]
	global_load_u16 v10, v[8:9], off
	global_load_u16 v11, v[6:7], off
	s_wait_xcnt 0x0
	v_dual_mov_b32 v7, s3 :: v_dual_mov_b32 v9, s3
	s_wait_loadcnt 0x1
	v_and_b32_e32 v6, 0xffff, v10
	s_wait_loadcnt 0x0
	v_and_b32_e32 v8, 0xffff, v11
.LBB65_11:                              ;   in Loop: Header=BB65_9 Depth=1
	s_or_b32 exec_lo, exec_lo, s1
	v_add_nc_u64_e32 v[14:15], s[2:3], v[16:17]
	s_mov_b32 s1, exec_lo
	s_delay_alu instid0(VALU_DEP_1)
	v_cmpx_lt_i64_e64 v[14:15], v[2:3]
	s_cbranch_execz .LBB65_13
; %bb.12:                               ;   in Loop: Header=BB65_9 Depth=1
	v_lshlrev_b64_e32 v[10:11], 1, v[14:15]
	s_delay_alu instid0(VALU_DEP_1)
	v_add_nc_u64_e32 v[12:13], s[6:7], v[10:11]
	v_add_nc_u64_e32 v[10:11], s[8:9], v[10:11]
	global_load_u16 v18, v[12:13], off
	global_load_u16 v19, v[10:11], off
	s_wait_loadcnt 0x1
	v_lshl_or_b32 v6, v18, 16, v6
	s_wait_loadcnt 0x0
	v_lshl_or_b32 v8, v19, 16, v8
.LBB65_13:                              ;   in Loop: Header=BB65_9 Depth=1
	s_wait_xcnt 0x0
	s_or_b32 exec_lo, exec_lo, s1
	v_add_nc_u64_e32 v[12:13], s[4:5], v[16:17]
	s_mov_b32 s1, exec_lo
	s_delay_alu instid0(VALU_DEP_1)
	v_cmpx_lt_i64_e64 v[12:13], v[2:3]
	s_cbranch_execz .LBB65_15
; %bb.14:                               ;   in Loop: Header=BB65_9 Depth=1
	v_lshlrev_b64_e32 v[10:11], 1, v[12:13]
	s_delay_alu instid0(VALU_DEP_1)
	v_add_nc_u64_e32 v[18:19], s[6:7], v[10:11]
	v_add_nc_u64_e32 v[10:11], s[8:9], v[10:11]
	global_load_u16 v20, v[18:19], off
	global_load_u16 v21, v[10:11], off
	s_wait_loadcnt 0x1
	v_or_b32_e32 v7, v20, v7
	s_wait_loadcnt 0x0
	v_or_b32_e32 v9, v21, v9
.LBB65_15:                              ;   in Loop: Header=BB65_9 Depth=1
	s_wait_xcnt 0x0
	s_or_b32 exec_lo, exec_lo, s1
	v_add_nc_u64_e32 v[10:11], s[12:13], v[16:17]
	s_mov_b32 s1, exec_lo
	s_delay_alu instid0(VALU_DEP_1)
	v_cmpx_lt_i64_e64 v[10:11], v[2:3]
	s_cbranch_execnz .LBB65_20
; %bb.16:                               ;   in Loop: Header=BB65_9 Depth=1
	s_or_b32 exec_lo, exec_lo, s1
	s_delay_alu instid0(SALU_CYCLE_1)
	s_mov_b32 s1, exec_lo
	v_cmpx_lt_u64_e64 v[16:17], v[4:5]
	s_cbranch_execnz .LBB65_21
.LBB65_17:                              ;   in Loop: Header=BB65_9 Depth=1
	s_or_b32 exec_lo, exec_lo, s1
	s_delay_alu instid0(SALU_CYCLE_1)
	s_mov_b32 s1, exec_lo
	v_cmpx_lt_u64_e64 v[14:15], v[4:5]
	s_cbranch_execnz .LBB65_22
.LBB65_18:                              ;   in Loop: Header=BB65_9 Depth=1
	s_or_b32 exec_lo, exec_lo, s1
	s_delay_alu instid0(SALU_CYCLE_1)
	s_mov_b32 s1, exec_lo
	v_cmpx_lt_u64_e64 v[12:13], v[4:5]
	s_cbranch_execnz .LBB65_23
.LBB65_19:                              ;   in Loop: Header=BB65_9 Depth=1
	s_or_b32 exec_lo, exec_lo, s1
	s_delay_alu instid0(SALU_CYCLE_1)
	s_mov_b32 s1, exec_lo
	v_cmpx_lt_u64_e64 v[10:11], v[4:5]
	s_cbranch_execz .LBB65_8
	s_branch .LBB65_24
.LBB65_20:                              ;   in Loop: Header=BB65_9 Depth=1
	v_lshlrev_b64_e32 v[18:19], 1, v[10:11]
	s_delay_alu instid0(VALU_DEP_1)
	v_add_nc_u64_e32 v[20:21], s[6:7], v[18:19]
	v_add_nc_u64_e32 v[18:19], s[8:9], v[18:19]
	global_load_u16 v22, v[20:21], off
	global_load_u16 v23, v[18:19], off
	s_wait_loadcnt 0x0
	v_dual_lshlrev_b32 v18, 16, v22 :: v_dual_lshlrev_b32 v19, 16, v23
	s_delay_alu instid0(VALU_DEP_1) | instskip(NEXT) | instid1(VALU_DEP_2)
	v_or_b32_e32 v7, v18, v7
	v_or_b32_e32 v9, v19, v9
	s_or_b32 exec_lo, exec_lo, s1
	s_delay_alu instid0(SALU_CYCLE_1)
	s_mov_b32 s1, exec_lo
	v_cmpx_lt_u64_e64 v[16:17], v[4:5]
	s_cbranch_execz .LBB65_17
.LBB65_21:                              ;   in Loop: Header=BB65_9 Depth=1
	v_lshlrev_b32_e32 v18, 16, v8
	v_lshl_add_u64 v[16:17], v[16:17], 1, s[10:11]
	s_delay_alu instid0(VALU_DEP_2) | instskip(SKIP_1) | instid1(VALU_DEP_2)
	v_div_scale_f32 v19, null, v18, v18, s25
	v_div_scale_f32 v22, vcc_lo, s25, v18, s25
	v_rcp_f32_e32 v20, v19
	v_nop
	s_delay_alu instid0(TRANS32_DEP_1) | instskip(NEXT) | instid1(VALU_DEP_1)
	v_fma_f32 v21, -v19, v20, 1.0
	v_fmac_f32_e32 v20, v21, v20
	s_delay_alu instid0(VALU_DEP_1) | instskip(NEXT) | instid1(VALU_DEP_1)
	v_mul_f32_e32 v21, v22, v20
	v_fma_f32 v23, -v19, v21, v22
	s_delay_alu instid0(VALU_DEP_1) | instskip(NEXT) | instid1(VALU_DEP_1)
	v_fmac_f32_e32 v21, v23, v20
	v_fma_f32 v19, -v19, v21, v22
	s_delay_alu instid0(VALU_DEP_1) | instskip(SKIP_1) | instid1(VALU_DEP_2)
	v_div_fmas_f32 v19, v19, v20, v21
	v_lshlrev_b32_e32 v20, 16, v6
	v_div_fixup_f32 v18, v19, v18, s25
	s_delay_alu instid0(VALU_DEP_1) | instskip(SKIP_1) | instid1(VALU_DEP_1)
	v_add_f32_e32 v19, v18, v20
	v_fma_mix_f32_bf16 v18, s24, v18, v6 op_sel_hi:[0,0,1]
	v_cndmask_b32_e64 v18, v18, v19, s0
	s_delay_alu instid0(VALU_DEP_1) | instskip(NEXT) | instid1(VALU_DEP_1)
	v_bfe_u32 v19, v18, 16, 1
	v_add3_u32 v19, v18, v19, 0x7fff
	s_delay_alu instid0(VALU_DEP_1) | instskip(SKIP_1) | instid1(VALU_DEP_2)
	v_lshrrev_b32_e32 v19, 16, v19
	v_cmp_o_f32_e32 vcc_lo, v18, v18
	v_cndmask_b32_e32 v18, 0x7fc0, v19, vcc_lo
	global_store_b16 v[16:17], v18, off
	s_wait_xcnt 0x0
	s_or_b32 exec_lo, exec_lo, s1
	s_delay_alu instid0(SALU_CYCLE_1)
	s_mov_b32 s1, exec_lo
	v_cmpx_lt_u64_e64 v[14:15], v[4:5]
	s_cbranch_execz .LBB65_18
.LBB65_22:                              ;   in Loop: Header=BB65_9 Depth=1
	v_and_b32_e32 v16, 0xffff0000, v8
	v_lshl_add_u64 v[14:15], v[14:15], 1, s[10:11]
	s_delay_alu instid0(VALU_DEP_2) | instskip(SKIP_1) | instid1(VALU_DEP_2)
	v_div_scale_f32 v17, null, v16, v16, s25
	v_div_scale_f32 v20, vcc_lo, s25, v16, s25
	v_rcp_f32_e32 v18, v17
	v_nop
	s_delay_alu instid0(TRANS32_DEP_1) | instskip(NEXT) | instid1(VALU_DEP_1)
	v_fma_f32 v19, -v17, v18, 1.0
	v_fmac_f32_e32 v18, v19, v18
	s_delay_alu instid0(VALU_DEP_1) | instskip(NEXT) | instid1(VALU_DEP_1)
	v_mul_f32_e32 v19, v20, v18
	v_fma_f32 v21, -v17, v19, v20
	s_delay_alu instid0(VALU_DEP_1) | instskip(NEXT) | instid1(VALU_DEP_1)
	v_fmac_f32_e32 v19, v21, v18
	v_fma_f32 v17, -v17, v19, v20
	s_delay_alu instid0(VALU_DEP_1) | instskip(SKIP_1) | instid1(VALU_DEP_2)
	v_div_fmas_f32 v17, v17, v18, v19
	v_and_b32_e32 v18, 0xffff0000, v6
	v_div_fixup_f32 v16, v17, v16, s25
	s_delay_alu instid0(VALU_DEP_1) | instskip(SKIP_1) | instid1(VALU_DEP_1)
	v_add_f32_e32 v17, v16, v18
	v_fma_mix_f32_bf16 v16, s24, v16, v6 op_sel:[0,0,1] op_sel_hi:[0,0,1]
	v_cndmask_b32_e64 v16, v16, v17, s0
	s_delay_alu instid0(VALU_DEP_1) | instskip(SKIP_1) | instid1(VALU_DEP_2)
	v_bfe_u32 v17, v16, 16, 1
	v_cmp_o_f32_e32 vcc_lo, v16, v16
	v_add3_u32 v17, v16, v17, 0x7fff
	s_delay_alu instid0(VALU_DEP_1) | instskip(NEXT) | instid1(VALU_DEP_1)
	v_lshrrev_b32_e32 v17, 16, v17
	v_cndmask_b32_e32 v16, 0x7fc0, v17, vcc_lo
	global_store_b16 v[14:15], v16, off
	s_wait_xcnt 0x0
	s_or_b32 exec_lo, exec_lo, s1
	s_delay_alu instid0(SALU_CYCLE_1)
	s_mov_b32 s1, exec_lo
	v_cmpx_lt_u64_e64 v[12:13], v[4:5]
	s_cbranch_execz .LBB65_19
.LBB65_23:                              ;   in Loop: Header=BB65_9 Depth=1
	v_alignbit_b32 v8, v9, v8, 16
	v_alignbit_b32 v6, v7, v6, 16
	v_lshl_add_u64 v[12:13], v[12:13], 1, s[10:11]
	s_delay_alu instid0(VALU_DEP_3) | instskip(NEXT) | instid1(VALU_DEP_1)
	v_and_b32_e32 v8, 0xffff0000, v8
	v_div_scale_f32 v14, null, v8, v8, s25
	v_div_scale_f32 v17, vcc_lo, s25, v8, s25
	s_delay_alu instid0(VALU_DEP_2) | instskip(SKIP_1) | instid1(TRANS32_DEP_1)
	v_rcp_f32_e32 v15, v14
	v_nop
	v_fma_f32 v16, -v14, v15, 1.0
	s_delay_alu instid0(VALU_DEP_1) | instskip(NEXT) | instid1(VALU_DEP_1)
	v_fmac_f32_e32 v15, v16, v15
	v_mul_f32_e32 v16, v17, v15
	s_delay_alu instid0(VALU_DEP_1) | instskip(NEXT) | instid1(VALU_DEP_1)
	v_fma_f32 v18, -v14, v16, v17
	v_fmac_f32_e32 v16, v18, v15
	s_delay_alu instid0(VALU_DEP_1) | instskip(NEXT) | instid1(VALU_DEP_1)
	v_fma_f32 v14, -v14, v16, v17
	v_div_fmas_f32 v14, v14, v15, v16
	v_and_b32_e32 v15, 0xffff0000, v6
	s_delay_alu instid0(VALU_DEP_2) | instskip(NEXT) | instid1(VALU_DEP_1)
	v_div_fixup_f32 v8, v14, v8, s25
	v_add_f32_e32 v14, v8, v15
	v_fma_mix_f32_bf16 v6, s24, v8, v6 op_sel:[0,0,1] op_sel_hi:[0,0,1]
	s_delay_alu instid0(VALU_DEP_1) | instskip(NEXT) | instid1(VALU_DEP_1)
	v_cndmask_b32_e64 v6, v6, v14, s0
	v_bfe_u32 v8, v6, 16, 1
	v_cmp_o_f32_e32 vcc_lo, v6, v6
	s_delay_alu instid0(VALU_DEP_2) | instskip(NEXT) | instid1(VALU_DEP_1)
	v_add3_u32 v8, v6, v8, 0x7fff
	v_lshrrev_b32_e32 v8, 16, v8
	s_delay_alu instid0(VALU_DEP_1) | instskip(SKIP_3) | instid1(SALU_CYCLE_1)
	v_cndmask_b32_e32 v6, 0x7fc0, v8, vcc_lo
	global_store_b16 v[12:13], v6, off
	s_wait_xcnt 0x0
	s_or_b32 exec_lo, exec_lo, s1
	s_mov_b32 s1, exec_lo
	v_cmpx_lt_u64_e64 v[10:11], v[4:5]
	s_cbranch_execz .LBB65_8
.LBB65_24:                              ;   in Loop: Header=BB65_9 Depth=1
	v_and_b32_e32 v6, 0xffff0000, v9
	s_delay_alu instid0(VALU_DEP_1) | instskip(SKIP_1) | instid1(VALU_DEP_2)
	v_div_scale_f32 v8, null, v6, v6, s25
	v_div_scale_f32 v13, vcc_lo, s25, v6, s25
	v_rcp_f32_e32 v9, v8
	v_nop
	s_delay_alu instid0(TRANS32_DEP_1) | instskip(NEXT) | instid1(VALU_DEP_1)
	v_fma_f32 v12, -v8, v9, 1.0
	v_fmac_f32_e32 v9, v12, v9
	s_delay_alu instid0(VALU_DEP_1) | instskip(NEXT) | instid1(VALU_DEP_1)
	v_mul_f32_e32 v12, v13, v9
	v_fma_f32 v14, -v8, v12, v13
	s_delay_alu instid0(VALU_DEP_1) | instskip(NEXT) | instid1(VALU_DEP_1)
	v_fmac_f32_e32 v12, v14, v9
	v_fma_f32 v8, -v8, v12, v13
	s_delay_alu instid0(VALU_DEP_1) | instskip(SKIP_1) | instid1(VALU_DEP_2)
	v_div_fmas_f32 v8, v8, v9, v12
	v_and_b32_e32 v9, 0xffff0000, v7
	v_div_fixup_f32 v6, v8, v6, s25
	s_delay_alu instid0(VALU_DEP_1) | instskip(SKIP_1) | instid1(VALU_DEP_1)
	v_add_f32_e32 v8, v6, v9
	v_fma_mix_f32_bf16 v6, s24, v6, v7 op_sel:[0,0,1] op_sel_hi:[0,0,1]
	v_cndmask_b32_e64 v6, v6, v8, s0
	s_delay_alu instid0(VALU_DEP_1) | instskip(SKIP_1) | instid1(VALU_DEP_2)
	v_bfe_u32 v7, v6, 16, 1
	v_cmp_o_f32_e32 vcc_lo, v6, v6
	v_add3_u32 v7, v6, v7, 0x7fff
	s_delay_alu instid0(VALU_DEP_1) | instskip(NEXT) | instid1(VALU_DEP_1)
	v_lshrrev_b32_e32 v7, 16, v7
	v_cndmask_b32_e32 v8, 0x7fc0, v7, vcc_lo
	v_lshl_add_u64 v[6:7], v[10:11], 1, s[10:11]
	global_store_b16 v[6:7], v8, off
	s_branch .LBB65_8
.LBB65_25:
	s_endpgm
	.section	.rodata,"a",@progbits
	.p2align	6, 0x0
	.amdhsa_kernel _ZN2at6native12_GLOBAL__N_125multi_tensor_apply_kernelINS1_18TensorListMetadataILi4EEENS1_32PointwiseOpScalar0dTensorFunctorIN3c108BFloat16ELi4ELi2ELi3EEEJSt7dividesIfEfEEEvT_T0_DpT1_
		.amdhsa_group_segment_fixed_size 0
		.amdhsa_private_segment_fixed_size 0
		.amdhsa_kernarg_size 3312
		.amdhsa_user_sgpr_count 2
		.amdhsa_user_sgpr_dispatch_ptr 0
		.amdhsa_user_sgpr_queue_ptr 0
		.amdhsa_user_sgpr_kernarg_segment_ptr 1
		.amdhsa_user_sgpr_dispatch_id 0
		.amdhsa_user_sgpr_kernarg_preload_length 0
		.amdhsa_user_sgpr_kernarg_preload_offset 0
		.amdhsa_user_sgpr_private_segment_size 0
		.amdhsa_wavefront_size32 1
		.amdhsa_uses_dynamic_stack 0
		.amdhsa_enable_private_segment 0
		.amdhsa_system_sgpr_workgroup_id_x 1
		.amdhsa_system_sgpr_workgroup_id_y 0
		.amdhsa_system_sgpr_workgroup_id_z 0
		.amdhsa_system_sgpr_workgroup_info 0
		.amdhsa_system_vgpr_workitem_id 0
		.amdhsa_next_free_vgpr 39
		.amdhsa_next_free_sgpr 28
		.amdhsa_named_barrier_count 0
		.amdhsa_reserve_vcc 1
		.amdhsa_float_round_mode_32 0
		.amdhsa_float_round_mode_16_64 0
		.amdhsa_float_denorm_mode_32 3
		.amdhsa_float_denorm_mode_16_64 3
		.amdhsa_fp16_overflow 0
		.amdhsa_memory_ordered 1
		.amdhsa_forward_progress 1
		.amdhsa_inst_pref_size 22
		.amdhsa_round_robin_scheduling 0
		.amdhsa_exception_fp_ieee_invalid_op 0
		.amdhsa_exception_fp_denorm_src 0
		.amdhsa_exception_fp_ieee_div_zero 0
		.amdhsa_exception_fp_ieee_overflow 0
		.amdhsa_exception_fp_ieee_underflow 0
		.amdhsa_exception_fp_ieee_inexact 0
		.amdhsa_exception_int_div_zero 0
	.end_amdhsa_kernel
	.section	.text._ZN2at6native12_GLOBAL__N_125multi_tensor_apply_kernelINS1_18TensorListMetadataILi4EEENS1_32PointwiseOpScalar0dTensorFunctorIN3c108BFloat16ELi4ELi2ELi3EEEJSt7dividesIfEfEEEvT_T0_DpT1_,"axG",@progbits,_ZN2at6native12_GLOBAL__N_125multi_tensor_apply_kernelINS1_18TensorListMetadataILi4EEENS1_32PointwiseOpScalar0dTensorFunctorIN3c108BFloat16ELi4ELi2ELi3EEEJSt7dividesIfEfEEEvT_T0_DpT1_,comdat
.Lfunc_end65:
	.size	_ZN2at6native12_GLOBAL__N_125multi_tensor_apply_kernelINS1_18TensorListMetadataILi4EEENS1_32PointwiseOpScalar0dTensorFunctorIN3c108BFloat16ELi4ELi2ELi3EEEJSt7dividesIfEfEEEvT_T0_DpT1_, .Lfunc_end65-_ZN2at6native12_GLOBAL__N_125multi_tensor_apply_kernelINS1_18TensorListMetadataILi4EEENS1_32PointwiseOpScalar0dTensorFunctorIN3c108BFloat16ELi4ELi2ELi3EEEJSt7dividesIfEfEEEvT_T0_DpT1_
                                        ; -- End function
	.set _ZN2at6native12_GLOBAL__N_125multi_tensor_apply_kernelINS1_18TensorListMetadataILi4EEENS1_32PointwiseOpScalar0dTensorFunctorIN3c108BFloat16ELi4ELi2ELi3EEEJSt7dividesIfEfEEEvT_T0_DpT1_.num_vgpr, 39
	.set _ZN2at6native12_GLOBAL__N_125multi_tensor_apply_kernelINS1_18TensorListMetadataILi4EEENS1_32PointwiseOpScalar0dTensorFunctorIN3c108BFloat16ELi4ELi2ELi3EEEJSt7dividesIfEfEEEvT_T0_DpT1_.num_agpr, 0
	.set _ZN2at6native12_GLOBAL__N_125multi_tensor_apply_kernelINS1_18TensorListMetadataILi4EEENS1_32PointwiseOpScalar0dTensorFunctorIN3c108BFloat16ELi4ELi2ELi3EEEJSt7dividesIfEfEEEvT_T0_DpT1_.numbered_sgpr, 28
	.set _ZN2at6native12_GLOBAL__N_125multi_tensor_apply_kernelINS1_18TensorListMetadataILi4EEENS1_32PointwiseOpScalar0dTensorFunctorIN3c108BFloat16ELi4ELi2ELi3EEEJSt7dividesIfEfEEEvT_T0_DpT1_.num_named_barrier, 0
	.set _ZN2at6native12_GLOBAL__N_125multi_tensor_apply_kernelINS1_18TensorListMetadataILi4EEENS1_32PointwiseOpScalar0dTensorFunctorIN3c108BFloat16ELi4ELi2ELi3EEEJSt7dividesIfEfEEEvT_T0_DpT1_.private_seg_size, 0
	.set _ZN2at6native12_GLOBAL__N_125multi_tensor_apply_kernelINS1_18TensorListMetadataILi4EEENS1_32PointwiseOpScalar0dTensorFunctorIN3c108BFloat16ELi4ELi2ELi3EEEJSt7dividesIfEfEEEvT_T0_DpT1_.uses_vcc, 1
	.set _ZN2at6native12_GLOBAL__N_125multi_tensor_apply_kernelINS1_18TensorListMetadataILi4EEENS1_32PointwiseOpScalar0dTensorFunctorIN3c108BFloat16ELi4ELi2ELi3EEEJSt7dividesIfEfEEEvT_T0_DpT1_.uses_flat_scratch, 0
	.set _ZN2at6native12_GLOBAL__N_125multi_tensor_apply_kernelINS1_18TensorListMetadataILi4EEENS1_32PointwiseOpScalar0dTensorFunctorIN3c108BFloat16ELi4ELi2ELi3EEEJSt7dividesIfEfEEEvT_T0_DpT1_.has_dyn_sized_stack, 0
	.set _ZN2at6native12_GLOBAL__N_125multi_tensor_apply_kernelINS1_18TensorListMetadataILi4EEENS1_32PointwiseOpScalar0dTensorFunctorIN3c108BFloat16ELi4ELi2ELi3EEEJSt7dividesIfEfEEEvT_T0_DpT1_.has_recursion, 0
	.set _ZN2at6native12_GLOBAL__N_125multi_tensor_apply_kernelINS1_18TensorListMetadataILi4EEENS1_32PointwiseOpScalar0dTensorFunctorIN3c108BFloat16ELi4ELi2ELi3EEEJSt7dividesIfEfEEEvT_T0_DpT1_.has_indirect_call, 0
	.section	.AMDGPU.csdata,"",@progbits
; Kernel info:
; codeLenInByte = 2768
; TotalNumSgprs: 30
; NumVgprs: 39
; ScratchSize: 0
; MemoryBound: 0
; FloatMode: 240
; IeeeMode: 1
; LDSByteSize: 0 bytes/workgroup (compile time only)
; SGPRBlocks: 0
; VGPRBlocks: 2
; NumSGPRsForWavesPerEU: 30
; NumVGPRsForWavesPerEU: 39
; NamedBarCnt: 0
; Occupancy: 16
; WaveLimiterHint : 0
; COMPUTE_PGM_RSRC2:SCRATCH_EN: 0
; COMPUTE_PGM_RSRC2:USER_SGPR: 2
; COMPUTE_PGM_RSRC2:TRAP_HANDLER: 0
; COMPUTE_PGM_RSRC2:TGID_X_EN: 1
; COMPUTE_PGM_RSRC2:TGID_Y_EN: 0
; COMPUTE_PGM_RSRC2:TGID_Z_EN: 0
; COMPUTE_PGM_RSRC2:TIDIG_COMP_CNT: 0
	.section	.text._ZN2at6native12_GLOBAL__N_125multi_tensor_apply_kernelINS1_18TensorListMetadataILi3EEENS1_24PointwiseOpScalarFunctorIhLi3ELi3ELi0EEEJSt7dividesIhEhEEEvT_T0_DpT1_,"axG",@progbits,_ZN2at6native12_GLOBAL__N_125multi_tensor_apply_kernelINS1_18TensorListMetadataILi3EEENS1_24PointwiseOpScalarFunctorIhLi3ELi3ELi0EEEJSt7dividesIhEhEEEvT_T0_DpT1_,comdat
	.globl	_ZN2at6native12_GLOBAL__N_125multi_tensor_apply_kernelINS1_18TensorListMetadataILi3EEENS1_24PointwiseOpScalarFunctorIhLi3ELi3ELi0EEEJSt7dividesIhEhEEEvT_T0_DpT1_ ; -- Begin function _ZN2at6native12_GLOBAL__N_125multi_tensor_apply_kernelINS1_18TensorListMetadataILi3EEENS1_24PointwiseOpScalarFunctorIhLi3ELi3ELi0EEEJSt7dividesIhEhEEEvT_T0_DpT1_
	.p2align	8
	.type	_ZN2at6native12_GLOBAL__N_125multi_tensor_apply_kernelINS1_18TensorListMetadataILi3EEENS1_24PointwiseOpScalarFunctorIhLi3ELi3ELi0EEEJSt7dividesIhEhEEEvT_T0_DpT1_,@function
_ZN2at6native12_GLOBAL__N_125multi_tensor_apply_kernelINS1_18TensorListMetadataILi3EEENS1_24PointwiseOpScalarFunctorIhLi3ELi3ELi0EEEJSt7dividesIhEhEEEvT_T0_DpT1_: ; @_ZN2at6native12_GLOBAL__N_125multi_tensor_apply_kernelINS1_18TensorListMetadataILi3EEENS1_24PointwiseOpScalarFunctorIhLi3ELi3ELi0EEEJSt7dividesIhEhEEEvT_T0_DpT1_
; %bb.0:
	s_bfe_u32 s2, ttmp6, 0x4000c
	s_and_b32 s3, ttmp6, 15
	s_add_co_i32 s2, s2, 1
	s_getreg_b32 s4, hwreg(HW_REG_IB_STS2, 6, 4)
	s_mul_i32 s2, ttmp9, s2
	s_mov_b32 s13, 0
	s_add_co_i32 s3, s3, s2
	s_cmp_eq_u32 s4, 0
	s_cselect_b32 s12, ttmp9, s3
	s_delay_alu instid0(SALU_CYCLE_1) | instskip(SKIP_1) | instid1(SALU_CYCLE_1)
	s_add_nc_u64 s[2:3], s[0:1], s[12:13]
	s_mul_u64 s[4:5], s[12:13], 3
	s_add_nc_u64 s[2:3], s[2:3], s[4:5]
	s_clause 0x1
	s_load_b32 s10, s[2:3], 0x740
	s_load_u8 s11, s[0:1], s12 offset:0x600
	s_wait_kmcnt 0x0
	s_clause 0x3
	s_load_b64 s[4:5], s[0:1], s11 offset:0x180 scale_offset
	s_load_b64 s[6:7], s[0:1], s11 offset:0x300 scale_offset
	;; [unrolled: 1-line block ×4, first 2 shown]
	s_wait_xcnt 0x0
	s_ashr_i32 s11, s10, 31
	s_delay_alu instid0(SALU_CYCLE_1)
	s_lshl_b64 s[10:11], s[10:11], 16
	s_wait_kmcnt 0x0
	s_add_nc_u64 s[2:3], s[4:5], s[10:11]
	s_load_b32 s3, s[0:1], 0xc48
	s_or_b32 s2, s6, s2
	s_add_nc_u64 s[16:17], s[8:9], s[10:11]
	s_and_b32 s2, s2, 3
	s_delay_alu instid0(SALU_CYCLE_1) | instskip(SKIP_2) | instid1(SALU_CYCLE_1)
	s_cmp_eq_u32 s2, 0
	s_cselect_b32 s2, -1, 0
	s_or_b64 s[16:17], s[14:15], s[16:17]
	s_and_b32 s12, s16, 3
	s_delay_alu instid0(SALU_CYCLE_1) | instskip(SKIP_1) | instid1(SALU_CYCLE_1)
	s_cmp_eq_u64 s[12:13], 0
	s_cselect_b32 s12, -1, 0
	s_and_b32 s2, s2, s12
	s_sub_nc_u64 s[12:13], s[14:15], s[10:11]
	s_and_b32 vcc_lo, exec_lo, s2
	s_mov_b32 s2, -1
	s_cbranch_vccnz .LBB66_19
; %bb.1:
	v_cmp_lt_i64_e64 s2, s[12:13], 1
	s_and_b32 vcc_lo, exec_lo, s2
	s_cbranch_vccnz .LBB66_18
; %bb.2:
	s_load_b32 s2, s[0:1], 0xc5c
	v_min_i64 v[2:3], 0x10000, s[12:13]
	v_min_u64 v[4:5], 0x10000, s[12:13]
	v_mov_b32_e32 v1, 0
	s_mov_b32 s15, 0
	s_delay_alu instid0(SALU_CYCLE_1) | instskip(SKIP_1) | instid1(VALU_DEP_1)
	s_mov_b32 s17, s15
	s_mov_b32 s19, s15
	v_add_nc_u64_e32 v[12:13], s[10:11], v[0:1]
	s_delay_alu instid0(VALU_DEP_1) | instskip(SKIP_4) | instid1(SALU_CYCLE_1)
	v_add_nc_u64_e32 v[6:7], s[8:9], v[12:13]
	v_add_nc_u64_e32 v[8:9], s[4:5], v[12:13]
	;; [unrolled: 1-line block ×3, first 2 shown]
	s_wait_kmcnt 0x0
	s_and_b32 s14, s2, 0xffff
	s_lshl_b32 s16, s14, 1
	s_mul_i32 s18, s14, 3
	s_add_nc_u64 s[22:23], s[10:11], s[16:17]
	s_add_nc_u64 s[20:21], s[10:11], s[18:19]
	v_add_nc_u64_e32 v[20:21], s[14:15], v[12:13]
	v_add_nc_u64_e32 v[28:29], s[20:21], v[0:1]
	;; [unrolled: 1-line block ×6, first 2 shown]
	s_lshl_b32 s14, s14, 2
	v_add_nc_u64_e32 v[16:17], s[8:9], v[20:21]
	v_add_nc_u64_e32 v[18:19], s[4:5], v[20:21]
	;; [unrolled: 1-line block ×9, first 2 shown]
	s_mov_b64 s[16:17], 0
	s_lshr_b32 s18, s3, 16
	s_branch .LBB66_4
.LBB66_3:                               ;   in Loop: Header=BB66_4 Depth=1
	s_wait_xcnt 0x0
	s_or_b32 exec_lo, exec_lo, s2
	v_add_nc_u64_e32 v[56:57], s[16:17], v[28:29]
	s_wait_loadcnt 0x0
	v_cvt_f32_ubyte0_e32 v53, v53
	v_cvt_f32_ubyte0_e32 v54, v54
	;; [unrolled: 1-line block ×6, first 2 shown]
	global_load_u8 v55, v[56:57], off
	s_wait_xcnt 0x0
	v_rcp_iflag_f32_e32 v56, v53
	v_rcp_iflag_f32_e32 v57, v54
	;; [unrolled: 1-line block ×3, first 2 shown]
	v_cvt_f32_ubyte0_e32 v52, v52
	s_add_nc_u64 s[16:17], s[16:17], s[14:15]
	s_delay_alu instid0(SALU_CYCLE_1) | instskip(NEXT) | instid1(TRANS32_DEP_2)
	v_cmp_lt_i64_e32 vcc_lo, s[16:17], v[2:3]
	v_dual_mul_f32 v56, v47, v56 :: v_dual_mul_f32 v57, v50, v57
	s_delay_alu instid0(VALU_DEP_1) | instskip(NEXT) | instid1(TRANS32_DEP_1)
	v_trunc_f32_e32 v56, v56
	v_mul_f32_e32 v58, v46, v58
	s_delay_alu instid0(VALU_DEP_3) | instskip(SKIP_1) | instid1(VALU_DEP_3)
	v_trunc_f32_e32 v57, v57
	s_and_b32 vcc_lo, exec_lo, vcc_lo
	v_fma_f32 v47, -v56, v53, v47
	s_delay_alu instid0(VALU_DEP_3) | instskip(SKIP_4) | instid1(VALU_DEP_1)
	v_trunc_f32_e32 v58, v58
	v_cvt_u32_f32_e32 v56, v56
	v_fma_f32 v50, -v57, v54, v50
	v_cvt_u32_f32_e32 v57, v57
	v_cmp_ge_f32_e64 s2, |v47|, v53
	v_add_co_ci_u32_e64 v47, null, 0, v56, s2
	s_delay_alu instid0(VALU_DEP_4) | instskip(NEXT) | instid1(VALU_DEP_2)
	v_cmp_ge_f32_e64 s2, |v50|, v54
	v_mad_u16 v45, v47, s18, v45
	s_delay_alu instid0(VALU_DEP_2) | instskip(SKIP_2) | instid1(VALU_DEP_1)
	v_add_co_ci_u32_e64 v50, null, 0, v57, s2
	s_wait_loadcnt 0x0
	v_cvt_f32_ubyte0_e32 v55, v55
	v_rcp_iflag_f32_e32 v59, v55
	v_nop
	s_delay_alu instid0(TRANS32_DEP_1) | instskip(NEXT) | instid1(VALU_DEP_1)
	v_mul_f32_e32 v59, v52, v59
	v_trunc_f32_e32 v59, v59
	v_fma_f32 v46, -v58, v48, v46
	v_cvt_u32_f32_e32 v58, v58
	s_delay_alu instid0(VALU_DEP_3) | instskip(NEXT) | instid1(VALU_DEP_3)
	v_fma_f32 v52, -v59, v55, v52
	v_cmp_ge_f32_e64 s2, |v46|, v48
	v_cvt_u32_f32_e32 v53, v59
	s_delay_alu instid0(VALU_DEP_2) | instskip(NEXT) | instid1(VALU_DEP_4)
	v_add_co_ci_u32_e64 v46, null, 0, v58, s2
	v_cmp_ge_f32_e64 s2, |v52|, v55
	s_delay_alu instid0(VALU_DEP_2) | instskip(SKIP_1) | instid1(VALU_DEP_3)
	v_mad_u16 v44, v46, s18, v44
	v_mad_u16 v46, v50, s18, v49
	v_add_co_ci_u32_e64 v48, null, 0, v53, s2
	s_delay_alu instid0(VALU_DEP_1)
	v_mad_u16 v47, v48, s18, v51
	s_clause 0x3
	global_store_b8 v[36:37], v44, off
	global_store_b8 v[38:39], v45, off
	;; [unrolled: 1-line block ×4, first 2 shown]
	s_cbranch_vccz .LBB66_18
.LBB66_4:                               ; =>This Inner Loop Header: Depth=1
	s_wait_xcnt 0x3
	v_add_nc_u64_e32 v[36:37], s[16:17], v[0:1]
	s_wait_xcnt 0x1
	v_dual_mov_b32 v46, 0 :: v_dual_mov_b32 v44, 0
	s_delay_alu instid0(VALU_DEP_2)
	v_cmp_lt_u64_e32 vcc_lo, v[36:37], v[4:5]
	v_add_nc_u64_e32 v[36:37], s[16:17], v[6:7]
	s_wait_xcnt 0x0
	s_and_saveexec_b32 s2, vcc_lo
	s_cbranch_execz .LBB66_6
; %bb.5:                                ;   in Loop: Header=BB66_4 Depth=1
	v_add_nc_u64_e32 v[38:39], s[16:17], v[8:9]
	global_load_u8 v44, v[36:37], off
	global_load_u8 v46, v[38:39], off
.LBB66_6:                               ;   in Loop: Header=BB66_4 Depth=1
	s_wait_xcnt 0x0
	s_or_b32 exec_lo, exec_lo, s2
	v_dual_mov_b32 v47, 0 :: v_dual_mov_b32 v48, 0
	s_and_saveexec_b32 s2, vcc_lo
	s_cbranch_execz .LBB66_8
; %bb.7:                                ;   in Loop: Header=BB66_4 Depth=1
	v_add_nc_u64_e32 v[38:39], s[16:17], v[10:11]
	global_load_u8 v48, v[38:39], off
.LBB66_8:                               ;   in Loop: Header=BB66_4 Depth=1
	s_wait_xcnt 0x0
	s_or_b32 exec_lo, exec_lo, s2
	v_add_nc_u64_e32 v[38:39], s[16:17], v[34:35]
	v_mov_b32_e32 v45, 0
	s_delay_alu instid0(VALU_DEP_2)
	v_cmp_lt_u64_e32 vcc_lo, v[38:39], v[4:5]
	v_add_nc_u64_e32 v[38:39], s[16:17], v[16:17]
	s_and_saveexec_b32 s2, vcc_lo
	s_cbranch_execz .LBB66_10
; %bb.9:                                ;   in Loop: Header=BB66_4 Depth=1
	v_add_nc_u64_e32 v[40:41], s[16:17], v[18:19]
	global_load_u8 v45, v[38:39], off
	global_load_u8 v47, v[40:41], off
.LBB66_10:                              ;   in Loop: Header=BB66_4 Depth=1
	s_wait_xcnt 0x0
	s_or_b32 exec_lo, exec_lo, s2
	v_dual_mov_b32 v50, 0 :: v_dual_mov_b32 v53, 0
	s_and_saveexec_b32 s2, vcc_lo
	s_cbranch_execz .LBB66_12
; %bb.11:                               ;   in Loop: Header=BB66_4 Depth=1
	v_add_nc_u64_e32 v[40:41], s[16:17], v[20:21]
	global_load_u8 v53, v[40:41], off
.LBB66_12:                              ;   in Loop: Header=BB66_4 Depth=1
	s_wait_xcnt 0x0
	s_or_b32 exec_lo, exec_lo, s2
	v_add_nc_u64_e32 v[40:41], s[16:17], v[14:15]
	v_mov_b32_e32 v49, 0
	s_delay_alu instid0(VALU_DEP_2)
	v_cmp_lt_u64_e32 vcc_lo, v[40:41], v[4:5]
	v_add_nc_u64_e32 v[40:41], s[16:17], v[24:25]
	s_and_saveexec_b32 s2, vcc_lo
	s_cbranch_execz .LBB66_14
; %bb.13:                               ;   in Loop: Header=BB66_4 Depth=1
	v_add_nc_u64_e32 v[42:43], s[16:17], v[30:31]
	global_load_u8 v49, v[40:41], off
	global_load_u8 v50, v[42:43], off
.LBB66_14:                              ;   in Loop: Header=BB66_4 Depth=1
	s_wait_xcnt 0x0
	s_or_b32 exec_lo, exec_lo, s2
	v_dual_mov_b32 v52, 0 :: v_dual_mov_b32 v54, 0
	s_and_saveexec_b32 s2, vcc_lo
	s_cbranch_execz .LBB66_16
; %bb.15:                               ;   in Loop: Header=BB66_4 Depth=1
	v_add_nc_u64_e32 v[42:43], s[16:17], v[32:33]
	global_load_u8 v54, v[42:43], off
.LBB66_16:                              ;   in Loop: Header=BB66_4 Depth=1
	s_wait_xcnt 0x0
	s_or_b32 exec_lo, exec_lo, s2
	v_add_nc_u64_e32 v[42:43], s[16:17], v[12:13]
	v_mov_b32_e32 v51, 0
	s_delay_alu instid0(VALU_DEP_2)
	v_cmp_lt_u64_e32 vcc_lo, v[42:43], v[4:5]
	v_add_nc_u64_e32 v[42:43], s[16:17], v[22:23]
	s_and_saveexec_b32 s2, vcc_lo
	s_cbranch_execz .LBB66_3
; %bb.17:                               ;   in Loop: Header=BB66_4 Depth=1
	v_add_nc_u64_e32 v[56:57], s[16:17], v[26:27]
	global_load_u8 v51, v[42:43], off
	global_load_u8 v52, v[56:57], off
	s_branch .LBB66_3
.LBB66_18:
	s_mov_b32 s2, 0
.LBB66_19:
	s_delay_alu instid0(SALU_CYCLE_1)
	s_and_not1_b32 vcc_lo, exec_lo, s2
	s_cbranch_vccnz .LBB66_23
; %bb.20:
	v_min_i64 v[2:3], 0x10000, s[12:13]
	v_dual_mov_b32 v5, 0 :: v_dual_lshlrev_b32 v4, 2, v0
	s_mov_b32 s2, exec_lo
	s_wait_xcnt 0x0
	s_delay_alu instid0(VALU_DEP_1)
	v_cmpx_lt_i64_e64 v[4:5], v[2:3]
	s_cbranch_execz .LBB66_23
; %bb.21:
	s_load_b32 s0, s[0:1], 0xc5c
	v_mov_b32_e32 v1, v5
	v_add_nc_u64_e32 v[4:5], s[10:11], v[4:5]
	s_wait_xcnt 0x0
	s_mov_b32 s1, 0
	s_wait_kmcnt 0x0
	s_lshr_b32 s10, s3, 16
	s_mov_b32 s3, s1
	s_mov_b32 s11, s1
	s_and_b32 s0, s0, 0xffff
	s_delay_alu instid0(SALU_CYCLE_1)
	s_lshl_b32 s2, s0, 2
.LBB66_22:                              ; =>This Inner Loop Header: Depth=1
	v_add_nc_u64_e32 v[6:7], s[4:5], v[4:5]
	v_add_nc_u64_e32 v[8:9], s[6:7], v[4:5]
	;; [unrolled: 1-line block ×5, first 2 shown]
	global_load_b32 v12, v[6:7], off
	global_load_b32 v13, v[8:9], off
	;; [unrolled: 1-line block ×3, first 2 shown]
	s_wait_loadcnt 0x2
	s_wait_xcnt 0x2
	v_cvt_f32_ubyte0_e32 v6, v12
	s_wait_loadcnt 0x1
	v_cvt_f32_ubyte0_e32 v7, v13
	v_cvt_f32_ubyte1_e32 v15, v13
	v_cvt_f32_ubyte2_e32 v18, v13
	v_cvt_f32_ubyte3_e32 v13, v13
	s_wait_xcnt 0x1
	v_cvt_f32_ubyte1_e32 v9, v12
	v_rcp_iflag_f32_e32 v20, v7
	v_rcp_iflag_f32_e32 v21, v15
	s_wait_loadcnt 0x0
	v_lshrrev_b32_e32 v19, 24, v14
	v_rcp_iflag_f32_e32 v22, v18
	v_rcp_iflag_f32_e32 v23, v13
	v_cvt_f32_ubyte2_e32 v17, v12
	v_cvt_f32_ubyte3_e32 v12, v12
	v_dual_mul_f32 v20, v6, v20 :: v_dual_mul_f32 v21, v9, v21
	v_dual_lshrrev_b32 v8, 8, v14 :: v_dual_lshrrev_b32 v16, 16, v14
	s_delay_alu instid0(TRANS32_DEP_1) | instid1(VALU_DEP_3)
	v_mul_f32_e32 v23, v12, v23
	s_delay_alu instid0(VALU_DEP_3) | instskip(SKIP_2) | instid1(VALU_DEP_4)
	v_trunc_f32_e32 v20, v20
	v_mul_f32_e32 v22, v17, v22
	v_trunc_f32_e32 v21, v21
	v_trunc_f32_e32 v23, v23
	s_delay_alu instid0(VALU_DEP_4) | instskip(NEXT) | instid1(VALU_DEP_4)
	v_fma_f32 v6, -v20, v7, v6
	v_trunc_f32_e32 v22, v22
	v_cvt_u32_f32_e32 v20, v20
	s_delay_alu instid0(VALU_DEP_4) | instskip(NEXT) | instid1(VALU_DEP_4)
	v_dual_fma_f32 v9, -v21, v15, v9 :: v_dual_fma_f32 v12, -v23, v13, v12
	v_cmp_ge_f32_e64 vcc_lo, |v6|, v7
	v_cvt_u32_f32_e32 v21, v21
	v_fma_f32 v17, -v22, v18, v17
	v_cvt_u32_f32_e32 v22, v22
	v_cvt_u32_f32_e32 v23, v23
	v_add_co_ci_u32_e64 v20, null, 0, v20, vcc_lo
	v_cmp_ge_f32_e64 vcc_lo, |v9|, v15
	s_delay_alu instid0(VALU_DEP_1) | instskip(SKIP_1) | instid1(VALU_DEP_2)
	v_add_co_ci_u32_e64 v6, null, 0, v21, vcc_lo
	v_cmp_ge_f32_e64 vcc_lo, |v17|, v18
	v_mad_u16 v8, v6, s10, v8
	s_delay_alu instid0(VALU_DEP_2) | instskip(SKIP_2) | instid1(VALU_DEP_4)
	v_add_co_ci_u32_e64 v7, null, 0, v22, vcc_lo
	v_cmp_ge_f32_e64 vcc_lo, |v12|, v13
	v_mad_u16 v13, v20, s10, v14
	v_and_b32_e32 v8, 0xff, v8
	s_delay_alu instid0(VALU_DEP_4) | instskip(SKIP_2) | instid1(VALU_DEP_4)
	v_mad_u16 v12, v7, s10, v16
	v_lshlrev_b64_e32 v[6:7], 2, v[0:1]
	v_add_co_ci_u32_e64 v9, null, 0, v23, vcc_lo
	v_perm_b32 v8, v8, v13, 0x6050400
	s_delay_alu instid0(VALU_DEP_4) | instskip(NEXT) | instid1(VALU_DEP_3)
	v_and_b32_e32 v12, 0xff, v12
	v_mad_u16 v9, v9, s10, v19
	v_cmp_ge_i64_e32 vcc_lo, v[6:7], v[2:3]
	s_delay_alu instid0(VALU_DEP_2) | instskip(SKIP_1) | instid1(VALU_DEP_1)
	v_dual_lshlrev_b32 v12, 16, v12 :: v_dual_lshlrev_b32 v9, 24, v9
	s_or_b32 s11, vcc_lo, s11
	v_or3_b32 v6, v8, v12, v9
	global_store_b32 v[10:11], v6, off
	s_wait_xcnt 0x0
	s_and_not1_b32 exec_lo, exec_lo, s11
	s_cbranch_execnz .LBB66_22
.LBB66_23:
	s_endpgm
	.section	.rodata,"a",@progbits
	.p2align	6, 0x0
	.amdhsa_kernel _ZN2at6native12_GLOBAL__N_125multi_tensor_apply_kernelINS1_18TensorListMetadataILi3EEENS1_24PointwiseOpScalarFunctorIhLi3ELi3ELi0EEEJSt7dividesIhEhEEEvT_T0_DpT1_
		.amdhsa_group_segment_fixed_size 0
		.amdhsa_private_segment_fixed_size 0
		.amdhsa_kernarg_size 3408
		.amdhsa_user_sgpr_count 2
		.amdhsa_user_sgpr_dispatch_ptr 0
		.amdhsa_user_sgpr_queue_ptr 0
		.amdhsa_user_sgpr_kernarg_segment_ptr 1
		.amdhsa_user_sgpr_dispatch_id 0
		.amdhsa_user_sgpr_kernarg_preload_length 0
		.amdhsa_user_sgpr_kernarg_preload_offset 0
		.amdhsa_user_sgpr_private_segment_size 0
		.amdhsa_wavefront_size32 1
		.amdhsa_uses_dynamic_stack 0
		.amdhsa_enable_private_segment 0
		.amdhsa_system_sgpr_workgroup_id_x 1
		.amdhsa_system_sgpr_workgroup_id_y 0
		.amdhsa_system_sgpr_workgroup_id_z 0
		.amdhsa_system_sgpr_workgroup_info 0
		.amdhsa_system_vgpr_workitem_id 0
		.amdhsa_next_free_vgpr 60
		.amdhsa_next_free_sgpr 24
		.amdhsa_named_barrier_count 0
		.amdhsa_reserve_vcc 1
		.amdhsa_float_round_mode_32 0
		.amdhsa_float_round_mode_16_64 0
		.amdhsa_float_denorm_mode_32 3
		.amdhsa_float_denorm_mode_16_64 3
		.amdhsa_fp16_overflow 0
		.amdhsa_memory_ordered 1
		.amdhsa_forward_progress 1
		.amdhsa_inst_pref_size 14
		.amdhsa_round_robin_scheduling 0
		.amdhsa_exception_fp_ieee_invalid_op 0
		.amdhsa_exception_fp_denorm_src 0
		.amdhsa_exception_fp_ieee_div_zero 0
		.amdhsa_exception_fp_ieee_overflow 0
		.amdhsa_exception_fp_ieee_underflow 0
		.amdhsa_exception_fp_ieee_inexact 0
		.amdhsa_exception_int_div_zero 0
	.end_amdhsa_kernel
	.section	.text._ZN2at6native12_GLOBAL__N_125multi_tensor_apply_kernelINS1_18TensorListMetadataILi3EEENS1_24PointwiseOpScalarFunctorIhLi3ELi3ELi0EEEJSt7dividesIhEhEEEvT_T0_DpT1_,"axG",@progbits,_ZN2at6native12_GLOBAL__N_125multi_tensor_apply_kernelINS1_18TensorListMetadataILi3EEENS1_24PointwiseOpScalarFunctorIhLi3ELi3ELi0EEEJSt7dividesIhEhEEEvT_T0_DpT1_,comdat
.Lfunc_end66:
	.size	_ZN2at6native12_GLOBAL__N_125multi_tensor_apply_kernelINS1_18TensorListMetadataILi3EEENS1_24PointwiseOpScalarFunctorIhLi3ELi3ELi0EEEJSt7dividesIhEhEEEvT_T0_DpT1_, .Lfunc_end66-_ZN2at6native12_GLOBAL__N_125multi_tensor_apply_kernelINS1_18TensorListMetadataILi3EEENS1_24PointwiseOpScalarFunctorIhLi3ELi3ELi0EEEJSt7dividesIhEhEEEvT_T0_DpT1_
                                        ; -- End function
	.set _ZN2at6native12_GLOBAL__N_125multi_tensor_apply_kernelINS1_18TensorListMetadataILi3EEENS1_24PointwiseOpScalarFunctorIhLi3ELi3ELi0EEEJSt7dividesIhEhEEEvT_T0_DpT1_.num_vgpr, 60
	.set _ZN2at6native12_GLOBAL__N_125multi_tensor_apply_kernelINS1_18TensorListMetadataILi3EEENS1_24PointwiseOpScalarFunctorIhLi3ELi3ELi0EEEJSt7dividesIhEhEEEvT_T0_DpT1_.num_agpr, 0
	.set _ZN2at6native12_GLOBAL__N_125multi_tensor_apply_kernelINS1_18TensorListMetadataILi3EEENS1_24PointwiseOpScalarFunctorIhLi3ELi3ELi0EEEJSt7dividesIhEhEEEvT_T0_DpT1_.numbered_sgpr, 24
	.set _ZN2at6native12_GLOBAL__N_125multi_tensor_apply_kernelINS1_18TensorListMetadataILi3EEENS1_24PointwiseOpScalarFunctorIhLi3ELi3ELi0EEEJSt7dividesIhEhEEEvT_T0_DpT1_.num_named_barrier, 0
	.set _ZN2at6native12_GLOBAL__N_125multi_tensor_apply_kernelINS1_18TensorListMetadataILi3EEENS1_24PointwiseOpScalarFunctorIhLi3ELi3ELi0EEEJSt7dividesIhEhEEEvT_T0_DpT1_.private_seg_size, 0
	.set _ZN2at6native12_GLOBAL__N_125multi_tensor_apply_kernelINS1_18TensorListMetadataILi3EEENS1_24PointwiseOpScalarFunctorIhLi3ELi3ELi0EEEJSt7dividesIhEhEEEvT_T0_DpT1_.uses_vcc, 1
	.set _ZN2at6native12_GLOBAL__N_125multi_tensor_apply_kernelINS1_18TensorListMetadataILi3EEENS1_24PointwiseOpScalarFunctorIhLi3ELi3ELi0EEEJSt7dividesIhEhEEEvT_T0_DpT1_.uses_flat_scratch, 0
	.set _ZN2at6native12_GLOBAL__N_125multi_tensor_apply_kernelINS1_18TensorListMetadataILi3EEENS1_24PointwiseOpScalarFunctorIhLi3ELi3ELi0EEEJSt7dividesIhEhEEEvT_T0_DpT1_.has_dyn_sized_stack, 0
	.set _ZN2at6native12_GLOBAL__N_125multi_tensor_apply_kernelINS1_18TensorListMetadataILi3EEENS1_24PointwiseOpScalarFunctorIhLi3ELi3ELi0EEEJSt7dividesIhEhEEEvT_T0_DpT1_.has_recursion, 0
	.set _ZN2at6native12_GLOBAL__N_125multi_tensor_apply_kernelINS1_18TensorListMetadataILi3EEENS1_24PointwiseOpScalarFunctorIhLi3ELi3ELi0EEEJSt7dividesIhEhEEEvT_T0_DpT1_.has_indirect_call, 0
	.section	.AMDGPU.csdata,"",@progbits
; Kernel info:
; codeLenInByte = 1728
; TotalNumSgprs: 26
; NumVgprs: 60
; ScratchSize: 0
; MemoryBound: 0
; FloatMode: 240
; IeeeMode: 1
; LDSByteSize: 0 bytes/workgroup (compile time only)
; SGPRBlocks: 0
; VGPRBlocks: 3
; NumSGPRsForWavesPerEU: 26
; NumVGPRsForWavesPerEU: 60
; NamedBarCnt: 0
; Occupancy: 16
; WaveLimiterHint : 0
; COMPUTE_PGM_RSRC2:SCRATCH_EN: 0
; COMPUTE_PGM_RSRC2:USER_SGPR: 2
; COMPUTE_PGM_RSRC2:TRAP_HANDLER: 0
; COMPUTE_PGM_RSRC2:TGID_X_EN: 1
; COMPUTE_PGM_RSRC2:TGID_Y_EN: 0
; COMPUTE_PGM_RSRC2:TGID_Z_EN: 0
; COMPUTE_PGM_RSRC2:TIDIG_COMP_CNT: 0
	.section	.text._ZN2at6native12_GLOBAL__N_125multi_tensor_apply_kernelINS1_18TensorListMetadataILi3EEENS1_24PointwiseOpScalarFunctorIaLi3ELi3ELi0EEEJSt7dividesIaEaEEEvT_T0_DpT1_,"axG",@progbits,_ZN2at6native12_GLOBAL__N_125multi_tensor_apply_kernelINS1_18TensorListMetadataILi3EEENS1_24PointwiseOpScalarFunctorIaLi3ELi3ELi0EEEJSt7dividesIaEaEEEvT_T0_DpT1_,comdat
	.globl	_ZN2at6native12_GLOBAL__N_125multi_tensor_apply_kernelINS1_18TensorListMetadataILi3EEENS1_24PointwiseOpScalarFunctorIaLi3ELi3ELi0EEEJSt7dividesIaEaEEEvT_T0_DpT1_ ; -- Begin function _ZN2at6native12_GLOBAL__N_125multi_tensor_apply_kernelINS1_18TensorListMetadataILi3EEENS1_24PointwiseOpScalarFunctorIaLi3ELi3ELi0EEEJSt7dividesIaEaEEEvT_T0_DpT1_
	.p2align	8
	.type	_ZN2at6native12_GLOBAL__N_125multi_tensor_apply_kernelINS1_18TensorListMetadataILi3EEENS1_24PointwiseOpScalarFunctorIaLi3ELi3ELi0EEEJSt7dividesIaEaEEEvT_T0_DpT1_,@function
_ZN2at6native12_GLOBAL__N_125multi_tensor_apply_kernelINS1_18TensorListMetadataILi3EEENS1_24PointwiseOpScalarFunctorIaLi3ELi3ELi0EEEJSt7dividesIaEaEEEvT_T0_DpT1_: ; @_ZN2at6native12_GLOBAL__N_125multi_tensor_apply_kernelINS1_18TensorListMetadataILi3EEENS1_24PointwiseOpScalarFunctorIaLi3ELi3ELi0EEEJSt7dividesIaEaEEEvT_T0_DpT1_
; %bb.0:
	s_bfe_u32 s2, ttmp6, 0x4000c
	s_and_b32 s3, ttmp6, 15
	s_add_co_i32 s2, s2, 1
	s_getreg_b32 s4, hwreg(HW_REG_IB_STS2, 6, 4)
	s_mul_i32 s2, ttmp9, s2
	s_load_b32 s20, s[0:1], 0xc48
	s_add_co_i32 s2, s3, s2
	s_cmp_eq_u32 s4, 0
	s_mov_b32 s3, 0
	s_cselect_b32 s2, ttmp9, s2
	s_delay_alu instid0(SALU_CYCLE_1) | instskip(SKIP_1) | instid1(SALU_CYCLE_1)
	s_add_nc_u64 s[4:5], s[0:1], s[2:3]
	s_mul_u64 s[6:7], s[2:3], 3
	s_add_nc_u64 s[4:5], s[4:5], s[6:7]
	s_clause 0x1
	s_load_b32 s12, s[4:5], 0x740
	s_load_u8 s13, s[0:1], s2 offset:0x600
	s_wait_kmcnt 0x0
	s_clause 0x3
	s_load_b64 s[6:7], s[0:1], s13 offset:0x180 scale_offset
	s_load_b64 s[8:9], s[0:1], s13 offset:0x300 scale_offset
	;; [unrolled: 1-line block ×4, first 2 shown]
	s_wait_xcnt 0x0
	s_ashr_i32 s13, s12, 31
	s_delay_alu instid0(SALU_CYCLE_1) | instskip(SKIP_2) | instid1(SALU_CYCLE_1)
	s_lshl_b64 s[12:13], s[12:13], 16
	s_wait_kmcnt 0x0
	s_add_nc_u64 s[14:15], s[6:7], s[12:13]
	s_or_b32 s2, s8, s14
	s_add_nc_u64 s[14:15], s[10:11], s[12:13]
	s_and_b32 s2, s2, 3
	s_delay_alu instid0(SALU_CYCLE_1) | instskip(SKIP_2) | instid1(SALU_CYCLE_1)
	s_cmp_eq_u32 s2, 0
	s_cselect_b32 s16, -1, 0
	s_or_b64 s[14:15], s[4:5], s[14:15]
	s_and_b32 s2, s14, 3
	s_sub_nc_u64 s[14:15], s[4:5], s[12:13]
	s_cmp_eq_u64 s[2:3], 0
	s_cselect_b32 s2, -1, 0
	s_delay_alu instid0(SALU_CYCLE_1) | instskip(NEXT) | instid1(SALU_CYCLE_1)
	s_and_b32 s2, s16, s2
	s_and_b32 vcc_lo, exec_lo, s2
	s_mov_b32 s2, -1
	s_cbranch_vccnz .LBB67_45
; %bb.1:
	v_cmp_lt_i64_e64 s2, s[14:15], 1
	s_and_b32 vcc_lo, exec_lo, s2
	s_cbranch_vccnz .LBB67_44
; %bb.2:
	s_load_b32 s2, s[0:1], 0xc5c
	v_min_i64 v[2:3], 0x10000, s[14:15]
	v_min_u64 v[4:5], 0x10000, s[14:15]
	v_mov_b32_e32 v1, 0
	s_mov_b32 s17, 0
	s_bfe_u32 s18, s20, 0x80010
	s_mov_b32 s3, s17
	s_mov_b32 s5, s17
	v_add_nc_u64_e32 v[12:13], s[12:13], v[0:1]
	s_delay_alu instid0(VALU_DEP_1) | instskip(SKIP_4) | instid1(SALU_CYCLE_1)
	v_add_nc_u64_e32 v[6:7], s[10:11], v[12:13]
	v_add_nc_u64_e32 v[8:9], s[6:7], v[12:13]
	;; [unrolled: 1-line block ×3, first 2 shown]
	s_wait_kmcnt 0x0
	s_and_b32 s16, s2, 0xffff
	s_lshl_b32 s2, s16, 1
	s_mul_i32 s4, s16, 3
	v_add_nc_u64_e32 v[20:21], s[16:17], v[12:13]
	s_cmp_lg_u32 s18, 1
	s_add_nc_u64 s[18:19], s[12:13], s[4:5]
	v_add_nc_u64_e32 v[12:13], s[4:5], v[0:1]
	s_add_nc_u64 s[4:5], s[12:13], s[2:3]
	v_add_nc_u64_e32 v[26:27], s[18:19], v[0:1]
	v_add_nc_u64_e32 v[32:33], s[4:5], v[0:1]
	;; [unrolled: 1-line block ×13, first 2 shown]
	s_cselect_b32 s21, -1, 0
	s_lshl_b32 s16, s16, 2
	s_mov_b64 s[18:19], 0
	s_lshr_b32 s22, s20, 16
	s_branch .LBB67_4
.LBB67_3:                               ;   in Loop: Header=BB67_4 Depth=1
	s_wait_xcnt 0x0
	s_or_b32 exec_lo, exec_lo, s2
	s_add_nc_u64 s[18:19], s[18:19], s[16:17]
	s_delay_alu instid0(SALU_CYCLE_1)
	v_cmp_ge_i64_e32 vcc_lo, s[18:19], v[2:3]
	s_cbranch_vccnz .LBB67_44
.LBB67_4:                               ; =>This Inner Loop Header: Depth=1
	v_add_nc_u64_e32 v[36:37], s[18:19], v[0:1]
	v_dual_mov_b32 v42, 0 :: v_dual_mov_b32 v41, 0
	s_delay_alu instid0(VALU_DEP_2)
	v_cmp_lt_u64_e64 s2, v[36:37], v[4:5]
	s_and_saveexec_b32 s3, s2
	s_cbranch_execz .LBB67_6
; %bb.5:                                ;   in Loop: Header=BB67_4 Depth=1
	v_add_nc_u64_e32 v[36:37], s[18:19], v[6:7]
	v_add_nc_u64_e32 v[38:39], s[18:19], v[8:9]
	global_load_u8 v41, v[36:37], off
	global_load_u8 v42, v[38:39], off
.LBB67_6:                               ;   in Loop: Header=BB67_4 Depth=1
	s_wait_xcnt 0x0
	s_or_b32 exec_lo, exec_lo, s3
	v_dual_mov_b32 v43, 0 :: v_dual_mov_b32 v47, 0
	s_and_saveexec_b32 s3, s2
	s_cbranch_execz .LBB67_8
; %bb.7:                                ;   in Loop: Header=BB67_4 Depth=1
	v_add_nc_u64_e32 v[36:37], s[18:19], v[10:11]
	global_load_u8 v47, v[36:37], off
.LBB67_8:                               ;   in Loop: Header=BB67_4 Depth=1
	s_wait_xcnt 0x0
	s_or_b32 exec_lo, exec_lo, s3
	v_add_nc_u64_e32 v[36:37], s[18:19], v[34:35]
	v_mov_b32_e32 v39, 0
	s_delay_alu instid0(VALU_DEP_2)
	v_cmp_lt_u64_e64 s3, v[36:37], v[4:5]
	s_and_saveexec_b32 s4, s3
	s_cbranch_execz .LBB67_10
; %bb.9:                                ;   in Loop: Header=BB67_4 Depth=1
	v_add_nc_u64_e32 v[36:37], s[18:19], v[16:17]
	v_add_nc_u64_e32 v[44:45], s[18:19], v[18:19]
	global_load_u8 v39, v[36:37], off
	global_load_u8 v43, v[44:45], off
.LBB67_10:                              ;   in Loop: Header=BB67_4 Depth=1
	s_wait_xcnt 0x0
	s_or_b32 exec_lo, exec_lo, s4
	v_dual_mov_b32 v40, 0 :: v_dual_mov_b32 v46, 0
	s_and_saveexec_b32 s4, s3
	s_cbranch_execz .LBB67_12
; %bb.11:                               ;   in Loop: Header=BB67_4 Depth=1
	v_add_nc_u64_e32 v[36:37], s[18:19], v[20:21]
	global_load_u8 v46, v[36:37], off
.LBB67_12:                              ;   in Loop: Header=BB67_4 Depth=1
	s_wait_xcnt 0x0
	s_or_b32 exec_lo, exec_lo, s4
	v_add_nc_u64_e32 v[36:37], s[18:19], v[14:15]
	s_delay_alu instid0(VALU_DEP_1)
	v_cmp_lt_u64_e64 s4, v[36:37], v[4:5]
	v_mov_b32_e32 v37, 0
	s_and_saveexec_b32 s5, s4
	s_cbranch_execz .LBB67_14
; %bb.13:                               ;   in Loop: Header=BB67_4 Depth=1
	v_add_nc_u64_e32 v[44:45], s[18:19], v[28:29]
	v_add_nc_u64_e32 v[48:49], s[18:19], v[30:31]
	global_load_u8 v37, v[44:45], off
	global_load_u8 v40, v[48:49], off
.LBB67_14:                              ;   in Loop: Header=BB67_4 Depth=1
	s_wait_xcnt 0x0
	s_or_b32 exec_lo, exec_lo, s5
	v_dual_mov_b32 v38, 0 :: v_dual_mov_b32 v45, 0
	s_and_saveexec_b32 s5, s4
	s_cbranch_execz .LBB67_16
; %bb.15:                               ;   in Loop: Header=BB67_4 Depth=1
	v_add_nc_u64_e32 v[44:45], s[18:19], v[32:33]
	global_load_u8 v45, v[44:45], off
.LBB67_16:                              ;   in Loop: Header=BB67_4 Depth=1
	s_wait_xcnt 0x0
	s_or_b32 exec_lo, exec_lo, s5
	v_add_nc_u64_e32 v[48:49], s[18:19], v[12:13]
	v_mov_b32_e32 v36, 0
	s_delay_alu instid0(VALU_DEP_2)
	v_cmp_lt_u64_e64 s5, v[48:49], v[4:5]
	s_and_saveexec_b32 s23, s5
	s_cbranch_execz .LBB67_18
; %bb.17:                               ;   in Loop: Header=BB67_4 Depth=1
	v_add_nc_u64_e32 v[48:49], s[18:19], v[22:23]
	v_add_nc_u64_e32 v[50:51], s[18:19], v[24:25]
	global_load_u8 v36, v[48:49], off
	global_load_u8 v38, v[50:51], off
.LBB67_18:                              ;   in Loop: Header=BB67_4 Depth=1
	s_wait_xcnt 0x0
	s_or_b32 exec_lo, exec_lo, s23
	v_mov_b32_e32 v44, 0
	s_and_saveexec_b32 s23, s5
	s_cbranch_execz .LBB67_20
; %bb.19:                               ;   in Loop: Header=BB67_4 Depth=1
	v_add_nc_u64_e32 v[48:49], s[18:19], v[26:27]
	global_load_u8 v44, v[48:49], off
.LBB67_20:                              ;   in Loop: Header=BB67_4 Depth=1
	s_wait_xcnt 0x0
	s_or_b32 exec_lo, exec_lo, s23
	s_wait_loadcnt 0x0
	v_bfe_i32 v47, v47, 0, 8
	v_bfe_i32 v42, v42, 0, 8
	s_mov_b32 s23, -1
	s_delay_alu instid0(VALU_DEP_2) | instskip(NEXT) | instid1(VALU_DEP_2)
	v_cvt_f32_i32_e32 v48, v47
	v_cvt_f32_i32_e32 v50, v42
	v_xor_b32_e32 v42, v42, v47
	s_delay_alu instid0(VALU_DEP_3) | instskip(SKIP_1) | instid1(TRANS32_DEP_1)
	v_rcp_iflag_f32_e32 v49, v48
	v_nop
	v_dual_mul_f32 v49, v50, v49 :: v_dual_ashrrev_i32 v42, 30, v42
	s_delay_alu instid0(VALU_DEP_1) | instskip(NEXT) | instid1(VALU_DEP_2)
	v_or_b32_e32 v42, 1, v42
	v_trunc_f32_e32 v47, v49
	s_delay_alu instid0(VALU_DEP_1) | instskip(SKIP_1) | instid1(VALU_DEP_2)
	v_fma_f32 v49, -v47, v48, v50
	v_cvt_i32_f32_e32 v47, v47
	v_cmp_ge_f32_e64 vcc_lo, |v49|, |v48|
	v_cndmask_b32_e32 v42, 0, v42, vcc_lo
	s_and_b32 vcc_lo, exec_lo, s21
	s_delay_alu instid0(VALU_DEP_1) | instskip(NEXT) | instid1(VALU_DEP_1)
	v_add_nc_u32_e32 v42, v47, v42
	v_bfe_i32 v47, v42, 0, 8
                                        ; implicit-def: $vgpr42
	s_cbranch_vccz .LBB67_22
; %bb.21:                               ;   in Loop: Header=BB67_4 Depth=1
	s_delay_alu instid0(VALU_DEP_1)
	v_mad_u16 v42, s22, v47, v41
	s_mov_b32 s23, 0
.LBB67_22:                              ;   in Loop: Header=BB67_4 Depth=1
	s_delay_alu instid0(SALU_CYCLE_1)
	s_and_not1_b32 vcc_lo, exec_lo, s23
	s_cbranch_vccnz .LBB67_24
; %bb.23:                               ;   in Loop: Header=BB67_4 Depth=1
	s_delay_alu instid0(VALU_DEP_1)
	v_add_nc_u16 v42, v41, v47
.LBB67_24:                              ;   in Loop: Header=BB67_4 Depth=1
	v_bfe_i32 v41, v46, 0, 8
	v_bfe_i32 v43, v43, 0, 8
	s_mov_b32 s23, -1
	s_delay_alu instid0(VALU_DEP_2) | instskip(NEXT) | instid1(VALU_DEP_2)
	v_cvt_f32_i32_e32 v46, v41
	v_cvt_f32_i32_e32 v48, v43
	v_xor_b32_e32 v41, v43, v41
	s_delay_alu instid0(VALU_DEP_3) | instskip(SKIP_1) | instid1(TRANS32_DEP_1)
	v_rcp_iflag_f32_e32 v47, v46
	v_nop
	v_mul_f32_e32 v47, v48, v47
	s_delay_alu instid0(VALU_DEP_1) | instskip(NEXT) | instid1(VALU_DEP_1)
	v_trunc_f32_e32 v43, v47
	v_dual_ashrrev_i32 v41, 30, v41 :: v_dual_fma_f32 v47, -v43, v46, v48
	s_delay_alu instid0(VALU_DEP_1) | instskip(SKIP_1) | instid1(VALU_DEP_3)
	v_or_b32_e32 v41, 1, v41
	v_cvt_i32_f32_e32 v43, v43
	v_cmp_ge_f32_e64 vcc_lo, |v47|, |v46|
	s_delay_alu instid0(VALU_DEP_3) | instskip(SKIP_1) | instid1(VALU_DEP_1)
	v_cndmask_b32_e32 v41, 0, v41, vcc_lo
	s_and_not1_b32 vcc_lo, exec_lo, s21
	v_add_nc_u32_e32 v41, v43, v41
	s_delay_alu instid0(VALU_DEP_1)
	v_bfe_i32 v43, v41, 0, 8
                                        ; implicit-def: $vgpr41
	s_cbranch_vccnz .LBB67_26
; %bb.25:                               ;   in Loop: Header=BB67_4 Depth=1
	s_delay_alu instid0(VALU_DEP_1)
	v_mad_u16 v41, s22, v43, v39
	s_mov_b32 s23, 0
.LBB67_26:                              ;   in Loop: Header=BB67_4 Depth=1
	s_delay_alu instid0(SALU_CYCLE_1)
	s_and_not1_b32 vcc_lo, exec_lo, s23
	s_cbranch_vccnz .LBB67_28
; %bb.27:                               ;   in Loop: Header=BB67_4 Depth=1
	s_delay_alu instid0(VALU_DEP_1)
	v_add_nc_u16 v41, v39, v43
.LBB67_28:                              ;   in Loop: Header=BB67_4 Depth=1
	v_bfe_i32 v39, v45, 0, 8
	v_bfe_i32 v40, v40, 0, 8
	s_mov_b32 s23, -1
	s_delay_alu instid0(VALU_DEP_2) | instskip(NEXT) | instid1(VALU_DEP_2)
	v_cvt_f32_i32_e32 v43, v39
	v_cvt_f32_i32_e32 v46, v40
	v_xor_b32_e32 v39, v40, v39
	s_delay_alu instid0(VALU_DEP_3) | instskip(SKIP_1) | instid1(TRANS32_DEP_1)
	v_rcp_iflag_f32_e32 v45, v43
	v_nop
	v_dual_ashrrev_i32 v39, 30, v39 :: v_dual_mul_f32 v45, v46, v45
	s_delay_alu instid0(VALU_DEP_1) | instskip(NEXT) | instid1(VALU_DEP_2)
	v_or_b32_e32 v39, 1, v39
	v_trunc_f32_e32 v40, v45
	s_delay_alu instid0(VALU_DEP_1) | instskip(SKIP_1) | instid1(VALU_DEP_2)
	v_fma_f32 v45, -v40, v43, v46
	v_cvt_i32_f32_e32 v40, v40
	v_cmp_ge_f32_e64 vcc_lo, |v45|, |v43|
	v_cndmask_b32_e32 v39, 0, v39, vcc_lo
	s_and_not1_b32 vcc_lo, exec_lo, s21
	s_delay_alu instid0(VALU_DEP_1) | instskip(NEXT) | instid1(VALU_DEP_1)
	v_add_nc_u32_e32 v39, v40, v39
	v_bfe_i32 v40, v39, 0, 8
                                        ; implicit-def: $vgpr39
	s_cbranch_vccnz .LBB67_30
; %bb.29:                               ;   in Loop: Header=BB67_4 Depth=1
	s_delay_alu instid0(VALU_DEP_1)
	v_mad_u16 v39, s22, v40, v37
	s_mov_b32 s23, 0
.LBB67_30:                              ;   in Loop: Header=BB67_4 Depth=1
	s_delay_alu instid0(SALU_CYCLE_1)
	s_and_not1_b32 vcc_lo, exec_lo, s23
	s_cbranch_vccnz .LBB67_32
; %bb.31:                               ;   in Loop: Header=BB67_4 Depth=1
	s_delay_alu instid0(VALU_DEP_1)
	v_add_nc_u16 v39, v37, v40
.LBB67_32:                              ;   in Loop: Header=BB67_4 Depth=1
	v_bfe_i32 v37, v44, 0, 8
	v_bfe_i32 v38, v38, 0, 8
	s_mov_b32 s23, -1
	s_delay_alu instid0(VALU_DEP_2) | instskip(NEXT) | instid1(VALU_DEP_2)
	v_cvt_f32_i32_e32 v40, v37
	v_cvt_f32_i32_e32 v44, v38
	v_xor_b32_e32 v37, v38, v37
	s_delay_alu instid0(VALU_DEP_3) | instskip(SKIP_1) | instid1(TRANS32_DEP_1)
	v_rcp_iflag_f32_e32 v43, v40
	v_nop
	v_mul_f32_e32 v43, v44, v43
	s_delay_alu instid0(VALU_DEP_1) | instskip(NEXT) | instid1(VALU_DEP_1)
	v_trunc_f32_e32 v38, v43
	v_dual_ashrrev_i32 v37, 30, v37 :: v_dual_fma_f32 v43, -v38, v40, v44
	s_delay_alu instid0(VALU_DEP_1) | instskip(SKIP_1) | instid1(VALU_DEP_3)
	v_or_b32_e32 v37, 1, v37
	v_cvt_i32_f32_e32 v38, v38
	v_cmp_ge_f32_e64 vcc_lo, |v43|, |v40|
	s_delay_alu instid0(VALU_DEP_3) | instskip(SKIP_1) | instid1(VALU_DEP_1)
	v_cndmask_b32_e32 v37, 0, v37, vcc_lo
	s_and_not1_b32 vcc_lo, exec_lo, s21
	v_add_nc_u32_e32 v37, v38, v37
	s_delay_alu instid0(VALU_DEP_1)
	v_bfe_i32 v38, v37, 0, 8
                                        ; implicit-def: $vgpr37
	s_cbranch_vccz .LBB67_38
; %bb.33:                               ;   in Loop: Header=BB67_4 Depth=1
	s_and_not1_b32 vcc_lo, exec_lo, s23
	s_cbranch_vccz .LBB67_39
.LBB67_34:                              ;   in Loop: Header=BB67_4 Depth=1
	s_and_saveexec_b32 s23, s2
	s_delay_alu instid0(SALU_CYCLE_1)
	s_xor_b32 s2, exec_lo, s23
	s_cbranch_execnz .LBB67_40
.LBB67_35:                              ;   in Loop: Header=BB67_4 Depth=1
	s_or_b32 exec_lo, exec_lo, s2
	s_and_saveexec_b32 s2, s3
	s_cbranch_execnz .LBB67_41
.LBB67_36:                              ;   in Loop: Header=BB67_4 Depth=1
	s_or_b32 exec_lo, exec_lo, s2
	s_and_saveexec_b32 s2, s4
	s_cbranch_execnz .LBB67_42
.LBB67_37:                              ;   in Loop: Header=BB67_4 Depth=1
	s_or_b32 exec_lo, exec_lo, s2
	s_and_saveexec_b32 s2, s5
	s_cbranch_execz .LBB67_3
	s_branch .LBB67_43
.LBB67_38:                              ;   in Loop: Header=BB67_4 Depth=1
	s_delay_alu instid0(VALU_DEP_1)
	v_mad_u16 v37, s22, v38, v36
	s_cbranch_execnz .LBB67_34
.LBB67_39:                              ;   in Loop: Header=BB67_4 Depth=1
	s_delay_alu instid0(VALU_DEP_1) | instskip(SKIP_1) | instid1(SALU_CYCLE_1)
	v_add_nc_u16 v37, v36, v38
	s_and_saveexec_b32 s23, s2
	s_xor_b32 s2, exec_lo, s23
	s_cbranch_execz .LBB67_35
.LBB67_40:                              ;   in Loop: Header=BB67_4 Depth=1
	v_add_nc_u64_e32 v[44:45], s[18:19], v[6:7]
	global_store_b8 v[44:45], v42, off
	s_wait_xcnt 0x0
	s_or_b32 exec_lo, exec_lo, s2
	s_and_saveexec_b32 s2, s3
	s_cbranch_execz .LBB67_36
.LBB67_41:                              ;   in Loop: Header=BB67_4 Depth=1
	v_add_nc_u64_e32 v[42:43], s[18:19], v[16:17]
	global_store_b8 v[42:43], v41, off
	s_wait_xcnt 0x0
	s_or_b32 exec_lo, exec_lo, s2
	s_and_saveexec_b32 s2, s4
	s_cbranch_execz .LBB67_37
.LBB67_42:                              ;   in Loop: Header=BB67_4 Depth=1
	v_add_nc_u64_e32 v[40:41], s[18:19], v[28:29]
	global_store_b8 v[40:41], v39, off
	s_wait_xcnt 0x0
	s_or_b32 exec_lo, exec_lo, s2
	s_and_saveexec_b32 s2, s5
	s_cbranch_execz .LBB67_3
.LBB67_43:                              ;   in Loop: Header=BB67_4 Depth=1
	v_add_nc_u64_e32 v[38:39], s[18:19], v[22:23]
	global_store_b8 v[38:39], v37, off
	s_branch .LBB67_3
.LBB67_44:
	s_mov_b32 s2, 0
.LBB67_45:
	s_delay_alu instid0(SALU_CYCLE_1)
	s_and_not1_b32 vcc_lo, exec_lo, s2
	s_cbranch_vccnz .LBB67_49
; %bb.46:
	v_min_i64 v[2:3], 0x10000, s[14:15]
	v_dual_mov_b32 v5, 0 :: v_dual_lshlrev_b32 v4, 2, v0
	s_mov_b32 s2, exec_lo
	s_delay_alu instid0(VALU_DEP_1)
	v_cmpx_lt_i64_e64 v[4:5], v[2:3]
	s_cbranch_execz .LBB67_49
; %bb.47:
	s_load_b32 s0, s[0:1], 0xc5c
	v_mov_b32_e32 v1, v5
	v_add_nc_u64_e32 v[4:5], s[12:13], v[4:5]
	s_wait_xcnt 0x0
	s_mov_b32 s1, 0
	s_lshr_b32 s4, s20, 16
	s_mov_b32 s3, s1
	s_mov_b32 s5, s1
	s_wait_kmcnt 0x0
	s_and_b32 s0, s0, 0xffff
	s_delay_alu instid0(SALU_CYCLE_1)
	s_lshl_b32 s2, s0, 2
.LBB67_48:                              ; =>This Inner Loop Header: Depth=1
	v_add_nc_u64_e32 v[6:7], s[6:7], v[4:5]
	v_add_nc_u64_e32 v[8:9], s[8:9], v[4:5]
	;; [unrolled: 1-line block ×5, first 2 shown]
	global_load_b32 v12, v[6:7], off
	global_load_b32 v13, v[8:9], off
	;; [unrolled: 1-line block ×3, first 2 shown]
	s_wait_loadcnt 0x2
	v_bfe_i32 v15, v12, 8, 8
	s_wait_loadcnt 0x1
	v_bfe_i32 v16, v13, 8, 8
	s_wait_xcnt 0x2
	v_bfe_i32 v6, v12, 0, 8
	v_bfe_i32 v7, v13, 0, 8
	;; [unrolled: 1-line block ×4, first 2 shown]
	v_xor_b32_e32 v20, v15, v16
	v_cvt_f32_i32_e32 v16, v16
	v_xor_b32_e32 v19, v6, v7
	v_cvt_f32_i32_e32 v7, v7
	v_dual_ashrrev_i32 v13, 24, v13 :: v_dual_ashrrev_i32 v12, 24, v12
	s_delay_alu instid0(VALU_DEP_4)
	v_rcp_iflag_f32_e32 v24, v16
	v_cvt_f32_i32_e32 v15, v15
	v_cvt_f32_i32_e32 v6, v6
	v_rcp_iflag_f32_e32 v23, v7
	v_xor_b32_e32 v21, v17, v18
	v_cvt_f32_i32_e32 v18, v18
	s_delay_alu instid0(TRANS32_DEP_2) | instskip(SKIP_2) | instid1(VALU_DEP_4)
	v_dual_mul_f32 v24, v15, v24 :: v_dual_bitop2_b32 v22, v12, v13 bitop3:0x14
	v_cvt_f32_i32_e32 v17, v17
	v_ashrrev_i32_e32 v20, 30, v20
	v_rcp_iflag_f32_e32 v25, v18
	s_delay_alu instid0(VALU_DEP_3)
	v_dual_ashrrev_i32 v19, 30, v19 :: v_dual_ashrrev_i32 v22, 30, v22
	v_dual_mul_f32 v23, v6, v23 :: v_dual_ashrrev_i32 v21, 30, v21
	v_trunc_f32_e32 v24, v24
	v_cvt_f32_i32_e32 v13, v13
	s_delay_alu instid0(TRANS32_DEP_1) | instid1(VALU_DEP_4)
	v_dual_mul_f32 v25, v17, v25 :: v_dual_bitop2_b32 v19, 1, v19 bitop3:0x54
	s_delay_alu instid0(VALU_DEP_3) | instskip(SKIP_1) | instid1(VALU_DEP_4)
	v_dual_fma_f32 v15, -v24, v16, v15 :: v_dual_bitop2_b32 v22, 1, v22 bitop3:0x54
	v_trunc_f32_e32 v23, v23
	v_rcp_iflag_f32_e32 v26, v13
	v_cvt_f32_i32_e32 v12, v12
	v_or_b32_e32 v20, 1, v20
	s_delay_alu instid0(VALU_DEP_3) | instskip(SKIP_2) | instid1(TRANS32_DEP_1)
	v_dual_fma_f32 v6, -v23, v7, v6 :: v_dual_bitop2_b32 v21, 1, v21 bitop3:0x54
	v_trunc_f32_e32 v25, v25
	v_cmp_ge_f32_e64 vcc_lo, |v15|, |v16|
	v_mul_f32_e32 v26, v12, v26
	v_cvt_i32_f32_e32 v24, v24
	s_wait_loadcnt 0x0
	s_wait_xcnt 0x1
	v_dual_lshrrev_b32 v8, 8, v14 :: v_dual_lshrrev_b32 v9, 16, v14
	v_dual_fma_f32 v17, -v25, v18, v17 :: v_dual_cndmask_b32 v15, 0, v20, vcc_lo
	v_cmp_ge_f32_e64 vcc_lo, |v6|, |v7|
	v_trunc_f32_e32 v26, v26
	v_cvt_i32_f32_e32 v23, v23
	v_cvt_i32_f32_e32 v25, v25
	v_add_nc_u32_e32 v15, v24, v15
	v_cndmask_b32_e32 v6, 0, v19, vcc_lo
	v_cmp_ge_f32_e64 vcc_lo, |v17|, |v18|
	v_fma_f32 v12, -v26, v13, v12
	v_cvt_i32_f32_e32 v16, v26
	v_mad_u16 v8, s4, v15, v8
	v_dual_cndmask_b32 v7, 0, v21 :: v_dual_add_nc_u32 v6, v23, v6
	s_delay_alu instid0(VALU_DEP_4) | instskip(NEXT) | instid1(VALU_DEP_3)
	v_cmp_ge_f32_e64 vcc_lo, |v12|, |v13|
	v_and_b32_e32 v8, 0xff, v8
	s_delay_alu instid0(VALU_DEP_3) | instskip(NEXT) | instid1(VALU_DEP_4)
	v_add_nc_u32_e32 v7, v25, v7
	v_mad_u16 v13, s4, v6, v14
	v_cndmask_b32_e32 v12, 0, v22, vcc_lo
	v_lshrrev_b32_e32 v14, 24, v14
	s_delay_alu instid0(VALU_DEP_4) | instskip(SKIP_1) | instid1(VALU_DEP_4)
	v_mad_u16 v9, s4, v7, v9
	v_lshlrev_b64_e32 v[6:7], 2, v[0:1]
	v_add_nc_u32_e32 v12, v16, v12
	v_perm_b32 v8, v8, v13, 0x6050400
	s_delay_alu instid0(VALU_DEP_4) | instskip(NEXT) | instid1(VALU_DEP_3)
	v_and_b32_e32 v9, 0xff, v9
	v_mad_u16 v12, s4, v12, v14
	v_cmp_ge_i64_e32 vcc_lo, v[6:7], v[2:3]
	s_delay_alu instid0(VALU_DEP_3) | instskip(NEXT) | instid1(VALU_DEP_1)
	v_lshl_or_b32 v8, v9, 16, v8
	v_lshl_or_b32 v6, v12, 24, v8
	s_or_b32 s5, vcc_lo, s5
	global_store_b32 v[10:11], v6, off
	s_wait_xcnt 0x0
	s_and_not1_b32 exec_lo, exec_lo, s5
	s_cbranch_execnz .LBB67_48
.LBB67_49:
	s_endpgm
	.section	.rodata,"a",@progbits
	.p2align	6, 0x0
	.amdhsa_kernel _ZN2at6native12_GLOBAL__N_125multi_tensor_apply_kernelINS1_18TensorListMetadataILi3EEENS1_24PointwiseOpScalarFunctorIaLi3ELi3ELi0EEEJSt7dividesIaEaEEEvT_T0_DpT1_
		.amdhsa_group_segment_fixed_size 0
		.amdhsa_private_segment_fixed_size 0
		.amdhsa_kernarg_size 3408
		.amdhsa_user_sgpr_count 2
		.amdhsa_user_sgpr_dispatch_ptr 0
		.amdhsa_user_sgpr_queue_ptr 0
		.amdhsa_user_sgpr_kernarg_segment_ptr 1
		.amdhsa_user_sgpr_dispatch_id 0
		.amdhsa_user_sgpr_kernarg_preload_length 0
		.amdhsa_user_sgpr_kernarg_preload_offset 0
		.amdhsa_user_sgpr_private_segment_size 0
		.amdhsa_wavefront_size32 1
		.amdhsa_uses_dynamic_stack 0
		.amdhsa_enable_private_segment 0
		.amdhsa_system_sgpr_workgroup_id_x 1
		.amdhsa_system_sgpr_workgroup_id_y 0
		.amdhsa_system_sgpr_workgroup_id_z 0
		.amdhsa_system_sgpr_workgroup_info 0
		.amdhsa_system_vgpr_workitem_id 0
		.amdhsa_next_free_vgpr 52
		.amdhsa_next_free_sgpr 24
		.amdhsa_named_barrier_count 0
		.amdhsa_reserve_vcc 1
		.amdhsa_float_round_mode_32 0
		.amdhsa_float_round_mode_16_64 0
		.amdhsa_float_denorm_mode_32 3
		.amdhsa_float_denorm_mode_16_64 3
		.amdhsa_fp16_overflow 0
		.amdhsa_memory_ordered 1
		.amdhsa_forward_progress 1
		.amdhsa_inst_pref_size 19
		.amdhsa_round_robin_scheduling 0
		.amdhsa_exception_fp_ieee_invalid_op 0
		.amdhsa_exception_fp_denorm_src 0
		.amdhsa_exception_fp_ieee_div_zero 0
		.amdhsa_exception_fp_ieee_overflow 0
		.amdhsa_exception_fp_ieee_underflow 0
		.amdhsa_exception_fp_ieee_inexact 0
		.amdhsa_exception_int_div_zero 0
	.end_amdhsa_kernel
	.section	.text._ZN2at6native12_GLOBAL__N_125multi_tensor_apply_kernelINS1_18TensorListMetadataILi3EEENS1_24PointwiseOpScalarFunctorIaLi3ELi3ELi0EEEJSt7dividesIaEaEEEvT_T0_DpT1_,"axG",@progbits,_ZN2at6native12_GLOBAL__N_125multi_tensor_apply_kernelINS1_18TensorListMetadataILi3EEENS1_24PointwiseOpScalarFunctorIaLi3ELi3ELi0EEEJSt7dividesIaEaEEEvT_T0_DpT1_,comdat
.Lfunc_end67:
	.size	_ZN2at6native12_GLOBAL__N_125multi_tensor_apply_kernelINS1_18TensorListMetadataILi3EEENS1_24PointwiseOpScalarFunctorIaLi3ELi3ELi0EEEJSt7dividesIaEaEEEvT_T0_DpT1_, .Lfunc_end67-_ZN2at6native12_GLOBAL__N_125multi_tensor_apply_kernelINS1_18TensorListMetadataILi3EEENS1_24PointwiseOpScalarFunctorIaLi3ELi3ELi0EEEJSt7dividesIaEaEEEvT_T0_DpT1_
                                        ; -- End function
	.set _ZN2at6native12_GLOBAL__N_125multi_tensor_apply_kernelINS1_18TensorListMetadataILi3EEENS1_24PointwiseOpScalarFunctorIaLi3ELi3ELi0EEEJSt7dividesIaEaEEEvT_T0_DpT1_.num_vgpr, 52
	.set _ZN2at6native12_GLOBAL__N_125multi_tensor_apply_kernelINS1_18TensorListMetadataILi3EEENS1_24PointwiseOpScalarFunctorIaLi3ELi3ELi0EEEJSt7dividesIaEaEEEvT_T0_DpT1_.num_agpr, 0
	.set _ZN2at6native12_GLOBAL__N_125multi_tensor_apply_kernelINS1_18TensorListMetadataILi3EEENS1_24PointwiseOpScalarFunctorIaLi3ELi3ELi0EEEJSt7dividesIaEaEEEvT_T0_DpT1_.numbered_sgpr, 24
	.set _ZN2at6native12_GLOBAL__N_125multi_tensor_apply_kernelINS1_18TensorListMetadataILi3EEENS1_24PointwiseOpScalarFunctorIaLi3ELi3ELi0EEEJSt7dividesIaEaEEEvT_T0_DpT1_.num_named_barrier, 0
	.set _ZN2at6native12_GLOBAL__N_125multi_tensor_apply_kernelINS1_18TensorListMetadataILi3EEENS1_24PointwiseOpScalarFunctorIaLi3ELi3ELi0EEEJSt7dividesIaEaEEEvT_T0_DpT1_.private_seg_size, 0
	.set _ZN2at6native12_GLOBAL__N_125multi_tensor_apply_kernelINS1_18TensorListMetadataILi3EEENS1_24PointwiseOpScalarFunctorIaLi3ELi3ELi0EEEJSt7dividesIaEaEEEvT_T0_DpT1_.uses_vcc, 1
	.set _ZN2at6native12_GLOBAL__N_125multi_tensor_apply_kernelINS1_18TensorListMetadataILi3EEENS1_24PointwiseOpScalarFunctorIaLi3ELi3ELi0EEEJSt7dividesIaEaEEEvT_T0_DpT1_.uses_flat_scratch, 0
	.set _ZN2at6native12_GLOBAL__N_125multi_tensor_apply_kernelINS1_18TensorListMetadataILi3EEENS1_24PointwiseOpScalarFunctorIaLi3ELi3ELi0EEEJSt7dividesIaEaEEEvT_T0_DpT1_.has_dyn_sized_stack, 0
	.set _ZN2at6native12_GLOBAL__N_125multi_tensor_apply_kernelINS1_18TensorListMetadataILi3EEENS1_24PointwiseOpScalarFunctorIaLi3ELi3ELi0EEEJSt7dividesIaEaEEEvT_T0_DpT1_.has_recursion, 0
	.set _ZN2at6native12_GLOBAL__N_125multi_tensor_apply_kernelINS1_18TensorListMetadataILi3EEENS1_24PointwiseOpScalarFunctorIaLi3ELi3ELi0EEEJSt7dividesIaEaEEEvT_T0_DpT1_.has_indirect_call, 0
	.section	.AMDGPU.csdata,"",@progbits
; Kernel info:
; codeLenInByte = 2396
; TotalNumSgprs: 26
; NumVgprs: 52
; ScratchSize: 0
; MemoryBound: 0
; FloatMode: 240
; IeeeMode: 1
; LDSByteSize: 0 bytes/workgroup (compile time only)
; SGPRBlocks: 0
; VGPRBlocks: 3
; NumSGPRsForWavesPerEU: 26
; NumVGPRsForWavesPerEU: 52
; NamedBarCnt: 0
; Occupancy: 16
; WaveLimiterHint : 0
; COMPUTE_PGM_RSRC2:SCRATCH_EN: 0
; COMPUTE_PGM_RSRC2:USER_SGPR: 2
; COMPUTE_PGM_RSRC2:TRAP_HANDLER: 0
; COMPUTE_PGM_RSRC2:TGID_X_EN: 1
; COMPUTE_PGM_RSRC2:TGID_Y_EN: 0
; COMPUTE_PGM_RSRC2:TGID_Z_EN: 0
; COMPUTE_PGM_RSRC2:TIDIG_COMP_CNT: 0
	.section	.text._ZN2at6native12_GLOBAL__N_125multi_tensor_apply_kernelINS1_18TensorListMetadataILi3EEENS1_24PointwiseOpScalarFunctorIiLi3ELi3ELi0EEEJSt7dividesIiEiEEEvT_T0_DpT1_,"axG",@progbits,_ZN2at6native12_GLOBAL__N_125multi_tensor_apply_kernelINS1_18TensorListMetadataILi3EEENS1_24PointwiseOpScalarFunctorIiLi3ELi3ELi0EEEJSt7dividesIiEiEEEvT_T0_DpT1_,comdat
	.globl	_ZN2at6native12_GLOBAL__N_125multi_tensor_apply_kernelINS1_18TensorListMetadataILi3EEENS1_24PointwiseOpScalarFunctorIiLi3ELi3ELi0EEEJSt7dividesIiEiEEEvT_T0_DpT1_ ; -- Begin function _ZN2at6native12_GLOBAL__N_125multi_tensor_apply_kernelINS1_18TensorListMetadataILi3EEENS1_24PointwiseOpScalarFunctorIiLi3ELi3ELi0EEEJSt7dividesIiEiEEEvT_T0_DpT1_
	.p2align	8
	.type	_ZN2at6native12_GLOBAL__N_125multi_tensor_apply_kernelINS1_18TensorListMetadataILi3EEENS1_24PointwiseOpScalarFunctorIiLi3ELi3ELi0EEEJSt7dividesIiEiEEEvT_T0_DpT1_,@function
_ZN2at6native12_GLOBAL__N_125multi_tensor_apply_kernelINS1_18TensorListMetadataILi3EEENS1_24PointwiseOpScalarFunctorIiLi3ELi3ELi0EEEJSt7dividesIiEiEEEvT_T0_DpT1_: ; @_ZN2at6native12_GLOBAL__N_125multi_tensor_apply_kernelINS1_18TensorListMetadataILi3EEENS1_24PointwiseOpScalarFunctorIiLi3ELi3ELi0EEEJSt7dividesIiEiEEEvT_T0_DpT1_
; %bb.0:
	s_bfe_u32 s2, ttmp6, 0x4000c
	s_and_b32 s3, ttmp6, 15
	s_add_co_i32 s2, s2, 1
	s_getreg_b32 s4, hwreg(HW_REG_IB_STS2, 6, 4)
	s_mul_i32 s2, ttmp9, s2
	s_mov_b32 s11, 0
	s_add_co_i32 s3, s3, s2
	s_cmp_eq_u32 s4, 0
	s_load_b32 s18, s[0:1], 0xc4c
	s_cselect_b32 s10, ttmp9, s3
	s_delay_alu instid0(SALU_CYCLE_1) | instskip(SKIP_1) | instid1(SALU_CYCLE_1)
	s_add_nc_u64 s[2:3], s[0:1], s[10:11]
	s_mul_u64 s[4:5], s[10:11], 3
	s_add_nc_u64 s[2:3], s[2:3], s[4:5]
	s_clause 0x1
	s_load_b32 s12, s[2:3], 0x740
	s_load_u8 s8, s[0:1], s10 offset:0x600
	s_wait_kmcnt 0x0
	s_clause 0x3
	s_load_b64 s[2:3], s[0:1], s8 offset:0x180 scale_offset
	s_load_b64 s[4:5], s[0:1], s8 offset:0x300 scale_offset
	s_load_b64 s[6:7], s[0:1], s8 offset:0x0 scale_offset
	s_load_b64 s[14:15], s[0:1], s8 offset:0x480 scale_offset
	s_ashr_i32 s13, s12, 31
	s_wait_xcnt 0x0
	s_lshl_b64 s[8:9], s[12:13], 18
	s_wait_kmcnt 0x0
	s_add_nc_u64 s[16:17], s[2:3], s[8:9]
	s_delay_alu instid0(SALU_CYCLE_1) | instskip(SKIP_2) | instid1(SALU_CYCLE_1)
	s_or_b32 s10, s4, s16
	s_and_b64 s[16:17], s[6:7], 15
	s_and_b32 s10, s10, 15
	s_cmp_eq_u32 s10, 0
	s_cselect_b32 s19, -1, 0
	s_and_b32 s10, s14, 3
	s_lshl_b64 s[12:13], s[12:13], 16
	s_or_b64 s[10:11], s[16:17], s[10:11]
	s_delay_alu instid0(SALU_CYCLE_1) | instskip(SKIP_1) | instid1(SALU_CYCLE_1)
	s_cmp_eq_u64 s[10:11], 0
	s_cselect_b32 s10, -1, 0
	s_and_b32 s16, s19, s10
	s_sub_nc_u64 s[10:11], s[14:15], s[12:13]
	s_and_b32 vcc_lo, exec_lo, s16
	s_mov_b32 s12, -1
	s_cbranch_vccnz .LBB68_19
; %bb.1:
	v_cmp_lt_i64_e64 s12, s[10:11], 1
	s_and_b32 vcc_lo, exec_lo, s12
	s_cbranch_vccnz .LBB68_18
; %bb.2:
	s_load_b32 s12, s[0:1], 0xc5c
	v_min_i64 v[2:3], 0x10000, s[10:11]
	v_min_u64 v[4:5], 0x10000, s[10:11]
	v_dual_mov_b32 v1, 0 :: v_dual_lshlrev_b32 v18, 2, v0
	s_mov_b32 s15, 0
	s_delay_alu instid0(SALU_CYCLE_1) | instskip(NEXT) | instid1(VALU_DEP_1)
	s_mov_b32 s23, s15
	v_dual_mov_b32 v19, v1 :: v_dual_mov_b32 v37, v1
	s_mov_b32 s13, s15
	s_mov_b32 s17, s15
	;; [unrolled: 1-line block ×3, first 2 shown]
	s_delay_alu instid0(VALU_DEP_1) | instskip(SKIP_4) | instid1(SALU_CYCLE_1)
	v_add_nc_u64_e32 v[6:7], s[6:7], v[18:19]
	v_add_nc_u64_e32 v[8:9], s[2:3], v[18:19]
	;; [unrolled: 1-line block ×3, first 2 shown]
	s_wait_kmcnt 0x0
	s_and_b32 s14, s12, 0xffff
	v_add_nc_u64_e32 v[12:13], s[14:15], v[0:1]
	v_mad_nc_u64_u32 v[30:31], s14, 12, v[18:19]
	s_lshl_b32 s22, s14, 3
	s_lshl_b32 s12, s14, 2
	v_add_nc_u64_e32 v[24:25], s[22:23], v[18:19]
	s_lshl_b32 s16, s14, 1
	s_mul_i32 s20, s14, 3
	v_lshlrev_b32_e32 v36, 2, v12
	s_add_nc_u64 s[22:23], s[6:7], s[12:13]
	v_add_nc_u64_e32 v[14:15], s[20:21], v[0:1]
	v_add_nc_u64_e32 v[16:17], s[16:17], v[0:1]
	;; [unrolled: 1-line block ×12, first 2 shown]
	s_lshl_b32 s14, s14, 4
	s_mov_b64 s[16:17], 0
	s_branch .LBB68_4
.LBB68_3:                               ;   in Loop: Header=BB68_4 Depth=1
	s_wait_xcnt 0x0
	s_or_b32 exec_lo, exec_lo, s19
	v_add_nc_u64_e32 v[56:57], s[8:9], v[30:31]
	s_add_nc_u64 s[16:17], s[16:17], s[12:13]
	v_add_nc_u64_e32 v[6:7], s[14:15], v[6:7]
	v_add_nc_u64_e32 v[8:9], s[14:15], v[8:9]
	;; [unrolled: 1-line block ×5, first 2 shown]
	global_load_b32 v55, v[56:57], off
	s_wait_loadcnt 0x1
	s_wait_xcnt 0x0
	v_dual_sub_nc_u32 v57, 0, v51 :: v_dual_bitop2_b32 v56, v51, v54 bitop3:0x14
	v_add_nc_u64_e32 v[28:29], s[14:15], v[28:29]
	v_add_nc_u64_e32 v[30:31], s[14:15], v[30:31]
	;; [unrolled: 1-line block ×3, first 2 shown]
	s_delay_alu instid0(VALU_DEP_4)
	v_dual_ashrrev_i32 v56, 31, v56 :: v_dual_max_i32 v51, v51, v57
	v_sub_nc_u32_e32 v57, 0, v54
	v_add_nc_u64_e32 v[24:25], s[14:15], v[24:25]
	v_add_nc_u64_e32 v[32:33], s[14:15], v[32:33]
	;; [unrolled: 1-line block ×4, first 2 shown]
	v_max_i32_e32 v54, v54, v57
	s_delay_alu instid0(VALU_DEP_1) | instskip(NEXT) | instid1(VALU_DEP_1)
	v_cvt_f32_u32_e32 v57, v54
	v_rcp_iflag_f32_e32 v57, v57
	v_nop
	s_delay_alu instid0(TRANS32_DEP_1) | instskip(NEXT) | instid1(VALU_DEP_1)
	v_dual_mul_f32 v57, 0x4f7ffffe, v57 :: v_dual_sub_nc_u32 v58, 0, v54
	v_cvt_u32_f32_e32 v57, v57
	s_delay_alu instid0(VALU_DEP_1) | instskip(NEXT) | instid1(VALU_DEP_1)
	v_mul_lo_u32 v58, v58, v57
	v_mul_hi_u32 v58, v57, v58
	s_delay_alu instid0(VALU_DEP_1) | instskip(NEXT) | instid1(VALU_DEP_1)
	v_add_nc_u32_e32 v57, v57, v58
	v_mul_hi_u32 v57, v51, v57
	s_delay_alu instid0(VALU_DEP_1) | instskip(NEXT) | instid1(VALU_DEP_1)
	v_mul_lo_u32 v58, v57, v54
	v_dual_sub_nc_u32 v51, v51, v58 :: v_dual_add_nc_u32 v58, 1, v57
	s_delay_alu instid0(VALU_DEP_1) | instskip(NEXT) | instid1(VALU_DEP_2)
	v_cmp_ge_u32_e32 vcc_lo, v51, v54
	v_cndmask_b32_e32 v57, v57, v58, vcc_lo
	v_sub_nc_u32_e32 v58, v51, v54
	s_delay_alu instid0(VALU_DEP_1) | instskip(NEXT) | instid1(VALU_DEP_1)
	v_cndmask_b32_e32 v51, v51, v58, vcc_lo
	v_cmp_ge_u32_e32 vcc_lo, v51, v54
	s_delay_alu instid0(VALU_DEP_4) | instskip(NEXT) | instid1(VALU_DEP_1)
	v_dual_add_nc_u32 v51, 1, v57 :: v_dual_sub_nc_u32 v54, 0, v52
	v_cndmask_b32_e32 v51, v57, v51, vcc_lo
	s_delay_alu instid0(VALU_DEP_1) | instskip(NEXT) | instid1(VALU_DEP_1)
	v_xor_b32_e32 v51, v51, v56
	v_sub_nc_u32_e32 v51, v51, v56
	s_delay_alu instid0(VALU_DEP_1) | instskip(SKIP_2) | instid1(VALU_DEP_1)
	v_mad_u32 v50, v51, s18, v50
	v_xor_b32_e32 v51, v52, v53
	v_dual_sub_nc_u32 v54, 0, v53 :: v_dual_max_i32 v52, v52, v54
	v_max_i32_e32 v53, v53, v54
	s_delay_alu instid0(VALU_DEP_1) | instskip(SKIP_1) | instid1(VALU_DEP_2)
	v_cvt_f32_u32_e32 v54, v53
	v_sub_nc_u32_e32 v56, 0, v53
	v_rcp_iflag_f32_e32 v54, v54
	v_nop
	s_delay_alu instid0(TRANS32_DEP_1) | instskip(NEXT) | instid1(VALU_DEP_1)
	v_dual_mul_f32 v54, 0x4f7ffffe, v54 :: v_dual_ashrrev_i32 v51, 31, v51
	v_cvt_u32_f32_e32 v54, v54
	s_delay_alu instid0(VALU_DEP_1) | instskip(NEXT) | instid1(VALU_DEP_1)
	v_mul_lo_u32 v56, v56, v54
	v_mul_hi_u32 v56, v54, v56
	s_delay_alu instid0(VALU_DEP_1) | instskip(NEXT) | instid1(VALU_DEP_1)
	v_add_nc_u32_e32 v54, v54, v56
	v_mul_hi_u32 v54, v52, v54
	s_delay_alu instid0(VALU_DEP_1) | instskip(NEXT) | instid1(VALU_DEP_1)
	v_mul_lo_u32 v56, v54, v53
	v_dual_sub_nc_u32 v52, v52, v56 :: v_dual_add_nc_u32 v56, 1, v54
	s_delay_alu instid0(VALU_DEP_1) | instskip(NEXT) | instid1(VALU_DEP_2)
	v_cmp_ge_u32_e32 vcc_lo, v52, v53
	v_dual_cndmask_b32 v54, v54, v56, vcc_lo :: v_dual_sub_nc_u32 v56, v52, v53
	s_delay_alu instid0(VALU_DEP_1) | instskip(NEXT) | instid1(VALU_DEP_1)
	v_cndmask_b32_e32 v52, v52, v56, vcc_lo
	v_cmp_ge_u32_e32 vcc_lo, v52, v53
	s_delay_alu instid0(VALU_DEP_3) | instskip(NEXT) | instid1(VALU_DEP_1)
	v_add_nc_u32_e32 v52, 1, v54
	v_cndmask_b32_e32 v52, v54, v52, vcc_lo
	s_delay_alu instid0(VALU_DEP_1) | instskip(NEXT) | instid1(VALU_DEP_1)
	v_xor_b32_e32 v52, v52, v51
	v_dual_sub_nc_u32 v51, v52, v51 :: v_dual_sub_nc_u32 v52, 0, v49
	s_delay_alu instid0(VALU_DEP_1) | instskip(SKIP_2) | instid1(VALU_DEP_3)
	v_mad_u32 v47, v51, s18, v47
	s_wait_loadcnt 0x0
	v_xor_b32_e32 v51, v49, v55
	v_dual_sub_nc_u32 v52, 0, v55 :: v_dual_max_i32 v49, v49, v52
	s_delay_alu instid0(VALU_DEP_1) | instskip(NEXT) | instid1(VALU_DEP_1)
	v_dual_ashrrev_i32 v51, 31, v51 :: v_dual_max_i32 v52, v55, v52
	v_cvt_f32_u32_e32 v53, v52
	s_delay_alu instid0(VALU_DEP_1) | instskip(SKIP_1) | instid1(TRANS32_DEP_1)
	v_rcp_iflag_f32_e32 v53, v53
	v_nop
	v_dual_mul_f32 v53, 0x4f7ffffe, v53 :: v_dual_sub_nc_u32 v54, 0, v52
	s_delay_alu instid0(VALU_DEP_1) | instskip(NEXT) | instid1(VALU_DEP_1)
	v_cvt_u32_f32_e32 v53, v53
	v_mul_lo_u32 v54, v54, v53
	s_delay_alu instid0(VALU_DEP_1) | instskip(NEXT) | instid1(VALU_DEP_1)
	v_mul_hi_u32 v54, v53, v54
	v_add_nc_u32_e32 v53, v53, v54
	s_delay_alu instid0(VALU_DEP_1) | instskip(NEXT) | instid1(VALU_DEP_1)
	v_mul_hi_u32 v53, v49, v53
	v_mul_lo_u32 v54, v53, v52
	s_delay_alu instid0(VALU_DEP_1) | instskip(NEXT) | instid1(VALU_DEP_1)
	v_dual_sub_nc_u32 v49, v49, v54 :: v_dual_add_nc_u32 v54, 1, v53
	v_cmp_ge_u32_e32 vcc_lo, v49, v52
	s_delay_alu instid0(VALU_DEP_2) | instskip(SKIP_1) | instid1(VALU_DEP_1)
	v_cndmask_b32_e32 v53, v53, v54, vcc_lo
	v_sub_nc_u32_e32 v54, v49, v52
	v_cndmask_b32_e32 v49, v49, v54, vcc_lo
	s_delay_alu instid0(VALU_DEP_1) | instskip(NEXT) | instid1(VALU_DEP_4)
	v_cmp_ge_u32_e32 vcc_lo, v49, v52
	v_add_nc_u32_e32 v49, 1, v53
	s_delay_alu instid0(VALU_DEP_1) | instskip(NEXT) | instid1(VALU_DEP_1)
	v_cndmask_b32_e32 v49, v53, v49, vcc_lo
	v_xor_b32_e32 v49, v49, v51
	s_delay_alu instid0(VALU_DEP_1) | instskip(NEXT) | instid1(VALU_DEP_1)
	v_dual_sub_nc_u32 v49, v49, v51 :: v_dual_sub_nc_u32 v51, 0, v46
	v_mad_u32 v48, v49, s18, v48
	v_xor_b32_e32 v49, v46, v45
	s_delay_alu instid0(VALU_DEP_3) | instskip(NEXT) | instid1(VALU_DEP_1)
	v_dual_sub_nc_u32 v51, 0, v45 :: v_dual_max_i32 v46, v46, v51
	v_dual_ashrrev_i32 v49, 31, v49 :: v_dual_max_i32 v45, v45, v51
	s_delay_alu instid0(VALU_DEP_1) | instskip(SKIP_1) | instid1(VALU_DEP_2)
	v_cvt_f32_u32_e32 v51, v45
	v_sub_nc_u32_e32 v52, 0, v45
	v_rcp_iflag_f32_e32 v51, v51
	v_nop
	s_delay_alu instid0(TRANS32_DEP_1) | instskip(NEXT) | instid1(VALU_DEP_1)
	v_mul_f32_e32 v51, 0x4f7ffffe, v51
	v_cvt_u32_f32_e32 v51, v51
	s_delay_alu instid0(VALU_DEP_1) | instskip(NEXT) | instid1(VALU_DEP_1)
	v_mul_lo_u32 v52, v52, v51
	v_mul_hi_u32 v52, v51, v52
	s_delay_alu instid0(VALU_DEP_1) | instskip(NEXT) | instid1(VALU_DEP_1)
	v_add_nc_u32_e32 v51, v51, v52
	v_mul_hi_u32 v51, v46, v51
	s_delay_alu instid0(VALU_DEP_1) | instskip(NEXT) | instid1(VALU_DEP_1)
	v_mul_lo_u32 v52, v51, v45
	v_dual_sub_nc_u32 v46, v46, v52 :: v_dual_add_nc_u32 v52, 1, v51
	s_delay_alu instid0(VALU_DEP_1) | instskip(NEXT) | instid1(VALU_DEP_2)
	v_cmp_ge_u32_e32 vcc_lo, v46, v45
	v_dual_cndmask_b32 v51, v51, v52 :: v_dual_sub_nc_u32 v52, v46, v45
	s_delay_alu instid0(VALU_DEP_1) | instskip(NEXT) | instid1(VALU_DEP_1)
	v_cndmask_b32_e32 v46, v46, v52, vcc_lo
	v_cmp_ge_u32_e32 vcc_lo, v46, v45
	s_delay_alu instid0(VALU_DEP_3) | instskip(NEXT) | instid1(VALU_DEP_1)
	v_add_nc_u32_e32 v45, 1, v51
	v_cndmask_b32_e32 v45, v51, v45, vcc_lo
	v_cmp_lt_i64_e32 vcc_lo, s[16:17], v[2:3]
	s_delay_alu instid0(VALU_DEP_2) | instskip(SKIP_1) | instid1(VALU_DEP_1)
	v_xor_b32_e32 v45, v45, v49
	s_and_b32 vcc_lo, exec_lo, vcc_lo
	v_sub_nc_u32_e32 v45, v45, v49
	s_delay_alu instid0(VALU_DEP_1)
	v_mad_u32 v44, v45, s18, v44
	global_store_b32 v[38:39], v44, off
	s_wait_xcnt 0x0
	v_add_nc_u64_e32 v[38:39], s[8:9], v[18:19]
	v_add_nc_u64_e32 v[18:19], s[14:15], v[18:19]
	global_store_b32 v[38:39], v50, off
	global_store_b32 v[40:41], v47, off
	;; [unrolled: 1-line block ×3, first 2 shown]
	s_cbranch_vccz .LBB68_18
.LBB68_4:                               ; =>This Inner Loop Header: Depth=1
	s_wait_xcnt 0x2
	v_add_nc_u64_e32 v[38:39], s[16:17], v[0:1]
	v_dual_mov_b32 v46, 0 :: v_dual_mov_b32 v44, 0
	s_delay_alu instid0(VALU_DEP_2)
	v_cmp_lt_u64_e32 vcc_lo, v[38:39], v[4:5]
	v_add_nc_u64_e32 v[38:39], s[8:9], v[6:7]
	s_wait_xcnt 0x0
	s_and_saveexec_b32 s19, vcc_lo
	s_cbranch_execz .LBB68_6
; %bb.5:                                ;   in Loop: Header=BB68_4 Depth=1
	v_add_nc_u64_e32 v[40:41], s[8:9], v[8:9]
	global_load_b32 v44, v[38:39], off
	global_load_b32 v46, v[40:41], off
.LBB68_6:                               ;   in Loop: Header=BB68_4 Depth=1
	s_wait_xcnt 0x0
	s_or_b32 exec_lo, exec_lo, s19
	v_dual_mov_b32 v51, 0 :: v_dual_mov_b32 v45, 0
	s_and_saveexec_b32 s19, vcc_lo
	s_cbranch_execz .LBB68_8
; %bb.7:                                ;   in Loop: Header=BB68_4 Depth=1
	v_add_nc_u64_e32 v[40:41], s[8:9], v[10:11]
	global_load_b32 v45, v[40:41], off
.LBB68_8:                               ;   in Loop: Header=BB68_4 Depth=1
	s_wait_xcnt 0x0
	s_or_b32 exec_lo, exec_lo, s19
	v_add_nc_u64_e32 v[40:41], s[16:17], v[12:13]
	v_mov_b32_e32 v50, 0
	s_delay_alu instid0(VALU_DEP_2)
	v_cmp_lt_u64_e32 vcc_lo, v[40:41], v[4:5]
	s_and_saveexec_b32 s19, vcc_lo
	s_cbranch_execz .LBB68_10
; %bb.9:                                ;   in Loop: Header=BB68_4 Depth=1
	v_add_nc_u64_e32 v[40:41], s[8:9], v[32:33]
	v_add_nc_u64_e32 v[42:43], s[8:9], v[34:35]
	global_load_b32 v50, v[40:41], off
	global_load_b32 v51, v[42:43], off
.LBB68_10:                              ;   in Loop: Header=BB68_4 Depth=1
	s_wait_xcnt 0x0
	s_or_b32 exec_lo, exec_lo, s19
	v_dual_mov_b32 v52, 0 :: v_dual_mov_b32 v54, 0
	s_and_saveexec_b32 s19, vcc_lo
	s_cbranch_execz .LBB68_12
; %bb.11:                               ;   in Loop: Header=BB68_4 Depth=1
	v_add_nc_u64_e32 v[40:41], s[8:9], v[36:37]
	global_load_b32 v54, v[40:41], off
.LBB68_12:                              ;   in Loop: Header=BB68_4 Depth=1
	s_wait_xcnt 0x0
	s_or_b32 exec_lo, exec_lo, s19
	v_add_nc_u64_e32 v[40:41], s[16:17], v[16:17]
	v_mov_b32_e32 v47, 0
	s_delay_alu instid0(VALU_DEP_2)
	v_cmp_lt_u64_e32 vcc_lo, v[40:41], v[4:5]
	v_add_nc_u64_e32 v[40:41], s[8:9], v[20:21]
	s_and_saveexec_b32 s19, vcc_lo
	s_cbranch_execz .LBB68_14
; %bb.13:                               ;   in Loop: Header=BB68_4 Depth=1
	v_add_nc_u64_e32 v[42:43], s[8:9], v[22:23]
	global_load_b32 v47, v[40:41], off
	global_load_b32 v52, v[42:43], off
.LBB68_14:                              ;   in Loop: Header=BB68_4 Depth=1
	s_wait_xcnt 0x0
	s_or_b32 exec_lo, exec_lo, s19
	v_dual_mov_b32 v49, 0 :: v_dual_mov_b32 v53, 0
	s_and_saveexec_b32 s19, vcc_lo
	s_cbranch_execz .LBB68_16
; %bb.15:                               ;   in Loop: Header=BB68_4 Depth=1
	v_add_nc_u64_e32 v[42:43], s[8:9], v[24:25]
	global_load_b32 v53, v[42:43], off
.LBB68_16:                              ;   in Loop: Header=BB68_4 Depth=1
	s_wait_xcnt 0x0
	s_or_b32 exec_lo, exec_lo, s19
	v_add_nc_u64_e32 v[42:43], s[16:17], v[14:15]
	v_mov_b32_e32 v48, 0
	s_delay_alu instid0(VALU_DEP_2)
	v_cmp_lt_u64_e32 vcc_lo, v[42:43], v[4:5]
	v_add_nc_u64_e32 v[42:43], s[8:9], v[26:27]
	s_and_saveexec_b32 s19, vcc_lo
	s_cbranch_execz .LBB68_3
; %bb.17:                               ;   in Loop: Header=BB68_4 Depth=1
	v_add_nc_u64_e32 v[56:57], s[8:9], v[28:29]
	global_load_b32 v48, v[42:43], off
	global_load_b32 v49, v[56:57], off
	s_branch .LBB68_3
.LBB68_18:
	s_mov_b32 s12, 0
.LBB68_19:
	s_delay_alu instid0(SALU_CYCLE_1)
	s_and_not1_b32 vcc_lo, exec_lo, s12
	s_cbranch_vccnz .LBB68_23
; %bb.20:
	v_min_i64 v[2:3], 0x10000, s[10:11]
	v_dual_mov_b32 v5, 0 :: v_dual_lshlrev_b32 v4, 2, v0
	s_mov_b32 s10, exec_lo
	s_wait_xcnt 0x0
	s_delay_alu instid0(VALU_DEP_1)
	v_cmpx_lt_i64_e64 v[4:5], v[2:3]
	s_cbranch_execz .LBB68_23
; %bb.21:
	s_load_b32 s0, s[0:1], 0xc5c
	v_dual_mov_b32 v1, v5 :: v_dual_lshlrev_b32 v4, 4, v0
	s_mov_b32 s11, 0
	s_mov_b32 s14, s18
	s_add_nc_u64 s[6:7], s[6:7], 8
	s_delay_alu instid0(VALU_DEP_1)
	v_add_nc_u64_e32 v[4:5], s[8:9], v[4:5]
	s_add_nc_u64 s[8:9], s[2:3], 8
	s_mov_b32 s13, s11
	s_mov_b32 s3, s11
	s_wait_kmcnt 0x0
	s_and_b32 s10, s0, 0xffff
	s_delay_alu instid0(SALU_CYCLE_1)
	s_lshl_b32 s12, s10, 4
.LBB68_22:                              ; =>This Inner Loop Header: Depth=1
	v_add_nc_u64_e32 v[14:15], s[4:5], v[4:5]
	v_add_nc_u64_e32 v[16:17], s[8:9], v[4:5]
	;; [unrolled: 1-line block ×5, first 2 shown]
	global_load_b128 v[6:9], v[14:15], off
	global_load_b128 v[10:13], v[16:17], off offset:-8
	global_load_b128 v[14:17], v[18:19], off offset:-8
	s_wait_loadcnt 0x1
	v_dual_sub_nc_u32 v25, 0, v7 :: v_dual_sub_nc_u32 v27, 0, v12
	v_dual_sub_nc_u32 v22, 0, v6 :: v_dual_bitop2_b32 v20, v10, v6 bitop3:0x14
	v_dual_sub_nc_u32 v21, 0, v10 :: v_dual_bitop2_b32 v23, v11, v7 bitop3:0x14
	;; [unrolled: 1-line block ×3, first 2 shown]
	s_delay_alu instid0(VALU_DEP_3) | instskip(SKIP_1) | instid1(VALU_DEP_3)
	v_dual_sub_nc_u32 v31, 0, v9 :: v_dual_max_i32 v6, v6, v22
	v_max_i32_e32 v7, v7, v25
	v_dual_ashrrev_i32 v22, 31, v26 :: v_dual_max_i32 v11, v11, v24
	v_dual_sub_nc_u32 v28, 0, v8 :: v_dual_bitop2_b32 v29, v13, v9 bitop3:0x14
	s_delay_alu instid0(VALU_DEP_4)
	v_cvt_f32_u32_e32 v24, v6
	v_sub_nc_u32_e32 v25, 0, v6
	v_cvt_f32_u32_e32 v26, v7
	v_max_i32_e32 v12, v12, v27
	v_dual_sub_nc_u32 v27, 0, v7 :: v_dual_max_i32 v8, v8, v28
	v_rcp_iflag_f32_e32 v24, v24
	s_delay_alu instid0(VALU_DEP_3) | instskip(SKIP_1) | instid1(VALU_DEP_2)
	v_rcp_iflag_f32_e32 v26, v26
	v_max_i32_e32 v9, v9, v31
	v_cvt_f32_u32_e32 v28, v8
	v_dual_sub_nc_u32 v30, 0, v13 :: v_dual_ashrrev_i32 v20, 31, v20
	v_dual_ashrrev_i32 v21, 31, v23 :: v_dual_max_i32 v10, v10, v21
	s_delay_alu instid0(TRANS32_DEP_2) | instid1(VALU_DEP_4)
	v_dual_mul_f32 v24, 0x4f7ffffe, v24 :: v_dual_sub_nc_u32 v31, 0, v9
	s_delay_alu instid0(TRANS32_DEP_1) | instskip(SKIP_2) | instid1(VALU_DEP_3)
	v_mul_f32_e32 v26, 0x4f7ffffe, v26
	v_rcp_iflag_f32_e32 v28, v28
	v_max_i32_e32 v13, v13, v30
	v_cvt_u32_f32_e32 v24, v24
	v_cvt_f32_u32_e32 v30, v9
	v_cvt_u32_f32_e32 v26, v26
	v_dual_ashrrev_i32 v23, 31, v29 :: v_dual_sub_nc_u32 v29, 0, v8
	s_delay_alu instid0(VALU_DEP_4) | instskip(NEXT) | instid1(VALU_DEP_4)
	v_mul_lo_u32 v25, v25, v24
	v_rcp_iflag_f32_e32 v30, v30
	s_delay_alu instid0(VALU_DEP_3) | instskip(NEXT) | instid1(VALU_DEP_2)
	v_mul_lo_u32 v27, v27, v26
	v_mul_hi_u32 v25, v24, v25
	s_delay_alu instid0(VALU_DEP_2) | instskip(SKIP_1) | instid1(VALU_DEP_2)
	v_mul_hi_u32 v27, v26, v27
	v_mul_f32_e32 v28, 0x4f7ffffe, v28
	v_dual_add_nc_u32 v24, v24, v25 :: v_dual_add_nc_u32 v25, v26, v27
	s_delay_alu instid0(VALU_DEP_2) | instskip(NEXT) | instid1(VALU_DEP_2)
	v_cvt_u32_f32_e32 v28, v28
	v_mul_hi_u32 v25, v11, v25
	v_mul_f32_e32 v30, 0x4f7ffffe, v30
	s_delay_alu instid0(VALU_DEP_3) | instskip(NEXT) | instid1(VALU_DEP_3)
	v_mul_lo_u32 v29, v29, v28
	v_add_nc_u32_e32 v33, 1, v25
	s_delay_alu instid0(VALU_DEP_3) | instskip(NEXT) | instid1(VALU_DEP_3)
	v_cvt_u32_f32_e32 v30, v30
	v_mul_hi_u32 v29, v28, v29
	s_delay_alu instid0(VALU_DEP_2) | instskip(NEXT) | instid1(VALU_DEP_1)
	v_mul_lo_u32 v31, v31, v30
	v_mul_hi_u32 v31, v30, v31
	s_delay_alu instid0(VALU_DEP_1) | instskip(SKIP_3) | instid1(VALU_DEP_4)
	v_add_nc_u32_e32 v27, v30, v31
	v_mul_hi_u32 v24, v10, v24
	v_add_nc_u32_e32 v26, v28, v29
	v_mul_lo_u32 v29, v25, v7
	v_mul_hi_u32 v27, v13, v27
	s_delay_alu instid0(VALU_DEP_4) | instskip(NEXT) | instid1(VALU_DEP_4)
	v_add_nc_u32_e32 v32, 1, v24
	v_mul_hi_u32 v26, v12, v26
	v_mul_lo_u32 v28, v24, v6
	v_sub_nc_u32_e32 v11, v11, v29
	v_mul_lo_u32 v31, v27, v9
	v_add_nc_u32_e32 v35, 1, v27
	s_delay_alu instid0(VALU_DEP_3)
	v_cmp_ge_u32_e64 s0, v11, v7
	v_sub_nc_u32_e32 v29, v11, v7
	v_mul_lo_u32 v30, v26, v8
	v_dual_sub_nc_u32 v10, v10, v28 :: v_dual_add_nc_u32 v34, 1, v26
	v_sub_nc_u32_e32 v13, v13, v31
	v_cndmask_b32_e64 v25, v25, v33, s0
	v_cndmask_b32_e64 v11, v11, v29, s0
	s_delay_alu instid0(VALU_DEP_4)
	v_cmp_ge_u32_e32 vcc_lo, v10, v6
	v_sub_nc_u32_e32 v28, v10, v6
	v_cmp_ge_u32_e64 s2, v13, v9
	v_add_nc_u32_e32 v29, 1, v25
	v_dual_sub_nc_u32 v31, v13, v9 :: v_dual_sub_nc_u32 v12, v12, v30
	v_cndmask_b32_e32 v24, v24, v32, vcc_lo
	s_delay_alu instid0(VALU_DEP_4) | instskip(NEXT) | instid1(VALU_DEP_3)
	v_dual_cndmask_b32 v10, v10, v28, vcc_lo :: v_dual_cndmask_b32 v27, v27, v35, s2
	v_cndmask_b32_e64 v13, v13, v31, s2
	s_delay_alu instid0(VALU_DEP_4) | instskip(SKIP_3) | instid1(VALU_DEP_4)
	v_cmp_ge_u32_e64 s1, v12, v8
	v_sub_nc_u32_e32 v30, v12, v8
	v_add_nc_u32_e32 v28, 1, v24
	v_cmp_ge_u32_e32 vcc_lo, v10, v6
	v_dual_add_nc_u32 v31, 1, v27 :: v_dual_cndmask_b32 v26, v26, v34, s1
	s_delay_alu instid0(VALU_DEP_4) | instskip(NEXT) | instid1(VALU_DEP_4)
	v_cndmask_b32_e64 v12, v12, v30, s1
	v_cndmask_b32_e32 v6, v24, v28, vcc_lo
	v_cmp_ge_u32_e32 vcc_lo, v11, v7
	s_delay_alu instid0(VALU_DEP_4) | instskip(SKIP_4) | instid1(VALU_DEP_3)
	v_add_nc_u32_e32 v30, 1, v26
	v_lshlrev_b64_e32 v[10:11], 2, v[0:1]
	v_cndmask_b32_e32 v7, v25, v29, vcc_lo
	v_cmp_ge_u32_e32 vcc_lo, v12, v8
	v_xor_b32_e32 v6, v6, v20
	v_dual_cndmask_b32 v8, v26, v30, vcc_lo :: v_dual_bitop2_b32 v7, v7, v21 bitop3:0x14
	v_cmp_ge_u32_e32 vcc_lo, v13, v9
	s_delay_alu instid0(VALU_DEP_2) | instskip(NEXT) | instid1(VALU_DEP_3)
	v_dual_sub_nc_u32 v6, v6, v20 :: v_dual_sub_nc_u32 v7, v7, v21
	v_dual_cndmask_b32 v9, v27, v31, vcc_lo :: v_dual_bitop2_b32 v8, v8, v22 bitop3:0x14
	s_wait_loadcnt 0x0
	s_delay_alu instid0(VALU_DEP_2) | instskip(NEXT) | instid1(VALU_DEP_3)
	v_mad_u32 v6, v6, s18, v14
	v_mad_u32 v7, v7, s14, v15
	v_cmp_ge_i64_e32 vcc_lo, v[10:11], v[2:3]
	v_dual_sub_nc_u32 v8, v8, v22 :: v_dual_bitop2_b32 v9, v9, v23 bitop3:0x14
	s_delay_alu instid0(VALU_DEP_1) | instskip(NEXT) | instid1(VALU_DEP_2)
	v_sub_nc_u32_e32 v9, v9, v23
	v_mad_u32 v8, v8, s18, v16
	s_or_b32 s3, vcc_lo, s3
	s_delay_alu instid0(VALU_DEP_2)
	v_mad_u32 v9, v9, s14, v17
	global_store_b128 v[18:19], v[6:9], off offset:-8
	s_wait_xcnt 0x0
	s_and_not1_b32 exec_lo, exec_lo, s3
	s_cbranch_execnz .LBB68_22
.LBB68_23:
	s_endpgm
	.section	.rodata,"a",@progbits
	.p2align	6, 0x0
	.amdhsa_kernel _ZN2at6native12_GLOBAL__N_125multi_tensor_apply_kernelINS1_18TensorListMetadataILi3EEENS1_24PointwiseOpScalarFunctorIiLi3ELi3ELi0EEEJSt7dividesIiEiEEEvT_T0_DpT1_
		.amdhsa_group_segment_fixed_size 0
		.amdhsa_private_segment_fixed_size 0
		.amdhsa_kernarg_size 3408
		.amdhsa_user_sgpr_count 2
		.amdhsa_user_sgpr_dispatch_ptr 0
		.amdhsa_user_sgpr_queue_ptr 0
		.amdhsa_user_sgpr_kernarg_segment_ptr 1
		.amdhsa_user_sgpr_dispatch_id 0
		.amdhsa_user_sgpr_kernarg_preload_length 0
		.amdhsa_user_sgpr_kernarg_preload_offset 0
		.amdhsa_user_sgpr_private_segment_size 0
		.amdhsa_wavefront_size32 1
		.amdhsa_uses_dynamic_stack 0
		.amdhsa_enable_private_segment 0
		.amdhsa_system_sgpr_workgroup_id_x 1
		.amdhsa_system_sgpr_workgroup_id_y 0
		.amdhsa_system_sgpr_workgroup_id_z 0
		.amdhsa_system_sgpr_workgroup_info 0
		.amdhsa_system_vgpr_workitem_id 0
		.amdhsa_next_free_vgpr 59
		.amdhsa_next_free_sgpr 24
		.amdhsa_named_barrier_count 0
		.amdhsa_reserve_vcc 1
		.amdhsa_float_round_mode_32 0
		.amdhsa_float_round_mode_16_64 0
		.amdhsa_float_denorm_mode_32 3
		.amdhsa_float_denorm_mode_16_64 3
		.amdhsa_fp16_overflow 0
		.amdhsa_memory_ordered 1
		.amdhsa_forward_progress 1
		.amdhsa_inst_pref_size 22
		.amdhsa_round_robin_scheduling 0
		.amdhsa_exception_fp_ieee_invalid_op 0
		.amdhsa_exception_fp_denorm_src 0
		.amdhsa_exception_fp_ieee_div_zero 0
		.amdhsa_exception_fp_ieee_overflow 0
		.amdhsa_exception_fp_ieee_underflow 0
		.amdhsa_exception_fp_ieee_inexact 0
		.amdhsa_exception_int_div_zero 0
	.end_amdhsa_kernel
	.section	.text._ZN2at6native12_GLOBAL__N_125multi_tensor_apply_kernelINS1_18TensorListMetadataILi3EEENS1_24PointwiseOpScalarFunctorIiLi3ELi3ELi0EEEJSt7dividesIiEiEEEvT_T0_DpT1_,"axG",@progbits,_ZN2at6native12_GLOBAL__N_125multi_tensor_apply_kernelINS1_18TensorListMetadataILi3EEENS1_24PointwiseOpScalarFunctorIiLi3ELi3ELi0EEEJSt7dividesIiEiEEEvT_T0_DpT1_,comdat
.Lfunc_end68:
	.size	_ZN2at6native12_GLOBAL__N_125multi_tensor_apply_kernelINS1_18TensorListMetadataILi3EEENS1_24PointwiseOpScalarFunctorIiLi3ELi3ELi0EEEJSt7dividesIiEiEEEvT_T0_DpT1_, .Lfunc_end68-_ZN2at6native12_GLOBAL__N_125multi_tensor_apply_kernelINS1_18TensorListMetadataILi3EEENS1_24PointwiseOpScalarFunctorIiLi3ELi3ELi0EEEJSt7dividesIiEiEEEvT_T0_DpT1_
                                        ; -- End function
	.set _ZN2at6native12_GLOBAL__N_125multi_tensor_apply_kernelINS1_18TensorListMetadataILi3EEENS1_24PointwiseOpScalarFunctorIiLi3ELi3ELi0EEEJSt7dividesIiEiEEEvT_T0_DpT1_.num_vgpr, 59
	.set _ZN2at6native12_GLOBAL__N_125multi_tensor_apply_kernelINS1_18TensorListMetadataILi3EEENS1_24PointwiseOpScalarFunctorIiLi3ELi3ELi0EEEJSt7dividesIiEiEEEvT_T0_DpT1_.num_agpr, 0
	.set _ZN2at6native12_GLOBAL__N_125multi_tensor_apply_kernelINS1_18TensorListMetadataILi3EEENS1_24PointwiseOpScalarFunctorIiLi3ELi3ELi0EEEJSt7dividesIiEiEEEvT_T0_DpT1_.numbered_sgpr, 24
	.set _ZN2at6native12_GLOBAL__N_125multi_tensor_apply_kernelINS1_18TensorListMetadataILi3EEENS1_24PointwiseOpScalarFunctorIiLi3ELi3ELi0EEEJSt7dividesIiEiEEEvT_T0_DpT1_.num_named_barrier, 0
	.set _ZN2at6native12_GLOBAL__N_125multi_tensor_apply_kernelINS1_18TensorListMetadataILi3EEENS1_24PointwiseOpScalarFunctorIiLi3ELi3ELi0EEEJSt7dividesIiEiEEEvT_T0_DpT1_.private_seg_size, 0
	.set _ZN2at6native12_GLOBAL__N_125multi_tensor_apply_kernelINS1_18TensorListMetadataILi3EEENS1_24PointwiseOpScalarFunctorIiLi3ELi3ELi0EEEJSt7dividesIiEiEEEvT_T0_DpT1_.uses_vcc, 1
	.set _ZN2at6native12_GLOBAL__N_125multi_tensor_apply_kernelINS1_18TensorListMetadataILi3EEENS1_24PointwiseOpScalarFunctorIiLi3ELi3ELi0EEEJSt7dividesIiEiEEEvT_T0_DpT1_.uses_flat_scratch, 0
	.set _ZN2at6native12_GLOBAL__N_125multi_tensor_apply_kernelINS1_18TensorListMetadataILi3EEENS1_24PointwiseOpScalarFunctorIiLi3ELi3ELi0EEEJSt7dividesIiEiEEEvT_T0_DpT1_.has_dyn_sized_stack, 0
	.set _ZN2at6native12_GLOBAL__N_125multi_tensor_apply_kernelINS1_18TensorListMetadataILi3EEENS1_24PointwiseOpScalarFunctorIiLi3ELi3ELi0EEEJSt7dividesIiEiEEEvT_T0_DpT1_.has_recursion, 0
	.set _ZN2at6native12_GLOBAL__N_125multi_tensor_apply_kernelINS1_18TensorListMetadataILi3EEENS1_24PointwiseOpScalarFunctorIiLi3ELi3ELi0EEEJSt7dividesIiEiEEEvT_T0_DpT1_.has_indirect_call, 0
	.section	.AMDGPU.csdata,"",@progbits
; Kernel info:
; codeLenInByte = 2760
; TotalNumSgprs: 26
; NumVgprs: 59
; ScratchSize: 0
; MemoryBound: 0
; FloatMode: 240
; IeeeMode: 1
; LDSByteSize: 0 bytes/workgroup (compile time only)
; SGPRBlocks: 0
; VGPRBlocks: 3
; NumSGPRsForWavesPerEU: 26
; NumVGPRsForWavesPerEU: 59
; NamedBarCnt: 0
; Occupancy: 16
; WaveLimiterHint : 0
; COMPUTE_PGM_RSRC2:SCRATCH_EN: 0
; COMPUTE_PGM_RSRC2:USER_SGPR: 2
; COMPUTE_PGM_RSRC2:TRAP_HANDLER: 0
; COMPUTE_PGM_RSRC2:TGID_X_EN: 1
; COMPUTE_PGM_RSRC2:TGID_Y_EN: 0
; COMPUTE_PGM_RSRC2:TGID_Z_EN: 0
; COMPUTE_PGM_RSRC2:TIDIG_COMP_CNT: 0
	.section	.text._ZN2at6native12_GLOBAL__N_125multi_tensor_apply_kernelINS1_18TensorListMetadataILi3EEENS1_24PointwiseOpScalarFunctorIlLi3ELi3ELi0EEEJSt7dividesIlElEEEvT_T0_DpT1_,"axG",@progbits,_ZN2at6native12_GLOBAL__N_125multi_tensor_apply_kernelINS1_18TensorListMetadataILi3EEENS1_24PointwiseOpScalarFunctorIlLi3ELi3ELi0EEEJSt7dividesIlElEEEvT_T0_DpT1_,comdat
	.globl	_ZN2at6native12_GLOBAL__N_125multi_tensor_apply_kernelINS1_18TensorListMetadataILi3EEENS1_24PointwiseOpScalarFunctorIlLi3ELi3ELi0EEEJSt7dividesIlElEEEvT_T0_DpT1_ ; -- Begin function _ZN2at6native12_GLOBAL__N_125multi_tensor_apply_kernelINS1_18TensorListMetadataILi3EEENS1_24PointwiseOpScalarFunctorIlLi3ELi3ELi0EEEJSt7dividesIlElEEEvT_T0_DpT1_
	.p2align	8
	.type	_ZN2at6native12_GLOBAL__N_125multi_tensor_apply_kernelINS1_18TensorListMetadataILi3EEENS1_24PointwiseOpScalarFunctorIlLi3ELi3ELi0EEEJSt7dividesIlElEEEvT_T0_DpT1_,@function
_ZN2at6native12_GLOBAL__N_125multi_tensor_apply_kernelINS1_18TensorListMetadataILi3EEENS1_24PointwiseOpScalarFunctorIlLi3ELi3ELi0EEEJSt7dividesIlElEEEvT_T0_DpT1_: ; @_ZN2at6native12_GLOBAL__N_125multi_tensor_apply_kernelINS1_18TensorListMetadataILi3EEENS1_24PointwiseOpScalarFunctorIlLi3ELi3ELi0EEEJSt7dividesIlElEEEvT_T0_DpT1_
; %bb.0:
	s_bfe_u32 s2, ttmp6, 0x4000c
	s_and_b32 s3, ttmp6, 15
	s_add_co_i32 s2, s2, 1
	s_getreg_b32 s4, hwreg(HW_REG_IB_STS2, 6, 4)
	s_mul_i32 s2, ttmp9, s2
	s_mov_b32 s15, 0
	s_add_co_i32 s3, s3, s2
	s_cmp_eq_u32 s4, 0
	s_load_b64 s[8:9], s[0:1], 0xc50
	s_cselect_b32 s14, ttmp9, s3
	s_delay_alu instid0(SALU_CYCLE_1) | instskip(SKIP_1) | instid1(SALU_CYCLE_1)
	s_add_nc_u64 s[2:3], s[0:1], s[14:15]
	s_mul_u64 s[4:5], s[14:15], 3
	s_add_nc_u64 s[2:3], s[2:3], s[4:5]
	s_clause 0x1
	s_load_b32 s20, s[2:3], 0x740
	s_load_u8 s4, s[0:1], s14 offset:0x600
	s_wait_kmcnt 0x0
	s_clause 0x3
	s_load_b64 s[2:3], s[0:1], s4 offset:0x180 scale_offset
	s_load_b64 s[16:17], s[0:1], s4 offset:0x300 scale_offset
	;; [unrolled: 1-line block ×4, first 2 shown]
	s_ashr_i32 s21, s20, 31
	s_delay_alu instid0(SALU_CYCLE_1)
	s_lshl_b64 s[12:13], s[20:21], 19
	s_wait_kmcnt 0x0
	s_add_nc_u64 s[4:5], s[2:3], s[12:13]
	s_add_nc_u64 s[6:7], s[16:17], s[12:13]
	;; [unrolled: 1-line block ×3, first 2 shown]
	s_or_b32 s14, s6, s4
	s_and_b64 s[24:25], s[10:11], 31
	s_and_b32 s14, s14, 31
	s_delay_alu instid0(SALU_CYCLE_1) | instskip(SKIP_4) | instid1(SALU_CYCLE_1)
	s_cmp_eq_u32 s14, 0
	s_cselect_b32 s26, -1, 0
	s_and_b32 s14, s22, 3
	s_lshl_b64 s[20:21], s[20:21], 16
	s_or_b64 s[14:15], s[24:25], s[14:15]
	s_cmp_eq_u64 s[14:15], 0
	s_cselect_b32 s14, -1, 0
	s_delay_alu instid0(SALU_CYCLE_1)
	s_and_b32 s24, s26, s14
	s_sub_nc_u64 s[14:15], s[22:23], s[20:21]
	s_and_b32 vcc_lo, exec_lo, s24
	s_mov_b32 s20, -1
	s_cbranch_vccnz .LBB69_35
; %bb.1:
	v_cmp_lt_i64_e64 s20, s[14:15], 1
	s_and_b32 vcc_lo, exec_lo, s20
	s_cbranch_vccnz .LBB69_34
; %bb.2:
	s_load_b32 s20, s[0:1], 0xc64
	v_min_i64 v[2:3], 0x10000, s[14:15]
	v_min_u64 v[6:7], 0x10000, s[14:15]
	v_dual_mov_b32 v4, 0 :: v_dual_lshlrev_b32 v18, 3, v0
	s_mov_b32 s21, 0
	s_delay_alu instid0(SALU_CYCLE_1) | instskip(NEXT) | instid1(VALU_DEP_1)
	s_mov_b32 s27, s21
	v_dual_mov_b32 v19, v4 :: v_dual_mov_b32 v1, v4
	s_mov_b32 s29, s21
	s_mov_b32 s23, s21
	;; [unrolled: 1-line block ×3, first 2 shown]
	s_delay_alu instid0(VALU_DEP_1) | instskip(SKIP_4) | instid1(SALU_CYCLE_1)
	v_add_nc_u64_e32 v[8:9], s[18:19], v[18:19]
	v_add_nc_u64_e32 v[10:11], s[2:3], v[18:19]
	;; [unrolled: 1-line block ×3, first 2 shown]
	s_wait_kmcnt 0x0
	s_and_b32 s20, s20, 0xffff
	v_add_nc_u64_e32 v[14:15], s[20:21], v[0:1]
	v_mad_nc_u64_u32 v[30:31], s20, 24, v[18:19]
	s_lshl_b32 s26, s20, 4
	v_mov_b32_e32 v39, v4
	v_add_nc_u64_e32 v[24:25], s[26:27], v[18:19]
	s_lshl_b32 s28, s20, 3
	s_lshl_b32 s22, s20, 1
	v_lshlrev_b32_e32 v38, 3, v14
	s_mul_i32 s24, s20, 3
	s_add_nc_u64 s[26:27], s[18:19], s[28:29]
	v_add_nc_u64_e32 v[16:17], s[24:25], v[0:1]
	v_add_nc_u64_e32 v[18:19], s[26:27], v[18:19]
	;; [unrolled: 1-line block ×12, first 2 shown]
	s_lshl_b32 s16, s20, 2
	s_mov_b32 s17, s21
	s_lshl_b32 s18, s20, 5
	s_mov_b32 s19, s21
	s_mov_b64 s[20:21], 0
	s_branch .LBB69_4
.LBB69_3:                               ;   in Loop: Header=BB69_4 Depth=1
	s_or_b32 exec_lo, exec_lo, s2
	s_delay_alu instid0(VALU_DEP_1)
	v_mad_nc_u64_u32 v[42:43], v60, s8, v[42:43]
	v_mad_nc_u64_u32 v[46:47], v58, s8, v[46:47]
	;; [unrolled: 1-line block ×4, first 2 shown]
	s_add_nc_u64 s[20:21], s[20:21], s[16:17]
	v_add_nc_u64_e32 v[54:55], s[12:13], v[18:19]
	v_cmp_lt_i64_e32 vcc_lo, s[20:21], v[2:3]
	v_add_nc_u64_e32 v[8:9], s[18:19], v[8:9]
	v_add_nc_u64_e32 v[10:11], s[18:19], v[10:11]
	;; [unrolled: 1-line block ×4, first 2 shown]
	v_mad_u32 v5, v61, s8, v43
	v_mad_u32 v47, v59, s8, v47
	;; [unrolled: 1-line block ×4, first 2 shown]
	v_add_nc_u64_e32 v[20:21], s[18:19], v[20:21]
	v_add_nc_u64_e32 v[18:19], s[18:19], v[18:19]
	;; [unrolled: 1-line block ×7, first 2 shown]
	v_mad_u32 v43, v60, s9, v5
	v_mad_u32 v47, v58, s9, v47
	;; [unrolled: 1-line block ×4, first 2 shown]
	v_add_nc_u64_e32 v[36:37], s[18:19], v[36:37]
	v_add_nc_u64_e32 v[38:39], s[18:19], v[38:39]
	s_and_b32 vcc_lo, exec_lo, vcc_lo
	global_store_b64 v[40:41], v[42:43], off
	global_store_b64 v[54:55], v[46:47], off
	;; [unrolled: 1-line block ×4, first 2 shown]
	s_cbranch_vccz .LBB69_34
.LBB69_4:                               ; =>This Inner Loop Header: Depth=1
	s_wait_xcnt 0x3
	v_add_nc_u64_e32 v[42:43], s[20:21], v[0:1]
	v_mov_b64_e32 v[56:57], 0
	v_add_nc_u64_e32 v[40:41], s[12:13], v[8:9]
	s_wait_xcnt 0x2
	v_mov_b64_e32 v[54:55], 0
	s_delay_alu instid0(VALU_DEP_4)
	v_cmp_lt_u64_e32 vcc_lo, v[42:43], v[6:7]
	v_mov_b64_e32 v[42:43], 0
	s_wait_xcnt 0x0
	s_and_saveexec_b32 s2, vcc_lo
	s_cbranch_execz .LBB69_6
; %bb.5:                                ;   in Loop: Header=BB69_4 Depth=1
	v_add_nc_u64_e32 v[44:45], s[12:13], v[10:11]
	global_load_b64 v[42:43], v[40:41], off
	global_load_b64 v[54:55], v[44:45], off
.LBB69_6:                               ;   in Loop: Header=BB69_4 Depth=1
	s_wait_xcnt 0x0
	s_or_b32 exec_lo, exec_lo, s2
	s_and_saveexec_b32 s2, vcc_lo
	s_cbranch_execz .LBB69_8
; %bb.7:                                ;   in Loop: Header=BB69_4 Depth=1
	v_add_nc_u64_e32 v[44:45], s[12:13], v[12:13]
	global_load_b64 v[56:57], v[44:45], off
.LBB69_8:                               ;   in Loop: Header=BB69_4 Depth=1
	s_wait_xcnt 0x0
	s_or_b32 exec_lo, exec_lo, s2
	v_add_nc_u64_e32 v[44:45], s[20:21], v[14:15]
	v_mov_b64_e32 v[70:71], 0
	v_mov_b64_e32 v[62:63], 0
	;; [unrolled: 1-line block ×3, first 2 shown]
	s_delay_alu instid0(VALU_DEP_4)
	v_cmp_lt_u64_e32 vcc_lo, v[44:45], v[6:7]
	s_and_saveexec_b32 s2, vcc_lo
	s_cbranch_execz .LBB69_10
; %bb.9:                                ;   in Loop: Header=BB69_4 Depth=1
	v_add_nc_u64_e32 v[44:45], s[12:13], v[34:35]
	v_add_nc_u64_e32 v[48:49], s[12:13], v[36:37]
	global_load_b64 v[46:47], v[44:45], off
	global_load_b64 v[62:63], v[48:49], off
.LBB69_10:                              ;   in Loop: Header=BB69_4 Depth=1
	s_wait_xcnt 0x0
	s_or_b32 exec_lo, exec_lo, s2
	s_and_saveexec_b32 s2, vcc_lo
	s_cbranch_execz .LBB69_12
; %bb.11:                               ;   in Loop: Header=BB69_4 Depth=1
	v_add_nc_u64_e32 v[44:45], s[12:13], v[38:39]
	global_load_b64 v[70:71], v[44:45], off
.LBB69_12:                              ;   in Loop: Header=BB69_4 Depth=1
	s_wait_xcnt 0x0
	s_or_b32 exec_lo, exec_lo, s2
	v_add_nc_u64_e32 v[48:49], s[20:21], v[32:33]
	v_mov_b64_e32 v[68:69], 0
	v_add_nc_u64_e32 v[44:45], s[12:13], v[20:21]
	v_mov_b64_e32 v[66:67], 0
	v_mov_b64_e32 v[50:51], 0
	v_cmp_lt_u64_e32 vcc_lo, v[48:49], v[6:7]
	s_and_saveexec_b32 s2, vcc_lo
	s_cbranch_execz .LBB69_14
; %bb.13:                               ;   in Loop: Header=BB69_4 Depth=1
	v_add_nc_u64_e32 v[48:49], s[12:13], v[22:23]
	global_load_b64 v[50:51], v[44:45], off
	global_load_b64 v[66:67], v[48:49], off
.LBB69_14:                              ;   in Loop: Header=BB69_4 Depth=1
	s_wait_xcnt 0x0
	s_or_b32 exec_lo, exec_lo, s2
	s_and_saveexec_b32 s2, vcc_lo
	s_cbranch_execz .LBB69_16
; %bb.15:                               ;   in Loop: Header=BB69_4 Depth=1
	v_add_nc_u64_e32 v[48:49], s[12:13], v[24:25]
	global_load_b64 v[68:69], v[48:49], off
.LBB69_16:                              ;   in Loop: Header=BB69_4 Depth=1
	s_wait_xcnt 0x0
	s_or_b32 exec_lo, exec_lo, s2
	v_add_nc_u64_e32 v[52:53], s[20:21], v[16:17]
	v_mov_b64_e32 v[60:61], 0
	v_add_nc_u64_e32 v[48:49], s[12:13], v[26:27]
	s_delay_alu instid0(VALU_DEP_3)
	v_cmp_lt_u64_e32 vcc_lo, v[52:53], v[6:7]
	v_mov_b64_e32 v[52:53], 0
	s_and_saveexec_b32 s2, vcc_lo
	s_cbranch_execz .LBB69_18
; %bb.17:                               ;   in Loop: Header=BB69_4 Depth=1
	v_add_nc_u64_e32 v[58:59], s[12:13], v[28:29]
	global_load_b64 v[52:53], v[48:49], off
	global_load_b64 v[60:61], v[58:59], off
.LBB69_18:                              ;   in Loop: Header=BB69_4 Depth=1
	s_wait_xcnt 0x0
	s_or_b32 exec_lo, exec_lo, s2
	v_add_nc_u64_e32 v[58:59], s[12:13], v[30:31]
	s_wait_loadcnt 0x0
	v_or_b32_e32 v5, v63, v71
	s_mov_b32 s2, exec_lo
	global_load_b64 v[64:65], v[58:59], off
                                        ; implicit-def: $vgpr58_vgpr59
	s_wait_xcnt 0x0
	v_cmpx_ne_u64_e32 0, v[4:5]
	s_xor_b32 s3, exec_lo, s2
	s_cbranch_execz .LBB69_20
; %bb.19:                               ;   in Loop: Header=BB69_4 Depth=1
	v_dual_mov_b32 v73, v4 :: v_dual_ashrrev_i32 v58, 31, v71
	v_dual_mov_b32 v81, v4 :: v_dual_mov_b32 v83, v4
	s_delay_alu instid0(VALU_DEP_2) | instskip(NEXT) | instid1(VALU_DEP_1)
	v_mov_b32_e32 v59, v58
	v_add_nc_u64_e32 v[70:71], v[70:71], v[58:59]
	s_delay_alu instid0(VALU_DEP_1) | instskip(NEXT) | instid1(VALU_DEP_2)
	v_xor_b32_e32 v70, v70, v58
	v_xor_b32_e32 v71, v71, v58
	s_delay_alu instid0(VALU_DEP_2) | instskip(NEXT) | instid1(VALU_DEP_2)
	v_cvt_f32_u32_e32 v5, v70
	v_cvt_f32_u32_e32 v59, v71
	s_delay_alu instid0(VALU_DEP_1) | instskip(NEXT) | instid1(VALU_DEP_1)
	v_fmac_f32_e32 v5, 0x4f800000, v59
	v_rcp_f32_e32 v5, v5
	v_nop
	s_delay_alu instid0(TRANS32_DEP_1) | instskip(NEXT) | instid1(VALU_DEP_1)
	v_mul_f32_e32 v5, 0x5f7ffffc, v5
	v_mul_f32_e32 v59, 0x2f800000, v5
	s_delay_alu instid0(VALU_DEP_1) | instskip(NEXT) | instid1(VALU_DEP_1)
	v_trunc_f32_e32 v59, v59
	v_fmac_f32_e32 v5, 0xcf800000, v59
	v_cvt_u32_f32_e32 v77, v59
	s_delay_alu instid0(VALU_DEP_2) | instskip(NEXT) | instid1(VALU_DEP_1)
	v_cvt_u32_f32_e32 v72, v5
	v_dual_mov_b32 v82, v77 :: v_dual_mov_b32 v76, v72
	v_sub_nc_u64_e32 v[74:75], 0, v[70:71]
	s_delay_alu instid0(VALU_DEP_1) | instskip(NEXT) | instid1(VALU_DEP_1)
	v_mul_u64_e32 v[78:79], v[74:75], v[76:77]
	v_dual_mov_b32 v80, v79 :: v_dual_mov_b32 v79, v4
	s_delay_alu instid0(VALU_DEP_1) | instskip(NEXT) | instid1(VALU_DEP_2)
	v_mul_u64_e32 v[84:85], v[72:73], v[80:81]
	v_mul_u64_e32 v[86:87], v[82:83], v[78:79]
	;; [unrolled: 1-line block ×3, first 2 shown]
	v_mul_hi_u32 v78, v72, v78
	s_delay_alu instid0(VALU_DEP_1) | instskip(SKIP_1) | instid1(VALU_DEP_2)
	v_add_nc_u64_e32 v[78:79], v[78:79], v[84:85]
	v_ashrrev_i32_e32 v84, 31, v63
	v_add_co_u32 v5, vcc_lo, v78, v86
	s_delay_alu instid0(VALU_DEP_3) | instskip(SKIP_1) | instid1(VALU_DEP_1)
	v_add_co_ci_u32_e32 v82, vcc_lo, v79, v87, vcc_lo
	v_add_co_ci_u32_e32 v81, vcc_lo, 0, v81, vcc_lo
	v_add_nc_u64_e32 v[78:79], v[82:83], v[80:81]
	s_delay_alu instid0(VALU_DEP_1) | instskip(NEXT) | instid1(VALU_DEP_1)
	v_add_co_u32 v72, vcc_lo, v72, v78
	v_add_co_ci_u32_e64 v76, null, v77, v79, vcc_lo
	v_dual_mov_b32 v79, v4 :: v_dual_mov_b32 v77, v4
	s_delay_alu instid0(VALU_DEP_2) | instskip(NEXT) | instid1(VALU_DEP_1)
	v_mov_b32_e32 v73, v76
	v_mul_u64_e32 v[74:75], v[74:75], v[72:73]
	s_delay_alu instid0(VALU_DEP_1) | instskip(NEXT) | instid1(VALU_DEP_2)
	v_dual_mov_b32 v73, v4 :: v_dual_mov_b32 v78, v75
	v_dual_mov_b32 v82, v74 :: v_dual_mov_b32 v75, v4
	v_mul_hi_u32 v74, v72, v74
	s_delay_alu instid0(VALU_DEP_3) | instskip(NEXT) | instid1(VALU_DEP_3)
	v_mul_u64_e32 v[80:81], v[72:73], v[78:79]
	v_mul_u64_e32 v[82:83], v[76:77], v[82:83]
	;; [unrolled: 1-line block ×3, first 2 shown]
	s_delay_alu instid0(VALU_DEP_3) | instskip(SKIP_2) | instid1(VALU_DEP_3)
	v_add_nc_u64_e32 v[74:75], v[74:75], v[80:81]
	v_dual_mov_b32 v81, v4 :: v_dual_mov_b32 v85, v84
	v_xor_b32_e32 v58, v84, v58
	v_add_co_u32 v5, vcc_lo, v74, v82
	s_delay_alu instid0(VALU_DEP_4) | instskip(SKIP_1) | instid1(VALU_DEP_1)
	v_add_co_ci_u32_e32 v80, vcc_lo, v75, v83, vcc_lo
	v_add_co_ci_u32_e32 v79, vcc_lo, 0, v79, vcc_lo
	v_add_nc_u64_e32 v[74:75], v[80:81], v[78:79]
	v_mov_b32_e32 v79, v4
	v_add_nc_u64_e32 v[62:63], v[62:63], v[84:85]
	s_delay_alu instid0(VALU_DEP_3) | instskip(NEXT) | instid1(VALU_DEP_2)
	v_add_co_u32 v74, vcc_lo, v72, v74
	v_xor_b32_e32 v78, v62, v84
	v_add_co_ci_u32_e64 v72, null, v76, v75, vcc_lo
	s_delay_alu instid0(VALU_DEP_4) | instskip(NEXT) | instid1(VALU_DEP_2)
	v_dual_mov_b32 v75, v4 :: v_dual_bitop2_b32 v76, v63, v84 bitop3:0x14
	v_mul_u64_e32 v[80:81], v[78:79], v[72:73]
	s_delay_alu instid0(VALU_DEP_2) | instskip(SKIP_1) | instid1(VALU_DEP_1)
	v_mul_u64_e32 v[62:63], v[76:77], v[74:75]
	v_mul_hi_u32 v74, v78, v74
	v_add_nc_u64_e32 v[74:75], v[74:75], v[80:81]
	v_mov_b32_e32 v81, v4
	v_mul_u64_e32 v[72:73], v[76:77], v[72:73]
	s_delay_alu instid0(VALU_DEP_3) | instskip(NEXT) | instid1(VALU_DEP_4)
	v_add_co_u32 v5, vcc_lo, v74, v62
	v_add_co_ci_u32_e32 v80, vcc_lo, v75, v63, vcc_lo
	s_delay_alu instid0(VALU_DEP_3) | instskip(NEXT) | instid1(VALU_DEP_1)
	v_add_co_ci_u32_e32 v73, vcc_lo, 0, v73, vcc_lo
	v_add_nc_u64_e32 v[62:63], v[80:81], v[72:73]
	s_delay_alu instid0(VALU_DEP_1) | instskip(SKIP_1) | instid1(VALU_DEP_2)
	v_mul_u64_e32 v[72:73], v[70:71], v[62:63]
	v_add_nc_u64_e32 v[74:75], 1, v[62:63]
	v_sub_nc_u32_e32 v5, v76, v73
	s_delay_alu instid0(VALU_DEP_3) | instskip(NEXT) | instid1(VALU_DEP_1)
	v_sub_co_u32 v59, vcc_lo, v78, v72
	v_sub_co_ci_u32_e64 v76, null, v76, v73, vcc_lo
	s_delay_alu instid0(VALU_DEP_3) | instskip(NEXT) | instid1(VALU_DEP_3)
	v_sub_co_ci_u32_e64 v5, null, v5, v71, vcc_lo
	v_sub_co_u32 v72, s2, v59, v70
	s_delay_alu instid0(VALU_DEP_1) | instskip(NEXT) | instid1(VALU_DEP_2)
	v_subrev_co_ci_u32_e64 v5, null, 0, v5, s2
	v_cmp_ge_u32_e32 vcc_lo, v72, v70
	v_cndmask_b32_e64 v72, 0, -1, vcc_lo
	s_delay_alu instid0(VALU_DEP_3)
	v_cmp_ge_u32_e32 vcc_lo, v5, v71
	v_cndmask_b32_e64 v73, 0, -1, vcc_lo
	v_cmp_ge_u32_e32 vcc_lo, v59, v70
	v_cndmask_b32_e64 v59, 0, -1, vcc_lo
	;; [unrolled: 2-line block ×3, first 2 shown]
	v_cmp_eq_u32_e32 vcc_lo, v5, v71
	v_cndmask_b32_e32 v5, v73, v72, vcc_lo
	v_cmp_eq_u32_e32 vcc_lo, v76, v71
	v_add_nc_u64_e32 v[72:73], 2, v[62:63]
	v_cndmask_b32_e32 v59, v70, v59, vcc_lo
	s_delay_alu instid0(VALU_DEP_4) | instskip(NEXT) | instid1(VALU_DEP_2)
	v_cmp_ne_u32_e32 vcc_lo, 0, v5
                                        ; implicit-def: $vgpr70_vgpr71
	v_cmp_ne_u32_e64 s2, 0, v59
	s_delay_alu instid0(VALU_DEP_4) | instskip(NEXT) | instid1(VALU_DEP_1)
	v_dual_cndmask_b32 v5, v75, v73, vcc_lo :: v_dual_cndmask_b32 v59, v74, v72, vcc_lo
	v_dual_cndmask_b32 v5, v63, v5, s2 :: v_dual_cndmask_b32 v62, v62, v59, s2
	s_delay_alu instid0(VALU_DEP_1) | instskip(NEXT) | instid1(VALU_DEP_2)
	v_dual_mov_b32 v59, v58 :: v_dual_bitop2_b32 v63, v5, v58 bitop3:0x14
	v_xor_b32_e32 v62, v62, v58
	s_delay_alu instid0(VALU_DEP_1)
	v_sub_nc_u64_e32 v[58:59], v[62:63], v[58:59]
                                        ; implicit-def: $vgpr62_vgpr63
.LBB69_20:                              ;   in Loop: Header=BB69_4 Depth=1
	s_and_not1_saveexec_b32 s2, s3
	s_cbranch_execz .LBB69_22
; %bb.21:                               ;   in Loop: Header=BB69_4 Depth=1
	v_cvt_f32_u32_e32 v5, v70
	v_sub_nc_u32_e32 v58, 0, v70
	s_delay_alu instid0(VALU_DEP_2) | instskip(SKIP_1) | instid1(TRANS32_DEP_1)
	v_rcp_iflag_f32_e32 v5, v5
	v_nop
	v_mul_f32_e32 v5, 0x4f7ffffe, v5
	s_delay_alu instid0(VALU_DEP_1) | instskip(NEXT) | instid1(VALU_DEP_1)
	v_cvt_u32_f32_e32 v5, v5
	v_mul_lo_u32 v58, v58, v5
	s_delay_alu instid0(VALU_DEP_1) | instskip(NEXT) | instid1(VALU_DEP_1)
	v_mul_hi_u32 v58, v5, v58
	v_add_nc_u32_e32 v5, v5, v58
	s_delay_alu instid0(VALU_DEP_1) | instskip(NEXT) | instid1(VALU_DEP_1)
	v_mul_hi_u32 v5, v62, v5
	v_mul_lo_u32 v58, v5, v70
	s_delay_alu instid0(VALU_DEP_1) | instskip(NEXT) | instid1(VALU_DEP_1)
	v_dual_sub_nc_u32 v58, v62, v58 :: v_dual_add_nc_u32 v59, 1, v5
	v_sub_nc_u32_e32 v62, v58, v70
	v_cmp_ge_u32_e32 vcc_lo, v58, v70
	s_delay_alu instid0(VALU_DEP_2) | instskip(NEXT) | instid1(VALU_DEP_1)
	v_dual_cndmask_b32 v58, v58, v62 :: v_dual_cndmask_b32 v5, v5, v59
	v_cmp_ge_u32_e32 vcc_lo, v58, v70
	s_delay_alu instid0(VALU_DEP_2) | instskip(NEXT) | instid1(VALU_DEP_1)
	v_add_nc_u32_e32 v59, 1, v5
	v_dual_cndmask_b32 v58, v5, v59 :: v_dual_mov_b32 v59, v4
.LBB69_22:                              ;   in Loop: Header=BB69_4 Depth=1
	s_or_b32 exec_lo, exec_lo, s2
	v_or_b32_e32 v5, v67, v69
                                        ; implicit-def: $vgpr62_vgpr63
	s_mov_b32 s2, exec_lo
	s_delay_alu instid0(VALU_DEP_1)
	v_cmpx_ne_u64_e32 0, v[4:5]
	s_xor_b32 s3, exec_lo, s2
	s_cbranch_execz .LBB69_24
; %bb.23:                               ;   in Loop: Header=BB69_4 Depth=1
	v_dual_mov_b32 v71, v4 :: v_dual_ashrrev_i32 v62, 31, v69
	v_dual_mov_b32 v79, v4 :: v_dual_mov_b32 v81, v4
	s_delay_alu instid0(VALU_DEP_2) | instskip(NEXT) | instid1(VALU_DEP_1)
	v_mov_b32_e32 v63, v62
	v_add_nc_u64_e32 v[68:69], v[68:69], v[62:63]
	s_delay_alu instid0(VALU_DEP_1) | instskip(NEXT) | instid1(VALU_DEP_2)
	v_xor_b32_e32 v68, v68, v62
	v_xor_b32_e32 v69, v69, v62
	s_delay_alu instid0(VALU_DEP_2) | instskip(NEXT) | instid1(VALU_DEP_2)
	v_cvt_f32_u32_e32 v5, v68
	v_cvt_f32_u32_e32 v63, v69
	s_delay_alu instid0(VALU_DEP_1) | instskip(NEXT) | instid1(VALU_DEP_1)
	v_fmac_f32_e32 v5, 0x4f800000, v63
	v_rcp_f32_e32 v5, v5
	v_nop
	s_delay_alu instid0(TRANS32_DEP_1) | instskip(NEXT) | instid1(VALU_DEP_1)
	v_mul_f32_e32 v5, 0x5f7ffffc, v5
	v_mul_f32_e32 v63, 0x2f800000, v5
	s_delay_alu instid0(VALU_DEP_1) | instskip(NEXT) | instid1(VALU_DEP_1)
	v_trunc_f32_e32 v63, v63
	v_fmac_f32_e32 v5, 0xcf800000, v63
	v_cvt_u32_f32_e32 v75, v63
	s_delay_alu instid0(VALU_DEP_2) | instskip(NEXT) | instid1(VALU_DEP_1)
	v_cvt_u32_f32_e32 v70, v5
	v_dual_mov_b32 v80, v75 :: v_dual_mov_b32 v74, v70
	v_sub_nc_u64_e32 v[72:73], 0, v[68:69]
	s_delay_alu instid0(VALU_DEP_1) | instskip(NEXT) | instid1(VALU_DEP_1)
	v_mul_u64_e32 v[76:77], v[72:73], v[74:75]
	v_dual_mov_b32 v78, v77 :: v_dual_mov_b32 v77, v4
	s_delay_alu instid0(VALU_DEP_1) | instskip(NEXT) | instid1(VALU_DEP_2)
	v_mul_u64_e32 v[82:83], v[70:71], v[78:79]
	v_mul_u64_e32 v[84:85], v[80:81], v[76:77]
	v_mul_u64_e32 v[78:79], v[80:81], v[78:79]
	v_mul_hi_u32 v76, v70, v76
	s_delay_alu instid0(VALU_DEP_1) | instskip(SKIP_1) | instid1(VALU_DEP_2)
	v_add_nc_u64_e32 v[76:77], v[76:77], v[82:83]
	v_ashrrev_i32_e32 v82, 31, v67
	v_add_co_u32 v5, vcc_lo, v76, v84
	s_delay_alu instid0(VALU_DEP_3) | instskip(SKIP_1) | instid1(VALU_DEP_1)
	v_add_co_ci_u32_e32 v80, vcc_lo, v77, v85, vcc_lo
	v_add_co_ci_u32_e32 v79, vcc_lo, 0, v79, vcc_lo
	v_add_nc_u64_e32 v[76:77], v[80:81], v[78:79]
	s_delay_alu instid0(VALU_DEP_1) | instskip(NEXT) | instid1(VALU_DEP_1)
	v_add_co_u32 v70, vcc_lo, v70, v76
	v_add_co_ci_u32_e64 v74, null, v75, v77, vcc_lo
	v_dual_mov_b32 v77, v4 :: v_dual_mov_b32 v75, v4
	s_delay_alu instid0(VALU_DEP_2) | instskip(NEXT) | instid1(VALU_DEP_1)
	v_mov_b32_e32 v71, v74
	v_mul_u64_e32 v[72:73], v[72:73], v[70:71]
	s_delay_alu instid0(VALU_DEP_1) | instskip(NEXT) | instid1(VALU_DEP_2)
	v_dual_mov_b32 v71, v4 :: v_dual_mov_b32 v76, v73
	v_dual_mov_b32 v80, v72 :: v_dual_mov_b32 v73, v4
	v_mul_hi_u32 v72, v70, v72
	s_delay_alu instid0(VALU_DEP_3) | instskip(NEXT) | instid1(VALU_DEP_3)
	v_mul_u64_e32 v[78:79], v[70:71], v[76:77]
	v_mul_u64_e32 v[80:81], v[74:75], v[80:81]
	;; [unrolled: 1-line block ×3, first 2 shown]
	s_delay_alu instid0(VALU_DEP_3) | instskip(SKIP_2) | instid1(VALU_DEP_3)
	v_add_nc_u64_e32 v[72:73], v[72:73], v[78:79]
	v_dual_mov_b32 v79, v4 :: v_dual_mov_b32 v83, v82
	v_xor_b32_e32 v62, v82, v62
	v_add_co_u32 v5, vcc_lo, v72, v80
	s_delay_alu instid0(VALU_DEP_4) | instskip(SKIP_1) | instid1(VALU_DEP_1)
	v_add_co_ci_u32_e32 v78, vcc_lo, v73, v81, vcc_lo
	v_add_co_ci_u32_e32 v77, vcc_lo, 0, v77, vcc_lo
	v_add_nc_u64_e32 v[72:73], v[78:79], v[76:77]
	v_mov_b32_e32 v77, v4
	v_add_nc_u64_e32 v[66:67], v[66:67], v[82:83]
	s_delay_alu instid0(VALU_DEP_3) | instskip(NEXT) | instid1(VALU_DEP_2)
	v_add_co_u32 v72, vcc_lo, v70, v72
	v_xor_b32_e32 v76, v66, v82
	v_add_co_ci_u32_e64 v70, null, v74, v73, vcc_lo
	s_delay_alu instid0(VALU_DEP_4) | instskip(NEXT) | instid1(VALU_DEP_2)
	v_dual_mov_b32 v73, v4 :: v_dual_bitop2_b32 v74, v67, v82 bitop3:0x14
	v_mul_u64_e32 v[78:79], v[76:77], v[70:71]
	s_delay_alu instid0(VALU_DEP_2) | instskip(SKIP_1) | instid1(VALU_DEP_1)
	v_mul_u64_e32 v[66:67], v[74:75], v[72:73]
	v_mul_hi_u32 v72, v76, v72
	v_add_nc_u64_e32 v[72:73], v[72:73], v[78:79]
	v_mov_b32_e32 v79, v4
	v_mul_u64_e32 v[70:71], v[74:75], v[70:71]
	s_delay_alu instid0(VALU_DEP_3) | instskip(NEXT) | instid1(VALU_DEP_4)
	v_add_co_u32 v5, vcc_lo, v72, v66
	v_add_co_ci_u32_e32 v78, vcc_lo, v73, v67, vcc_lo
	s_delay_alu instid0(VALU_DEP_3) | instskip(NEXT) | instid1(VALU_DEP_1)
	v_add_co_ci_u32_e32 v71, vcc_lo, 0, v71, vcc_lo
	v_add_nc_u64_e32 v[66:67], v[78:79], v[70:71]
	s_delay_alu instid0(VALU_DEP_1) | instskip(SKIP_1) | instid1(VALU_DEP_2)
	v_mul_u64_e32 v[70:71], v[68:69], v[66:67]
	v_add_nc_u64_e32 v[72:73], 1, v[66:67]
	v_sub_nc_u32_e32 v5, v74, v71
	s_delay_alu instid0(VALU_DEP_3) | instskip(NEXT) | instid1(VALU_DEP_1)
	v_sub_co_u32 v63, vcc_lo, v76, v70
	v_sub_co_ci_u32_e64 v74, null, v74, v71, vcc_lo
	s_delay_alu instid0(VALU_DEP_3) | instskip(NEXT) | instid1(VALU_DEP_3)
	v_sub_co_ci_u32_e64 v5, null, v5, v69, vcc_lo
	v_sub_co_u32 v70, s2, v63, v68
	s_delay_alu instid0(VALU_DEP_1) | instskip(NEXT) | instid1(VALU_DEP_2)
	v_subrev_co_ci_u32_e64 v5, null, 0, v5, s2
	v_cmp_ge_u32_e32 vcc_lo, v70, v68
	v_cndmask_b32_e64 v70, 0, -1, vcc_lo
	s_delay_alu instid0(VALU_DEP_3)
	v_cmp_ge_u32_e32 vcc_lo, v5, v69
	v_cndmask_b32_e64 v71, 0, -1, vcc_lo
	v_cmp_ge_u32_e32 vcc_lo, v63, v68
	v_cndmask_b32_e64 v63, 0, -1, vcc_lo
	v_cmp_ge_u32_e32 vcc_lo, v74, v69
	v_cndmask_b32_e64 v68, 0, -1, vcc_lo
	v_cmp_eq_u32_e32 vcc_lo, v5, v69
	v_cndmask_b32_e32 v5, v71, v70, vcc_lo
	v_cmp_eq_u32_e32 vcc_lo, v74, v69
	v_add_nc_u64_e32 v[70:71], 2, v[66:67]
	v_cndmask_b32_e32 v63, v68, v63, vcc_lo
	s_delay_alu instid0(VALU_DEP_4) | instskip(NEXT) | instid1(VALU_DEP_2)
	v_cmp_ne_u32_e32 vcc_lo, 0, v5
                                        ; implicit-def: $vgpr68_vgpr69
	v_cmp_ne_u32_e64 s2, 0, v63
	s_delay_alu instid0(VALU_DEP_4) | instskip(NEXT) | instid1(VALU_DEP_1)
	v_dual_cndmask_b32 v5, v73, v71, vcc_lo :: v_dual_cndmask_b32 v63, v72, v70, vcc_lo
	v_dual_cndmask_b32 v5, v67, v5, s2 :: v_dual_cndmask_b32 v66, v66, v63, s2
	s_delay_alu instid0(VALU_DEP_1) | instskip(NEXT) | instid1(VALU_DEP_2)
	v_dual_mov_b32 v63, v62 :: v_dual_bitop2_b32 v67, v5, v62 bitop3:0x14
	v_xor_b32_e32 v66, v66, v62
	s_delay_alu instid0(VALU_DEP_1)
	v_sub_nc_u64_e32 v[62:63], v[66:67], v[62:63]
                                        ; implicit-def: $vgpr66_vgpr67
.LBB69_24:                              ;   in Loop: Header=BB69_4 Depth=1
	s_and_not1_saveexec_b32 s2, s3
	s_cbranch_execz .LBB69_26
; %bb.25:                               ;   in Loop: Header=BB69_4 Depth=1
	v_cvt_f32_u32_e32 v5, v68
	v_sub_nc_u32_e32 v62, 0, v68
	s_delay_alu instid0(VALU_DEP_2) | instskip(SKIP_1) | instid1(TRANS32_DEP_1)
	v_rcp_iflag_f32_e32 v5, v5
	v_nop
	v_mul_f32_e32 v5, 0x4f7ffffe, v5
	s_delay_alu instid0(VALU_DEP_1) | instskip(NEXT) | instid1(VALU_DEP_1)
	v_cvt_u32_f32_e32 v5, v5
	v_mul_lo_u32 v62, v62, v5
	s_delay_alu instid0(VALU_DEP_1) | instskip(NEXT) | instid1(VALU_DEP_1)
	v_mul_hi_u32 v62, v5, v62
	v_add_nc_u32_e32 v5, v5, v62
	s_delay_alu instid0(VALU_DEP_1) | instskip(NEXT) | instid1(VALU_DEP_1)
	v_mul_hi_u32 v5, v66, v5
	v_mul_lo_u32 v62, v5, v68
	s_delay_alu instid0(VALU_DEP_1) | instskip(NEXT) | instid1(VALU_DEP_1)
	v_dual_sub_nc_u32 v62, v66, v62 :: v_dual_add_nc_u32 v63, 1, v5
	v_sub_nc_u32_e32 v66, v62, v68
	v_cmp_ge_u32_e32 vcc_lo, v62, v68
	s_delay_alu instid0(VALU_DEP_2) | instskip(NEXT) | instid1(VALU_DEP_1)
	v_dual_cndmask_b32 v62, v62, v66 :: v_dual_cndmask_b32 v5, v5, v63
	v_cmp_ge_u32_e32 vcc_lo, v62, v68
	s_delay_alu instid0(VALU_DEP_2) | instskip(NEXT) | instid1(VALU_DEP_1)
	v_add_nc_u32_e32 v63, 1, v5
	v_dual_cndmask_b32 v62, v5, v63 :: v_dual_mov_b32 v63, v4
.LBB69_26:                              ;   in Loop: Header=BB69_4 Depth=1
	s_or_b32 exec_lo, exec_lo, s2
	s_wait_loadcnt 0x0
	v_or_b32_e32 v5, v61, v65
                                        ; implicit-def: $vgpr66_vgpr67
	s_mov_b32 s2, exec_lo
	s_delay_alu instid0(VALU_DEP_1)
	v_cmpx_ne_u64_e32 0, v[4:5]
	s_xor_b32 s3, exec_lo, s2
	s_cbranch_execz .LBB69_28
; %bb.27:                               ;   in Loop: Header=BB69_4 Depth=1
	v_dual_mov_b32 v69, v4 :: v_dual_ashrrev_i32 v66, 31, v65
	v_dual_mov_b32 v77, v4 :: v_dual_mov_b32 v79, v4
	s_delay_alu instid0(VALU_DEP_2) | instskip(NEXT) | instid1(VALU_DEP_1)
	v_mov_b32_e32 v67, v66
	v_add_nc_u64_e32 v[64:65], v[64:65], v[66:67]
	s_delay_alu instid0(VALU_DEP_1) | instskip(NEXT) | instid1(VALU_DEP_2)
	v_xor_b32_e32 v64, v64, v66
	v_xor_b32_e32 v65, v65, v66
	s_delay_alu instid0(VALU_DEP_2) | instskip(NEXT) | instid1(VALU_DEP_2)
	v_cvt_f32_u32_e32 v5, v64
	v_cvt_f32_u32_e32 v67, v65
	s_delay_alu instid0(VALU_DEP_1) | instskip(NEXT) | instid1(VALU_DEP_1)
	v_fmac_f32_e32 v5, 0x4f800000, v67
	v_rcp_f32_e32 v5, v5
	v_nop
	s_delay_alu instid0(TRANS32_DEP_1) | instskip(NEXT) | instid1(VALU_DEP_1)
	v_mul_f32_e32 v5, 0x5f7ffffc, v5
	v_mul_f32_e32 v67, 0x2f800000, v5
	s_delay_alu instid0(VALU_DEP_1) | instskip(NEXT) | instid1(VALU_DEP_1)
	v_trunc_f32_e32 v67, v67
	v_fmac_f32_e32 v5, 0xcf800000, v67
	v_cvt_u32_f32_e32 v73, v67
	s_delay_alu instid0(VALU_DEP_2) | instskip(NEXT) | instid1(VALU_DEP_1)
	v_cvt_u32_f32_e32 v68, v5
	v_dual_mov_b32 v78, v73 :: v_dual_mov_b32 v72, v68
	v_sub_nc_u64_e32 v[70:71], 0, v[64:65]
	s_delay_alu instid0(VALU_DEP_1) | instskip(NEXT) | instid1(VALU_DEP_1)
	v_mul_u64_e32 v[74:75], v[70:71], v[72:73]
	v_dual_mov_b32 v76, v75 :: v_dual_mov_b32 v75, v4
	s_delay_alu instid0(VALU_DEP_1) | instskip(NEXT) | instid1(VALU_DEP_2)
	v_mul_u64_e32 v[80:81], v[68:69], v[76:77]
	v_mul_u64_e32 v[82:83], v[78:79], v[74:75]
	;; [unrolled: 1-line block ×3, first 2 shown]
	v_mul_hi_u32 v74, v68, v74
	s_delay_alu instid0(VALU_DEP_1) | instskip(SKIP_1) | instid1(VALU_DEP_2)
	v_add_nc_u64_e32 v[74:75], v[74:75], v[80:81]
	v_ashrrev_i32_e32 v80, 31, v61
	v_add_co_u32 v5, vcc_lo, v74, v82
	s_delay_alu instid0(VALU_DEP_3) | instskip(SKIP_1) | instid1(VALU_DEP_1)
	v_add_co_ci_u32_e32 v78, vcc_lo, v75, v83, vcc_lo
	v_add_co_ci_u32_e32 v77, vcc_lo, 0, v77, vcc_lo
	v_add_nc_u64_e32 v[74:75], v[78:79], v[76:77]
	s_delay_alu instid0(VALU_DEP_1) | instskip(NEXT) | instid1(VALU_DEP_1)
	v_add_co_u32 v68, vcc_lo, v68, v74
	v_add_co_ci_u32_e64 v72, null, v73, v75, vcc_lo
	v_dual_mov_b32 v75, v4 :: v_dual_mov_b32 v73, v4
	s_delay_alu instid0(VALU_DEP_2) | instskip(NEXT) | instid1(VALU_DEP_1)
	v_mov_b32_e32 v69, v72
	v_mul_u64_e32 v[70:71], v[70:71], v[68:69]
	s_delay_alu instid0(VALU_DEP_1) | instskip(NEXT) | instid1(VALU_DEP_2)
	v_dual_mov_b32 v69, v4 :: v_dual_mov_b32 v74, v71
	v_dual_mov_b32 v78, v70 :: v_dual_mov_b32 v71, v4
	v_mul_hi_u32 v70, v68, v70
	s_delay_alu instid0(VALU_DEP_3) | instskip(NEXT) | instid1(VALU_DEP_3)
	v_mul_u64_e32 v[76:77], v[68:69], v[74:75]
	v_mul_u64_e32 v[78:79], v[72:73], v[78:79]
	;; [unrolled: 1-line block ×3, first 2 shown]
	s_delay_alu instid0(VALU_DEP_3) | instskip(SKIP_1) | instid1(VALU_DEP_2)
	v_add_nc_u64_e32 v[70:71], v[70:71], v[76:77]
	v_dual_mov_b32 v77, v4 :: v_dual_mov_b32 v81, v80
	v_add_co_u32 v5, vcc_lo, v70, v78
	s_delay_alu instid0(VALU_DEP_3) | instskip(SKIP_1) | instid1(VALU_DEP_1)
	v_add_co_ci_u32_e32 v76, vcc_lo, v71, v79, vcc_lo
	v_add_co_ci_u32_e32 v75, vcc_lo, 0, v75, vcc_lo
	v_add_nc_u64_e32 v[70:71], v[76:77], v[74:75]
	v_mov_b32_e32 v75, v4
	v_add_nc_u64_e32 v[60:61], v[60:61], v[80:81]
	s_delay_alu instid0(VALU_DEP_3) | instskip(NEXT) | instid1(VALU_DEP_2)
	v_add_co_u32 v70, vcc_lo, v68, v70
	v_xor_b32_e32 v74, v60, v80
	v_add_co_ci_u32_e64 v68, null, v72, v71, vcc_lo
	s_delay_alu instid0(VALU_DEP_4) | instskip(NEXT) | instid1(VALU_DEP_2)
	v_dual_mov_b32 v71, v4 :: v_dual_bitop2_b32 v72, v61, v80 bitop3:0x14
	v_mul_u64_e32 v[76:77], v[74:75], v[68:69]
	s_delay_alu instid0(VALU_DEP_2) | instskip(SKIP_2) | instid1(VALU_DEP_1)
	v_mul_u64_e32 v[60:61], v[72:73], v[70:71]
	v_mul_u64_e32 v[68:69], v[72:73], v[68:69]
	v_mul_hi_u32 v70, v74, v70
	v_add_nc_u64_e32 v[70:71], v[70:71], v[76:77]
	v_mov_b32_e32 v77, v4
	s_delay_alu instid0(VALU_DEP_2) | instskip(NEXT) | instid1(VALU_DEP_3)
	v_add_co_u32 v5, vcc_lo, v70, v60
	v_add_co_ci_u32_e32 v76, vcc_lo, v71, v61, vcc_lo
	v_add_co_ci_u32_e32 v69, vcc_lo, 0, v69, vcc_lo
	s_delay_alu instid0(VALU_DEP_1) | instskip(NEXT) | instid1(VALU_DEP_1)
	v_add_nc_u64_e32 v[60:61], v[76:77], v[68:69]
	v_mul_u64_e32 v[68:69], v[64:65], v[60:61]
	v_add_nc_u64_e32 v[70:71], 1, v[60:61]
	s_delay_alu instid0(VALU_DEP_2) | instskip(NEXT) | instid1(VALU_DEP_3)
	v_sub_nc_u32_e32 v5, v72, v69
	v_sub_co_u32 v67, vcc_lo, v74, v68
	s_delay_alu instid0(VALU_DEP_1) | instskip(NEXT) | instid1(VALU_DEP_3)
	v_sub_co_ci_u32_e64 v72, null, v72, v69, vcc_lo
	v_sub_co_ci_u32_e64 v5, null, v5, v65, vcc_lo
	s_delay_alu instid0(VALU_DEP_3) | instskip(NEXT) | instid1(VALU_DEP_1)
	v_sub_co_u32 v68, s2, v67, v64
	v_subrev_co_ci_u32_e64 v5, null, 0, v5, s2
	s_delay_alu instid0(VALU_DEP_2) | instskip(SKIP_1) | instid1(VALU_DEP_3)
	v_cmp_ge_u32_e32 vcc_lo, v68, v64
	v_cndmask_b32_e64 v68, 0, -1, vcc_lo
	v_cmp_ge_u32_e32 vcc_lo, v5, v65
	v_cndmask_b32_e64 v69, 0, -1, vcc_lo
	;; [unrolled: 2-line block ×4, first 2 shown]
	v_cmp_eq_u32_e32 vcc_lo, v5, v65
	v_cndmask_b32_e32 v5, v69, v68, vcc_lo
	v_cmp_eq_u32_e32 vcc_lo, v72, v65
	v_add_nc_u64_e32 v[68:69], 2, v[60:61]
	v_cndmask_b32_e32 v64, v67, v64, vcc_lo
	s_delay_alu instid0(VALU_DEP_4) | instskip(NEXT) | instid1(VALU_DEP_2)
	v_cmp_ne_u32_e32 vcc_lo, 0, v5
	v_cmp_ne_u32_e64 s2, 0, v64
	s_delay_alu instid0(VALU_DEP_4) | instskip(NEXT) | instid1(VALU_DEP_1)
	v_dual_cndmask_b32 v5, v71, v69, vcc_lo :: v_dual_cndmask_b32 v65, v70, v68, vcc_lo
	v_dual_cndmask_b32 v5, v61, v5, s2 :: v_dual_bitop2_b32 v64, v80, v66 bitop3:0x14
	s_delay_alu instid0(VALU_DEP_2) | instskip(NEXT) | instid1(VALU_DEP_2)
	v_cndmask_b32_e64 v60, v60, v65, s2
	v_dual_mov_b32 v65, v64 :: v_dual_bitop2_b32 v61, v5, v64 bitop3:0x14
	s_delay_alu instid0(VALU_DEP_2) | instskip(NEXT) | instid1(VALU_DEP_1)
	v_xor_b32_e32 v60, v60, v64
	v_sub_nc_u64_e32 v[66:67], v[60:61], v[64:65]
                                        ; implicit-def: $vgpr64_vgpr65
                                        ; implicit-def: $vgpr60_vgpr61
.LBB69_28:                              ;   in Loop: Header=BB69_4 Depth=1
	s_and_not1_saveexec_b32 s2, s3
	s_cbranch_execz .LBB69_30
; %bb.29:                               ;   in Loop: Header=BB69_4 Depth=1
	v_cvt_f32_u32_e32 v5, v64
	v_dual_sub_nc_u32 v61, 0, v64 :: v_dual_mov_b32 v67, v4
	s_delay_alu instid0(VALU_DEP_2) | instskip(SKIP_1) | instid1(TRANS32_DEP_1)
	v_rcp_iflag_f32_e32 v5, v5
	v_nop
	v_mul_f32_e32 v5, 0x4f7ffffe, v5
	s_delay_alu instid0(VALU_DEP_1) | instskip(NEXT) | instid1(VALU_DEP_1)
	v_cvt_u32_f32_e32 v5, v5
	v_mul_lo_u32 v61, v61, v5
	s_delay_alu instid0(VALU_DEP_1) | instskip(NEXT) | instid1(VALU_DEP_1)
	v_mul_hi_u32 v61, v5, v61
	v_add_nc_u32_e32 v5, v5, v61
	s_delay_alu instid0(VALU_DEP_1) | instskip(NEXT) | instid1(VALU_DEP_1)
	v_mul_hi_u32 v5, v60, v5
	v_mul_lo_u32 v61, v5, v64
	s_delay_alu instid0(VALU_DEP_1) | instskip(NEXT) | instid1(VALU_DEP_1)
	v_sub_nc_u32_e32 v60, v60, v61
	v_dual_add_nc_u32 v61, 1, v5 :: v_dual_sub_nc_u32 v65, v60, v64
	v_cmp_ge_u32_e32 vcc_lo, v60, v64
	s_delay_alu instid0(VALU_DEP_2) | instskip(NEXT) | instid1(VALU_DEP_3)
	v_cndmask_b32_e32 v60, v60, v65, vcc_lo
	v_cndmask_b32_e32 v5, v5, v61, vcc_lo
	s_delay_alu instid0(VALU_DEP_2) | instskip(NEXT) | instid1(VALU_DEP_2)
	v_cmp_ge_u32_e32 vcc_lo, v60, v64
	v_add_nc_u32_e32 v61, 1, v5
	s_delay_alu instid0(VALU_DEP_1)
	v_cndmask_b32_e32 v66, v5, v61, vcc_lo
.LBB69_30:                              ;   in Loop: Header=BB69_4 Depth=1
	s_or_b32 exec_lo, exec_lo, s2
	v_or_b32_e32 v5, v55, v57
                                        ; implicit-def: $vgpr60_vgpr61
	s_mov_b32 s2, exec_lo
	s_delay_alu instid0(VALU_DEP_1)
	v_cmpx_ne_u64_e32 0, v[4:5]
	s_xor_b32 s3, exec_lo, s2
	s_cbranch_execz .LBB69_32
; %bb.31:                               ;   in Loop: Header=BB69_4 Depth=1
	v_dual_mov_b32 v65, v4 :: v_dual_ashrrev_i32 v60, 31, v57
	v_dual_mov_b32 v75, v4 :: v_dual_mov_b32 v77, v4
	s_delay_alu instid0(VALU_DEP_2) | instskip(NEXT) | instid1(VALU_DEP_1)
	v_mov_b32_e32 v61, v60
	v_add_nc_u64_e32 v[56:57], v[56:57], v[60:61]
	s_delay_alu instid0(VALU_DEP_1) | instskip(NEXT) | instid1(VALU_DEP_2)
	v_xor_b32_e32 v56, v56, v60
	v_xor_b32_e32 v57, v57, v60
	s_delay_alu instid0(VALU_DEP_2) | instskip(NEXT) | instid1(VALU_DEP_2)
	v_cvt_f32_u32_e32 v5, v56
	v_cvt_f32_u32_e32 v61, v57
	v_sub_nc_u64_e32 v[68:69], 0, v[56:57]
	s_delay_alu instid0(VALU_DEP_2) | instskip(NEXT) | instid1(VALU_DEP_1)
	v_fmac_f32_e32 v5, 0x4f800000, v61
	v_rcp_f32_e32 v5, v5
	v_nop
	s_delay_alu instid0(TRANS32_DEP_1) | instskip(NEXT) | instid1(VALU_DEP_1)
	v_mul_f32_e32 v5, 0x5f7ffffc, v5
	v_mul_f32_e32 v61, 0x2f800000, v5
	s_delay_alu instid0(VALU_DEP_1) | instskip(NEXT) | instid1(VALU_DEP_1)
	v_trunc_f32_e32 v61, v61
	v_fmac_f32_e32 v5, 0xcf800000, v61
	v_cvt_u32_f32_e32 v71, v61
	s_delay_alu instid0(VALU_DEP_2) | instskip(NEXT) | instid1(VALU_DEP_1)
	v_cvt_u32_f32_e32 v64, v5
	v_dual_mov_b32 v76, v71 :: v_dual_mov_b32 v70, v64
	s_delay_alu instid0(VALU_DEP_1) | instskip(NEXT) | instid1(VALU_DEP_1)
	v_mul_u64_e32 v[72:73], v[68:69], v[70:71]
	v_dual_mov_b32 v74, v73 :: v_dual_mov_b32 v73, v4
	s_delay_alu instid0(VALU_DEP_1) | instskip(NEXT) | instid1(VALU_DEP_2)
	v_mul_u64_e32 v[78:79], v[64:65], v[74:75]
	v_mul_u64_e32 v[80:81], v[76:77], v[72:73]
	;; [unrolled: 1-line block ×3, first 2 shown]
	v_mul_hi_u32 v72, v64, v72
	s_delay_alu instid0(VALU_DEP_1) | instskip(SKIP_1) | instid1(VALU_DEP_1)
	v_add_nc_u64_e32 v[72:73], v[72:73], v[78:79]
	v_ashrrev_i32_e32 v78, 31, v55
	v_mov_b32_e32 v79, v78
	s_delay_alu instid0(VALU_DEP_3) | instskip(NEXT) | instid1(VALU_DEP_4)
	v_add_co_u32 v5, vcc_lo, v72, v80
	v_add_co_ci_u32_e32 v76, vcc_lo, v73, v81, vcc_lo
	v_add_co_ci_u32_e32 v75, vcc_lo, 0, v75, vcc_lo
	s_delay_alu instid0(VALU_DEP_1) | instskip(NEXT) | instid1(VALU_DEP_1)
	v_add_nc_u64_e32 v[72:73], v[76:77], v[74:75]
	v_add_co_u32 v64, vcc_lo, v64, v72
	s_delay_alu instid0(VALU_DEP_1) | instskip(SKIP_1) | instid1(VALU_DEP_2)
	v_add_co_ci_u32_e64 v70, null, v71, v73, vcc_lo
	v_dual_mov_b32 v73, v4 :: v_dual_mov_b32 v71, v4
	v_mov_b32_e32 v65, v70
	s_delay_alu instid0(VALU_DEP_1) | instskip(NEXT) | instid1(VALU_DEP_1)
	v_mul_u64_e32 v[68:69], v[68:69], v[64:65]
	v_dual_mov_b32 v65, v4 :: v_dual_mov_b32 v72, v69
	s_delay_alu instid0(VALU_DEP_2) | instskip(SKIP_2) | instid1(VALU_DEP_4)
	v_mov_b32_e32 v76, v68
	v_mul_hi_u32 v68, v64, v68
	v_mov_b32_e32 v69, v4
	v_mul_u64_e32 v[74:75], v[64:65], v[72:73]
	s_delay_alu instid0(VALU_DEP_4) | instskip(SKIP_1) | instid1(VALU_DEP_3)
	v_mul_u64_e32 v[76:77], v[70:71], v[76:77]
	v_mul_u64_e32 v[72:73], v[70:71], v[72:73]
	v_add_nc_u64_e32 v[68:69], v[68:69], v[74:75]
	v_mov_b32_e32 v75, v4
	s_delay_alu instid0(VALU_DEP_2) | instskip(NEXT) | instid1(VALU_DEP_3)
	v_add_co_u32 v5, vcc_lo, v68, v76
	v_add_co_ci_u32_e32 v74, vcc_lo, v69, v77, vcc_lo
	v_add_co_ci_u32_e32 v73, vcc_lo, 0, v73, vcc_lo
	s_delay_alu instid0(VALU_DEP_1) | instskip(SKIP_2) | instid1(VALU_DEP_3)
	v_add_nc_u64_e32 v[68:69], v[74:75], v[72:73]
	v_mov_b32_e32 v73, v4
	v_add_nc_u64_e32 v[54:55], v[54:55], v[78:79]
	v_add_co_u32 v68, vcc_lo, v64, v68
	s_delay_alu instid0(VALU_DEP_2) | instskip(SKIP_1) | instid1(VALU_DEP_4)
	v_xor_b32_e32 v72, v54, v78
	v_add_co_ci_u32_e64 v64, null, v70, v69, vcc_lo
	v_dual_mov_b32 v69, v4 :: v_dual_bitop2_b32 v70, v55, v78 bitop3:0x14
	s_delay_alu instid0(VALU_DEP_2) | instskip(NEXT) | instid1(VALU_DEP_2)
	v_mul_u64_e32 v[74:75], v[72:73], v[64:65]
	v_mul_u64_e32 v[54:55], v[70:71], v[68:69]
	v_mul_hi_u32 v68, v72, v68
	s_delay_alu instid0(VALU_DEP_1) | instskip(SKIP_2) | instid1(VALU_DEP_3)
	v_add_nc_u64_e32 v[68:69], v[68:69], v[74:75]
	v_mov_b32_e32 v75, v4
	v_mul_u64_e32 v[64:65], v[70:71], v[64:65]
	v_add_co_u32 v5, vcc_lo, v68, v54
	s_delay_alu instid0(VALU_DEP_4) | instskip(NEXT) | instid1(VALU_DEP_3)
	v_add_co_ci_u32_e32 v74, vcc_lo, v69, v55, vcc_lo
	v_add_co_ci_u32_e32 v65, vcc_lo, 0, v65, vcc_lo
	s_delay_alu instid0(VALU_DEP_1) | instskip(NEXT) | instid1(VALU_DEP_1)
	v_add_nc_u64_e32 v[54:55], v[74:75], v[64:65]
	v_mul_u64_e32 v[64:65], v[56:57], v[54:55]
	v_add_nc_u64_e32 v[68:69], 1, v[54:55]
	s_delay_alu instid0(VALU_DEP_2) | instskip(NEXT) | instid1(VALU_DEP_3)
	v_sub_nc_u32_e32 v5, v70, v65
	v_sub_co_u32 v61, vcc_lo, v72, v64
	s_delay_alu instid0(VALU_DEP_1) | instskip(NEXT) | instid1(VALU_DEP_3)
	v_sub_co_ci_u32_e64 v70, null, v70, v65, vcc_lo
	v_sub_co_ci_u32_e64 v5, null, v5, v57, vcc_lo
	s_delay_alu instid0(VALU_DEP_3) | instskip(NEXT) | instid1(VALU_DEP_1)
	v_sub_co_u32 v64, s2, v61, v56
	v_subrev_co_ci_u32_e64 v5, null, 0, v5, s2
	s_delay_alu instid0(VALU_DEP_2) | instskip(SKIP_1) | instid1(VALU_DEP_3)
	v_cmp_ge_u32_e32 vcc_lo, v64, v56
	v_cndmask_b32_e64 v64, 0, -1, vcc_lo
	v_cmp_ge_u32_e32 vcc_lo, v5, v57
	v_cndmask_b32_e64 v65, 0, -1, vcc_lo
	;; [unrolled: 2-line block ×4, first 2 shown]
	v_cmp_eq_u32_e32 vcc_lo, v5, v57
	v_cndmask_b32_e32 v5, v65, v64, vcc_lo
	v_cmp_eq_u32_e32 vcc_lo, v70, v57
	v_add_nc_u64_e32 v[64:65], 2, v[54:55]
	v_cndmask_b32_e32 v56, v61, v56, vcc_lo
	s_delay_alu instid0(VALU_DEP_4) | instskip(NEXT) | instid1(VALU_DEP_2)
	v_cmp_ne_u32_e32 vcc_lo, 0, v5
	v_cmp_ne_u32_e64 s2, 0, v56
	s_delay_alu instid0(VALU_DEP_4) | instskip(NEXT) | instid1(VALU_DEP_1)
	v_dual_cndmask_b32 v5, v69, v65, vcc_lo :: v_dual_bitop2_b32 v56, v78, v60 bitop3:0x14
	v_dual_cndmask_b32 v57, v68, v64, vcc_lo :: v_dual_cndmask_b32 v5, v55, v5, s2
	s_delay_alu instid0(VALU_DEP_1) | instskip(NEXT) | instid1(VALU_DEP_2)
	v_dual_cndmask_b32 v54, v54, v57, s2 :: v_dual_mov_b32 v57, v56
	v_xor_b32_e32 v55, v5, v56
	s_delay_alu instid0(VALU_DEP_2) | instskip(NEXT) | instid1(VALU_DEP_1)
	v_xor_b32_e32 v54, v54, v56
	v_sub_nc_u64_e32 v[60:61], v[54:55], v[56:57]
                                        ; implicit-def: $vgpr56_vgpr57
                                        ; implicit-def: $vgpr54_vgpr55
.LBB69_32:                              ;   in Loop: Header=BB69_4 Depth=1
	s_and_not1_saveexec_b32 s2, s3
	s_cbranch_execz .LBB69_3
; %bb.33:                               ;   in Loop: Header=BB69_4 Depth=1
	v_cvt_f32_u32_e32 v5, v56
	v_dual_sub_nc_u32 v55, 0, v56 :: v_dual_mov_b32 v61, v4
	s_delay_alu instid0(VALU_DEP_2) | instskip(SKIP_1) | instid1(TRANS32_DEP_1)
	v_rcp_iflag_f32_e32 v5, v5
	v_nop
	v_mul_f32_e32 v5, 0x4f7ffffe, v5
	s_delay_alu instid0(VALU_DEP_1) | instskip(NEXT) | instid1(VALU_DEP_1)
	v_cvt_u32_f32_e32 v5, v5
	v_mul_lo_u32 v55, v55, v5
	s_delay_alu instid0(VALU_DEP_1) | instskip(NEXT) | instid1(VALU_DEP_1)
	v_mul_hi_u32 v55, v5, v55
	v_add_nc_u32_e32 v5, v5, v55
	s_delay_alu instid0(VALU_DEP_1) | instskip(NEXT) | instid1(VALU_DEP_1)
	v_mul_hi_u32 v5, v54, v5
	v_mul_lo_u32 v55, v5, v56
	s_delay_alu instid0(VALU_DEP_1) | instskip(NEXT) | instid1(VALU_DEP_1)
	v_dual_sub_nc_u32 v54, v54, v55 :: v_dual_add_nc_u32 v55, 1, v5
	v_sub_nc_u32_e32 v57, v54, v56
	v_cmp_ge_u32_e32 vcc_lo, v54, v56
	s_delay_alu instid0(VALU_DEP_2) | instskip(NEXT) | instid1(VALU_DEP_1)
	v_dual_cndmask_b32 v54, v54, v57 :: v_dual_cndmask_b32 v5, v5, v55
	v_cmp_ge_u32_e32 vcc_lo, v54, v56
	s_delay_alu instid0(VALU_DEP_2) | instskip(NEXT) | instid1(VALU_DEP_1)
	v_add_nc_u32_e32 v55, 1, v5
	v_cndmask_b32_e32 v60, v5, v55, vcc_lo
	s_branch .LBB69_3
.LBB69_34:
	s_mov_b32 s20, 0
.LBB69_35:
	s_delay_alu instid0(SALU_CYCLE_1)
	s_and_not1_b32 vcc_lo, exec_lo, s20
	s_cbranch_vccnz .LBB69_55
; %bb.36:
	v_min_i64 v[26:27], 0x10000, s[14:15]
	v_dual_mov_b32 v28, 0 :: v_dual_lshlrev_b32 v2, 2, v0
	s_mov_b32 s2, exec_lo
	s_delay_alu instid0(VALU_DEP_1) | instskip(SKIP_1) | instid1(VALU_DEP_1)
	v_mov_b32_e32 v3, v28
	s_wait_xcnt 0x0
	v_cmpx_lt_i64_e64 v[2:3], v[26:27]
	s_cbranch_execz .LBB69_55
; %bb.37:
	s_load_b32 s0, s[0:1], 0xc64
	v_dual_mov_b32 v1, v28 :: v_dual_lshlrev_b32 v30, 5, v0
	v_mov_b32_e32 v31, v28
	s_mov_b32 s3, 0
	s_delay_alu instid0(SALU_CYCLE_1) | instskip(SKIP_4) | instid1(SALU_CYCLE_1)
	s_mov_b32 s13, s3
	s_wait_xcnt 0x0
	s_mov_b32 s1, s3
	s_wait_kmcnt 0x0
	s_and_b32 s2, s0, 0xffff
	s_lshl_b32 s12, s2, 5
	s_branch .LBB69_39
.LBB69_38:                              ;   in Loop: Header=BB69_39 Depth=1
	s_or_b32 exec_lo, exec_lo, s0
	s_wait_loadcnt 0x0
	v_mad_nc_u64_u32 v[8:9], v18, s8, v[8:9]
	v_mad_nc_u64_u32 v[6:7], v34, s8, v[6:7]
	v_mad_nc_u64_u32 v[2:3], v20, s8, v[2:3]
	v_mad_nc_u64_u32 v[4:5], v10, s8, v[4:5]
	v_add_nc_u64_e32 v[0:1], s[2:3], v[0:1]
	s_add_nc_u64 s[6:7], s[6:7], s[12:13]
	s_add_nc_u64 s[10:11], s[10:11], s[12:13]
	;; [unrolled: 1-line block ×3, first 2 shown]
	s_delay_alu instid0(VALU_DEP_1)
	v_lshlrev_b64_e32 v[12:13], 2, v[0:1]
	v_mad_u32 v9, v19, s8, v9
	v_mad_u32 v7, v35, s8, v7
	;; [unrolled: 1-line block ×4, first 2 shown]
	v_cmp_ge_i64_e32 vcc_lo, v[12:13], v[26:27]
	v_mad_u32 v9, v18, s9, v9
	v_mad_u32 v7, v34, s9, v7
	;; [unrolled: 1-line block ×4, first 2 shown]
	s_or_b32 s1, vcc_lo, s1
	s_clause 0x1
	global_store_b128 v[32:33], v[6:9], off
	global_store_b128 v[32:33], v[2:5], off offset:16
	s_wait_xcnt 0x0
	s_and_not1_b32 exec_lo, exec_lo, s1
	s_cbranch_execz .LBB69_55
.LBB69_39:                              ; =>This Inner Loop Header: Depth=1
	v_add_nc_u64_e32 v[34:35], s[4:5], v[30:31]
	v_add_nc_u64_e32 v[36:37], s[6:7], v[30:31]
	;; [unrolled: 1-line block ×3, first 2 shown]
	s_mov_b32 s0, exec_lo
	global_load_b128 v[18:21], v[34:35], off
	global_load_b128 v[22:25], v[36:37], off
	global_load_b128 v[10:13], v[34:35], off offset:16
	global_load_b128 v[14:17], v[36:37], off offset:16
	s_clause 0x1
	global_load_b128 v[2:5], v[32:33], off offset:16
	global_load_b128 v[6:9], v[32:33], off
                                        ; implicit-def: $vgpr34_vgpr35
	s_wait_loadcnt 0x4
	v_or_b32_e32 v29, v19, v23
	s_wait_xcnt 0x0
	s_delay_alu instid0(VALU_DEP_1)
	v_cmpx_ne_u64_e32 0, v[28:29]
	s_xor_b32 s14, exec_lo, s0
	s_cbranch_execz .LBB69_41
; %bb.40:                               ;   in Loop: Header=BB69_39 Depth=1
	v_dual_mov_b32 v37, v28 :: v_dual_ashrrev_i32 v34, 31, v23
	v_dual_mov_b32 v45, v28 :: v_dual_mov_b32 v47, v28
	s_delay_alu instid0(VALU_DEP_2) | instskip(NEXT) | instid1(VALU_DEP_1)
	v_mov_b32_e32 v35, v34
	v_add_nc_u64_e32 v[22:23], v[22:23], v[34:35]
	s_delay_alu instid0(VALU_DEP_1) | instskip(NEXT) | instid1(VALU_DEP_2)
	v_xor_b32_e32 v22, v22, v34
	v_xor_b32_e32 v23, v23, v34
	s_delay_alu instid0(VALU_DEP_2) | instskip(NEXT) | instid1(VALU_DEP_2)
	v_cvt_f32_u32_e32 v29, v22
	v_cvt_f32_u32_e32 v35, v23
	s_delay_alu instid0(VALU_DEP_1) | instskip(NEXT) | instid1(VALU_DEP_1)
	v_fmac_f32_e32 v29, 0x4f800000, v35
	v_rcp_f32_e32 v29, v29
	v_nop
	s_delay_alu instid0(TRANS32_DEP_1) | instskip(NEXT) | instid1(VALU_DEP_1)
	v_mul_f32_e32 v29, 0x5f7ffffc, v29
	v_mul_f32_e32 v35, 0x2f800000, v29
	s_delay_alu instid0(VALU_DEP_1) | instskip(NEXT) | instid1(VALU_DEP_1)
	v_trunc_f32_e32 v35, v35
	v_fmac_f32_e32 v29, 0xcf800000, v35
	v_cvt_u32_f32_e32 v41, v35
	s_delay_alu instid0(VALU_DEP_2) | instskip(NEXT) | instid1(VALU_DEP_1)
	v_cvt_u32_f32_e32 v36, v29
	v_dual_mov_b32 v46, v41 :: v_dual_mov_b32 v40, v36
	v_sub_nc_u64_e32 v[38:39], 0, v[22:23]
	s_delay_alu instid0(VALU_DEP_1) | instskip(NEXT) | instid1(VALU_DEP_1)
	v_mul_u64_e32 v[42:43], v[38:39], v[40:41]
	v_dual_mov_b32 v44, v43 :: v_dual_mov_b32 v43, v28
	s_delay_alu instid0(VALU_DEP_1) | instskip(NEXT) | instid1(VALU_DEP_2)
	v_mul_u64_e32 v[48:49], v[36:37], v[44:45]
	v_mul_u64_e32 v[50:51], v[46:47], v[42:43]
	;; [unrolled: 1-line block ×3, first 2 shown]
	v_mul_hi_u32 v42, v36, v42
	s_delay_alu instid0(VALU_DEP_1) | instskip(SKIP_1) | instid1(VALU_DEP_2)
	v_add_nc_u64_e32 v[42:43], v[42:43], v[48:49]
	v_ashrrev_i32_e32 v48, 31, v19
	v_add_co_u32 v29, vcc_lo, v42, v50
	s_delay_alu instid0(VALU_DEP_3) | instskip(SKIP_1) | instid1(VALU_DEP_1)
	v_add_co_ci_u32_e32 v46, vcc_lo, v43, v51, vcc_lo
	v_add_co_ci_u32_e32 v45, vcc_lo, 0, v45, vcc_lo
	v_add_nc_u64_e32 v[42:43], v[46:47], v[44:45]
	s_delay_alu instid0(VALU_DEP_1) | instskip(NEXT) | instid1(VALU_DEP_1)
	v_add_co_u32 v36, vcc_lo, v36, v42
	v_add_co_ci_u32_e64 v40, null, v41, v43, vcc_lo
	v_dual_mov_b32 v43, v28 :: v_dual_mov_b32 v41, v28
	s_delay_alu instid0(VALU_DEP_2) | instskip(NEXT) | instid1(VALU_DEP_1)
	v_mov_b32_e32 v37, v40
	v_mul_u64_e32 v[38:39], v[38:39], v[36:37]
	s_delay_alu instid0(VALU_DEP_1) | instskip(NEXT) | instid1(VALU_DEP_2)
	v_dual_mov_b32 v37, v28 :: v_dual_mov_b32 v42, v39
	v_dual_mov_b32 v46, v38 :: v_dual_mov_b32 v39, v28
	v_mul_hi_u32 v38, v36, v38
	s_delay_alu instid0(VALU_DEP_3) | instskip(NEXT) | instid1(VALU_DEP_3)
	v_mul_u64_e32 v[44:45], v[36:37], v[42:43]
	v_mul_u64_e32 v[46:47], v[40:41], v[46:47]
	;; [unrolled: 1-line block ×3, first 2 shown]
	s_delay_alu instid0(VALU_DEP_3) | instskip(SKIP_1) | instid1(VALU_DEP_2)
	v_add_nc_u64_e32 v[38:39], v[38:39], v[44:45]
	v_dual_mov_b32 v45, v28 :: v_dual_mov_b32 v49, v48
	v_add_co_u32 v29, vcc_lo, v38, v46
	s_delay_alu instid0(VALU_DEP_3) | instskip(SKIP_1) | instid1(VALU_DEP_1)
	v_add_co_ci_u32_e32 v44, vcc_lo, v39, v47, vcc_lo
	v_add_co_ci_u32_e32 v43, vcc_lo, 0, v43, vcc_lo
	v_add_nc_u64_e32 v[38:39], v[44:45], v[42:43]
	v_mov_b32_e32 v43, v28
	v_add_nc_u64_e32 v[18:19], v[18:19], v[48:49]
	s_delay_alu instid0(VALU_DEP_3) | instskip(NEXT) | instid1(VALU_DEP_2)
	v_add_co_u32 v38, vcc_lo, v36, v38
	v_xor_b32_e32 v42, v18, v48
	v_add_co_ci_u32_e64 v36, null, v40, v39, vcc_lo
	s_delay_alu instid0(VALU_DEP_4) | instskip(NEXT) | instid1(VALU_DEP_2)
	v_dual_mov_b32 v39, v28 :: v_dual_bitop2_b32 v40, v19, v48 bitop3:0x14
	v_mul_u64_e32 v[44:45], v[42:43], v[36:37]
	s_delay_alu instid0(VALU_DEP_2) | instskip(SKIP_1) | instid1(VALU_DEP_1)
	v_mul_u64_e32 v[18:19], v[40:41], v[38:39]
	v_mul_hi_u32 v38, v42, v38
	v_add_nc_u64_e32 v[38:39], v[38:39], v[44:45]
	v_mov_b32_e32 v45, v28
	v_mul_u64_e32 v[36:37], v[40:41], v[36:37]
	s_delay_alu instid0(VALU_DEP_3) | instskip(NEXT) | instid1(VALU_DEP_4)
	v_add_co_u32 v18, vcc_lo, v38, v18
	v_add_co_ci_u32_e32 v44, vcc_lo, v39, v19, vcc_lo
	s_delay_alu instid0(VALU_DEP_3) | instskip(NEXT) | instid1(VALU_DEP_1)
	v_add_co_ci_u32_e32 v37, vcc_lo, 0, v37, vcc_lo
	v_add_nc_u64_e32 v[18:19], v[44:45], v[36:37]
	s_delay_alu instid0(VALU_DEP_1) | instskip(SKIP_1) | instid1(VALU_DEP_2)
	v_mul_u64_e32 v[36:37], v[22:23], v[18:19]
	v_add_nc_u64_e32 v[38:39], 1, v[18:19]
	v_sub_nc_u32_e32 v29, v40, v37
	s_delay_alu instid0(VALU_DEP_3) | instskip(NEXT) | instid1(VALU_DEP_1)
	v_sub_co_u32 v35, vcc_lo, v42, v36
	v_sub_co_ci_u32_e64 v40, null, v40, v37, vcc_lo
	s_delay_alu instid0(VALU_DEP_3) | instskip(NEXT) | instid1(VALU_DEP_3)
	v_sub_co_ci_u32_e64 v29, null, v29, v23, vcc_lo
	v_sub_co_u32 v36, s0, v35, v22
	s_delay_alu instid0(VALU_DEP_1) | instskip(NEXT) | instid1(VALU_DEP_2)
	v_subrev_co_ci_u32_e64 v29, null, 0, v29, s0
	v_cmp_ge_u32_e32 vcc_lo, v36, v22
	v_cndmask_b32_e64 v36, 0, -1, vcc_lo
	s_delay_alu instid0(VALU_DEP_3)
	v_cmp_ge_u32_e32 vcc_lo, v29, v23
	v_cndmask_b32_e64 v37, 0, -1, vcc_lo
	v_cmp_ge_u32_e32 vcc_lo, v35, v22
	v_cndmask_b32_e64 v22, 0, -1, vcc_lo
	;; [unrolled: 2-line block ×3, first 2 shown]
	v_cmp_eq_u32_e32 vcc_lo, v29, v23
	v_cndmask_b32_e32 v29, v37, v36, vcc_lo
	v_cmp_eq_u32_e32 vcc_lo, v40, v23
	v_add_nc_u64_e32 v[36:37], 2, v[18:19]
	v_cndmask_b32_e32 v22, v35, v22, vcc_lo
	s_delay_alu instid0(VALU_DEP_4) | instskip(NEXT) | instid1(VALU_DEP_2)
	v_cmp_ne_u32_e32 vcc_lo, 0, v29
	v_cmp_ne_u32_e64 s0, 0, v22
	s_delay_alu instid0(VALU_DEP_4) | instskip(NEXT) | instid1(VALU_DEP_1)
	v_dual_cndmask_b32 v23, v39, v37, vcc_lo :: v_dual_cndmask_b32 v29, v38, v36, vcc_lo
	v_dual_cndmask_b32 v19, v19, v23, s0 :: v_dual_bitop2_b32 v22, v48, v34 bitop3:0x14
	s_delay_alu instid0(VALU_DEP_2) | instskip(NEXT) | instid1(VALU_DEP_2)
	v_cndmask_b32_e64 v18, v18, v29, s0
	v_dual_mov_b32 v23, v22 :: v_dual_bitop2_b32 v19, v19, v22 bitop3:0x14
	s_delay_alu instid0(VALU_DEP_2) | instskip(NEXT) | instid1(VALU_DEP_1)
	v_xor_b32_e32 v18, v18, v22
	v_sub_nc_u64_e32 v[34:35], v[18:19], v[22:23]
.LBB69_41:                              ;   in Loop: Header=BB69_39 Depth=1
	s_and_not1_saveexec_b32 s0, s14
	s_cbranch_execz .LBB69_43
; %bb.42:                               ;   in Loop: Header=BB69_39 Depth=1
	v_cvt_f32_u32_e32 v19, v22
	v_dual_sub_nc_u32 v23, 0, v22 :: v_dual_mov_b32 v35, v28
	s_delay_alu instid0(VALU_DEP_2) | instskip(SKIP_1) | instid1(TRANS32_DEP_1)
	v_rcp_iflag_f32_e32 v19, v19
	v_nop
	v_mul_f32_e32 v19, 0x4f7ffffe, v19
	s_delay_alu instid0(VALU_DEP_1) | instskip(NEXT) | instid1(VALU_DEP_1)
	v_cvt_u32_f32_e32 v19, v19
	v_mul_lo_u32 v23, v23, v19
	s_delay_alu instid0(VALU_DEP_1) | instskip(NEXT) | instid1(VALU_DEP_1)
	v_mul_hi_u32 v23, v19, v23
	v_add_nc_u32_e32 v19, v19, v23
	s_delay_alu instid0(VALU_DEP_1) | instskip(NEXT) | instid1(VALU_DEP_1)
	v_mul_hi_u32 v19, v18, v19
	v_mul_lo_u32 v23, v19, v22
	s_delay_alu instid0(VALU_DEP_1) | instskip(NEXT) | instid1(VALU_DEP_1)
	v_sub_nc_u32_e32 v18, v18, v23
	v_dual_add_nc_u32 v23, 1, v19 :: v_dual_sub_nc_u32 v29, v18, v22
	v_cmp_ge_u32_e32 vcc_lo, v18, v22
	s_delay_alu instid0(VALU_DEP_2) | instskip(NEXT) | instid1(VALU_DEP_1)
	v_dual_cndmask_b32 v18, v18, v29 :: v_dual_cndmask_b32 v19, v19, v23
	v_cmp_ge_u32_e32 vcc_lo, v18, v22
	s_delay_alu instid0(VALU_DEP_2) | instskip(NEXT) | instid1(VALU_DEP_1)
	v_add_nc_u32_e32 v23, 1, v19
	v_cndmask_b32_e32 v34, v19, v23, vcc_lo
.LBB69_43:                              ;   in Loop: Header=BB69_39 Depth=1
	s_or_b32 exec_lo, exec_lo, s0
	v_or_b32_e32 v29, v21, v25
                                        ; implicit-def: $vgpr18_vgpr19
	s_mov_b32 s0, exec_lo
	s_delay_alu instid0(VALU_DEP_1)
	v_cmpx_ne_u64_e32 0, v[28:29]
	s_xor_b32 s14, exec_lo, s0
	s_cbranch_execz .LBB69_45
; %bb.44:                               ;   in Loop: Header=BB69_39 Depth=1
	v_dual_mov_b32 v43, v28 :: v_dual_ashrrev_i32 v18, 31, v25
	s_delay_alu instid0(VALU_DEP_1) | instskip(NEXT) | instid1(VALU_DEP_1)
	v_dual_mov_b32 v45, v28 :: v_dual_mov_b32 v19, v18
	v_add_nc_u64_e32 v[22:23], v[24:25], v[18:19]
	s_delay_alu instid0(VALU_DEP_1) | instskip(NEXT) | instid1(VALU_DEP_2)
	v_xor_b32_e32 v22, v22, v18
	v_xor_b32_e32 v23, v23, v18
	s_delay_alu instid0(VALU_DEP_2) | instskip(NEXT) | instid1(VALU_DEP_2)
	v_cvt_f32_u32_e32 v19, v22
	v_cvt_f32_u32_e32 v24, v23
	s_delay_alu instid0(VALU_DEP_1) | instskip(NEXT) | instid1(VALU_DEP_1)
	v_fmac_f32_e32 v19, 0x4f800000, v24
	v_rcp_f32_e32 v19, v19
	v_nop
	s_delay_alu instid0(TRANS32_DEP_1) | instskip(NEXT) | instid1(VALU_DEP_1)
	v_mul_f32_e32 v19, 0x5f7ffffc, v19
	v_mul_f32_e32 v24, 0x2f800000, v19
	s_delay_alu instid0(VALU_DEP_1) | instskip(NEXT) | instid1(VALU_DEP_1)
	v_trunc_f32_e32 v25, v24
	v_cvt_u32_f32_e32 v39, v25
	v_fmac_f32_e32 v19, 0xcf800000, v25
	s_delay_alu instid0(VALU_DEP_2) | instskip(NEXT) | instid1(VALU_DEP_2)
	v_dual_mov_b32 v25, v28 :: v_dual_mov_b32 v44, v39
	v_cvt_u32_f32_e32 v24, v19
	s_delay_alu instid0(VALU_DEP_1) | instskip(SKIP_1) | instid1(VALU_DEP_1)
	v_mov_b32_e32 v38, v24
	v_sub_nc_u64_e32 v[36:37], 0, v[22:23]
	v_mul_u64_e32 v[40:41], v[36:37], v[38:39]
	s_delay_alu instid0(VALU_DEP_1) | instskip(NEXT) | instid1(VALU_DEP_1)
	v_dual_mov_b32 v42, v41 :: v_dual_mov_b32 v41, v28
	v_mul_u64_e32 v[46:47], v[24:25], v[42:43]
	s_delay_alu instid0(VALU_DEP_2) | instskip(SKIP_2) | instid1(VALU_DEP_1)
	v_mul_u64_e32 v[48:49], v[44:45], v[40:41]
	v_mul_u64_e32 v[42:43], v[44:45], v[42:43]
	v_mul_hi_u32 v40, v24, v40
	v_add_nc_u64_e32 v[40:41], v[40:41], v[46:47]
	v_ashrrev_i32_e32 v46, 31, v21
	s_delay_alu instid0(VALU_DEP_2) | instskip(NEXT) | instid1(VALU_DEP_3)
	v_add_co_u32 v19, vcc_lo, v40, v48
	v_add_co_ci_u32_e32 v44, vcc_lo, v41, v49, vcc_lo
	v_add_co_ci_u32_e32 v43, vcc_lo, 0, v43, vcc_lo
	s_delay_alu instid0(VALU_DEP_1) | instskip(NEXT) | instid1(VALU_DEP_1)
	v_add_nc_u64_e32 v[40:41], v[44:45], v[42:43]
	v_add_co_u32 v24, vcc_lo, v24, v40
	s_delay_alu instid0(VALU_DEP_1) | instskip(SKIP_1) | instid1(VALU_DEP_2)
	v_add_co_ci_u32_e64 v38, null, v39, v41, vcc_lo
	v_dual_mov_b32 v41, v28 :: v_dual_mov_b32 v39, v28
	v_mov_b32_e32 v25, v38
	s_delay_alu instid0(VALU_DEP_1) | instskip(NEXT) | instid1(VALU_DEP_1)
	v_mul_u64_e32 v[36:37], v[36:37], v[24:25]
	v_dual_mov_b32 v25, v28 :: v_dual_mov_b32 v40, v37
	s_delay_alu instid0(VALU_DEP_2) | instskip(SKIP_1) | instid1(VALU_DEP_3)
	v_dual_mov_b32 v44, v36 :: v_dual_mov_b32 v37, v28
	v_mul_hi_u32 v36, v24, v36
	v_mul_u64_e32 v[42:43], v[24:25], v[40:41]
	s_delay_alu instid0(VALU_DEP_3) | instskip(SKIP_1) | instid1(VALU_DEP_3)
	v_mul_u64_e32 v[44:45], v[38:39], v[44:45]
	v_mul_u64_e32 v[40:41], v[38:39], v[40:41]
	v_add_nc_u64_e32 v[36:37], v[36:37], v[42:43]
	v_dual_mov_b32 v43, v28 :: v_dual_mov_b32 v47, v46
	v_xor_b32_e32 v18, v46, v18
	s_delay_alu instid0(VALU_DEP_3) | instskip(NEXT) | instid1(VALU_DEP_4)
	v_add_co_u32 v19, vcc_lo, v36, v44
	v_add_co_ci_u32_e32 v42, vcc_lo, v37, v45, vcc_lo
	v_add_co_ci_u32_e32 v41, vcc_lo, 0, v41, vcc_lo
	s_delay_alu instid0(VALU_DEP_1) | instskip(SKIP_2) | instid1(VALU_DEP_3)
	v_add_nc_u64_e32 v[36:37], v[42:43], v[40:41]
	v_mov_b32_e32 v41, v28
	v_add_nc_u64_e32 v[20:21], v[20:21], v[46:47]
	v_add_co_u32 v36, vcc_lo, v24, v36
	s_delay_alu instid0(VALU_DEP_1) | instskip(NEXT) | instid1(VALU_DEP_3)
	v_add_co_ci_u32_e64 v24, null, v38, v37, vcc_lo
	v_dual_mov_b32 v37, v28 :: v_dual_bitop2_b32 v38, v21, v46 bitop3:0x14
	s_delay_alu instid0(VALU_DEP_4) | instskip(NEXT) | instid1(VALU_DEP_2)
	v_xor_b32_e32 v40, v20, v46
	v_mul_u64_e32 v[20:21], v[38:39], v[36:37]
	s_delay_alu instid0(VALU_DEP_2) | instskip(SKIP_2) | instid1(VALU_DEP_1)
	v_mul_u64_e32 v[42:43], v[40:41], v[24:25]
	v_mul_u64_e32 v[24:25], v[38:39], v[24:25]
	v_mul_hi_u32 v36, v40, v36
	v_add_nc_u64_e32 v[36:37], v[36:37], v[42:43]
	v_mov_b32_e32 v43, v28
	s_delay_alu instid0(VALU_DEP_2) | instskip(NEXT) | instid1(VALU_DEP_3)
	v_add_co_u32 v19, vcc_lo, v36, v20
	v_add_co_ci_u32_e32 v42, vcc_lo, v37, v21, vcc_lo
	v_add_co_ci_u32_e32 v25, vcc_lo, 0, v25, vcc_lo
	s_delay_alu instid0(VALU_DEP_1) | instskip(NEXT) | instid1(VALU_DEP_1)
	v_add_nc_u64_e32 v[20:21], v[42:43], v[24:25]
	v_mul_u64_e32 v[24:25], v[22:23], v[20:21]
	v_add_nc_u64_e32 v[36:37], 1, v[20:21]
	s_delay_alu instid0(VALU_DEP_2) | instskip(NEXT) | instid1(VALU_DEP_3)
	v_sub_nc_u32_e32 v19, v38, v25
	v_sub_co_u32 v24, vcc_lo, v40, v24
	s_delay_alu instid0(VALU_DEP_1) | instskip(NEXT) | instid1(VALU_DEP_3)
	v_sub_co_ci_u32_e64 v38, null, v38, v25, vcc_lo
	v_sub_co_ci_u32_e64 v19, null, v19, v23, vcc_lo
	s_delay_alu instid0(VALU_DEP_3) | instskip(NEXT) | instid1(VALU_DEP_1)
	v_sub_co_u32 v29, s0, v24, v22
	v_subrev_co_ci_u32_e64 v19, null, 0, v19, s0
	s_delay_alu instid0(VALU_DEP_2) | instskip(SKIP_1) | instid1(VALU_DEP_3)
	v_cmp_ge_u32_e32 vcc_lo, v29, v22
	v_cndmask_b32_e64 v25, 0, -1, vcc_lo
	v_cmp_ge_u32_e32 vcc_lo, v19, v23
	v_cndmask_b32_e64 v29, 0, -1, vcc_lo
	;; [unrolled: 2-line block ×4, first 2 shown]
	v_cmp_eq_u32_e32 vcc_lo, v19, v23
	v_cndmask_b32_e32 v19, v29, v25, vcc_lo
	v_cmp_eq_u32_e32 vcc_lo, v38, v23
	v_add_nc_u64_e32 v[24:25], 2, v[20:21]
	v_cndmask_b32_e32 v22, v39, v22, vcc_lo
	s_delay_alu instid0(VALU_DEP_4) | instskip(NEXT) | instid1(VALU_DEP_3)
	v_cmp_ne_u32_e32 vcc_lo, 0, v19
	v_cndmask_b32_e32 v19, v37, v25, vcc_lo
	s_delay_alu instid0(VALU_DEP_3) | instskip(SKIP_1) | instid1(VALU_DEP_1)
	v_cmp_ne_u32_e64 s0, 0, v22
	v_cndmask_b32_e32 v22, v36, v24, vcc_lo
                                        ; implicit-def: $vgpr24_vgpr25
	v_dual_cndmask_b32 v21, v21, v19, s0 :: v_dual_cndmask_b32 v20, v20, v22, s0
	s_delay_alu instid0(VALU_DEP_1) | instskip(NEXT) | instid1(VALU_DEP_2)
	v_dual_mov_b32 v19, v18 :: v_dual_bitop2_b32 v21, v21, v18 bitop3:0x14
	v_xor_b32_e32 v20, v20, v18
	s_delay_alu instid0(VALU_DEP_1)
	v_sub_nc_u64_e32 v[18:19], v[20:21], v[18:19]
                                        ; implicit-def: $vgpr20_vgpr21
.LBB69_45:                              ;   in Loop: Header=BB69_39 Depth=1
	s_and_not1_saveexec_b32 s0, s14
	s_cbranch_execz .LBB69_47
; %bb.46:                               ;   in Loop: Header=BB69_39 Depth=1
	v_cvt_f32_u32_e32 v18, v24
	v_sub_nc_u32_e32 v19, 0, v24
	s_delay_alu instid0(VALU_DEP_2) | instskip(SKIP_1) | instid1(TRANS32_DEP_1)
	v_rcp_iflag_f32_e32 v18, v18
	v_nop
	v_mul_f32_e32 v18, 0x4f7ffffe, v18
	s_delay_alu instid0(VALU_DEP_1) | instskip(NEXT) | instid1(VALU_DEP_1)
	v_cvt_u32_f32_e32 v18, v18
	v_mul_lo_u32 v19, v19, v18
	s_delay_alu instid0(VALU_DEP_1) | instskip(NEXT) | instid1(VALU_DEP_1)
	v_mul_hi_u32 v19, v18, v19
	v_add_nc_u32_e32 v18, v18, v19
	s_delay_alu instid0(VALU_DEP_1) | instskip(NEXT) | instid1(VALU_DEP_1)
	v_mul_hi_u32 v18, v20, v18
	v_mul_lo_u32 v19, v18, v24
	s_delay_alu instid0(VALU_DEP_1) | instskip(NEXT) | instid1(VALU_DEP_1)
	v_dual_sub_nc_u32 v19, v20, v19 :: v_dual_add_nc_u32 v20, 1, v18
	v_sub_nc_u32_e32 v21, v19, v24
	v_cmp_ge_u32_e32 vcc_lo, v19, v24
	s_delay_alu instid0(VALU_DEP_2) | instskip(NEXT) | instid1(VALU_DEP_1)
	v_dual_cndmask_b32 v19, v19, v21 :: v_dual_cndmask_b32 v18, v18, v20
	v_cmp_ge_u32_e32 vcc_lo, v19, v24
	s_delay_alu instid0(VALU_DEP_2) | instskip(NEXT) | instid1(VALU_DEP_1)
	v_dual_mov_b32 v19, v28 :: v_dual_add_nc_u32 v20, 1, v18
	v_cndmask_b32_e32 v18, v18, v20, vcc_lo
.LBB69_47:                              ;   in Loop: Header=BB69_39 Depth=1
	s_or_b32 exec_lo, exec_lo, s0
	s_wait_loadcnt 0x2
	v_or_b32_e32 v29, v11, v15
                                        ; implicit-def: $vgpr20_vgpr21
	s_mov_b32 s0, exec_lo
	s_delay_alu instid0(VALU_DEP_1)
	v_cmpx_ne_u64_e32 0, v[28:29]
	s_xor_b32 s14, exec_lo, s0
	s_cbranch_execz .LBB69_49
; %bb.48:                               ;   in Loop: Header=BB69_39 Depth=1
	v_dual_mov_b32 v25, v28 :: v_dual_ashrrev_i32 v20, 31, v15
	v_dual_mov_b32 v43, v28 :: v_dual_mov_b32 v45, v28
	s_delay_alu instid0(VALU_DEP_2) | instskip(NEXT) | instid1(VALU_DEP_1)
	v_mov_b32_e32 v21, v20
	v_add_nc_u64_e32 v[22:23], v[14:15], v[20:21]
	s_delay_alu instid0(VALU_DEP_1) | instskip(NEXT) | instid1(VALU_DEP_2)
	v_xor_b32_e32 v22, v22, v20
	v_xor_b32_e32 v23, v23, v20
	s_delay_alu instid0(VALU_DEP_2) | instskip(NEXT) | instid1(VALU_DEP_2)
	v_cvt_f32_u32_e32 v15, v22
	v_cvt_f32_u32_e32 v21, v23
	s_delay_alu instid0(VALU_DEP_1) | instskip(NEXT) | instid1(VALU_DEP_1)
	v_fmac_f32_e32 v15, 0x4f800000, v21
	v_rcp_f32_e32 v15, v15
	v_nop
	s_delay_alu instid0(TRANS32_DEP_1) | instskip(NEXT) | instid1(VALU_DEP_1)
	v_mul_f32_e32 v15, 0x5f7ffffc, v15
	v_mul_f32_e32 v21, 0x2f800000, v15
	s_delay_alu instid0(VALU_DEP_1) | instskip(NEXT) | instid1(VALU_DEP_1)
	v_trunc_f32_e32 v21, v21
	v_fmac_f32_e32 v15, 0xcf800000, v21
	v_cvt_u32_f32_e32 v39, v21
	s_delay_alu instid0(VALU_DEP_2) | instskip(NEXT) | instid1(VALU_DEP_1)
	v_cvt_u32_f32_e32 v24, v15
	v_dual_mov_b32 v44, v39 :: v_dual_mov_b32 v38, v24
	v_sub_nc_u64_e32 v[36:37], 0, v[22:23]
	s_delay_alu instid0(VALU_DEP_1) | instskip(NEXT) | instid1(VALU_DEP_1)
	v_mul_u64_e32 v[40:41], v[36:37], v[38:39]
	v_dual_mov_b32 v42, v41 :: v_dual_mov_b32 v41, v28
	s_delay_alu instid0(VALU_DEP_1) | instskip(NEXT) | instid1(VALU_DEP_2)
	v_mul_u64_e32 v[46:47], v[24:25], v[42:43]
	v_mul_u64_e32 v[48:49], v[44:45], v[40:41]
	;; [unrolled: 1-line block ×3, first 2 shown]
	v_mul_hi_u32 v40, v24, v40
	s_delay_alu instid0(VALU_DEP_1) | instskip(SKIP_1) | instid1(VALU_DEP_2)
	v_add_nc_u64_e32 v[40:41], v[40:41], v[46:47]
	v_ashrrev_i32_e32 v46, 31, v11
	v_add_co_u32 v15, vcc_lo, v40, v48
	s_delay_alu instid0(VALU_DEP_3) | instskip(SKIP_1) | instid1(VALU_DEP_1)
	v_add_co_ci_u32_e32 v44, vcc_lo, v41, v49, vcc_lo
	v_add_co_ci_u32_e32 v43, vcc_lo, 0, v43, vcc_lo
	v_add_nc_u64_e32 v[40:41], v[44:45], v[42:43]
	s_delay_alu instid0(VALU_DEP_1) | instskip(NEXT) | instid1(VALU_DEP_1)
	v_add_co_u32 v24, vcc_lo, v24, v40
	v_add_co_ci_u32_e64 v38, null, v39, v41, vcc_lo
	v_dual_mov_b32 v41, v28 :: v_dual_mov_b32 v39, v28
	s_delay_alu instid0(VALU_DEP_2) | instskip(NEXT) | instid1(VALU_DEP_1)
	v_mov_b32_e32 v25, v38
	v_mul_u64_e32 v[36:37], v[36:37], v[24:25]
	s_delay_alu instid0(VALU_DEP_1) | instskip(NEXT) | instid1(VALU_DEP_2)
	v_dual_mov_b32 v25, v28 :: v_dual_mov_b32 v40, v37
	v_dual_mov_b32 v44, v36 :: v_dual_mov_b32 v37, v28
	v_mul_hi_u32 v36, v24, v36
	s_delay_alu instid0(VALU_DEP_3) | instskip(NEXT) | instid1(VALU_DEP_3)
	v_mul_u64_e32 v[42:43], v[24:25], v[40:41]
	v_mul_u64_e32 v[44:45], v[38:39], v[44:45]
	;; [unrolled: 1-line block ×3, first 2 shown]
	s_delay_alu instid0(VALU_DEP_3) | instskip(SKIP_1) | instid1(VALU_DEP_2)
	v_add_nc_u64_e32 v[36:37], v[36:37], v[42:43]
	v_dual_mov_b32 v43, v28 :: v_dual_mov_b32 v47, v46
	v_add_co_u32 v15, vcc_lo, v36, v44
	s_delay_alu instid0(VALU_DEP_3) | instskip(SKIP_1) | instid1(VALU_DEP_4)
	v_add_co_ci_u32_e32 v42, vcc_lo, v37, v45, vcc_lo
	v_add_co_ci_u32_e32 v41, vcc_lo, 0, v41, vcc_lo
	v_add_nc_u64_e32 v[36:37], v[10:11], v[46:47]
	s_delay_alu instid0(VALU_DEP_2) | instskip(NEXT) | instid1(VALU_DEP_2)
	v_add_nc_u64_e32 v[40:41], v[42:43], v[40:41]
	v_xor_b32_e32 v42, v36, v46
	s_delay_alu instid0(VALU_DEP_2) | instskip(NEXT) | instid1(VALU_DEP_1)
	v_add_co_u32 v40, vcc_lo, v24, v40
	v_add_co_ci_u32_e64 v24, null, v38, v41, vcc_lo
	v_dual_mov_b32 v41, v28 :: v_dual_bitop2_b32 v38, v37, v46 bitop3:0x14
	s_delay_alu instid0(VALU_DEP_2) | instskip(NEXT) | instid1(VALU_DEP_2)
	v_mul_u64_e32 v[44:45], v[42:43], v[24:25]
	v_mul_u64_e32 v[36:37], v[38:39], v[40:41]
	;; [unrolled: 1-line block ×3, first 2 shown]
	v_mul_hi_u32 v40, v42, v40
	s_delay_alu instid0(VALU_DEP_1) | instskip(SKIP_1) | instid1(VALU_DEP_2)
	v_add_nc_u64_e32 v[40:41], v[40:41], v[44:45]
	v_mov_b32_e32 v45, v28
	v_add_co_u32 v11, vcc_lo, v40, v36
	s_delay_alu instid0(VALU_DEP_3) | instskip(SKIP_1) | instid1(VALU_DEP_1)
	v_add_co_ci_u32_e32 v44, vcc_lo, v41, v37, vcc_lo
	v_add_co_ci_u32_e32 v25, vcc_lo, 0, v25, vcc_lo
	v_add_nc_u64_e32 v[24:25], v[44:45], v[24:25]
	s_delay_alu instid0(VALU_DEP_1) | instskip(NEXT) | instid1(VALU_DEP_1)
	v_mul_u64_e32 v[36:37], v[22:23], v[24:25]
	v_sub_nc_u32_e32 v11, v38, v37
	s_delay_alu instid0(VALU_DEP_2) | instskip(NEXT) | instid1(VALU_DEP_1)
	v_sub_co_u32 v15, vcc_lo, v42, v36
	v_sub_co_ci_u32_e64 v29, null, v38, v37, vcc_lo
	s_delay_alu instid0(VALU_DEP_3) | instskip(NEXT) | instid1(VALU_DEP_3)
	v_sub_co_ci_u32_e64 v11, null, v11, v23, vcc_lo
	v_sub_co_u32 v21, s0, v15, v22
	v_add_nc_u64_e32 v[38:39], 1, v[24:25]
	s_delay_alu instid0(VALU_DEP_3) | instskip(NEXT) | instid1(VALU_DEP_3)
	v_subrev_co_ci_u32_e64 v11, null, 0, v11, s0
	v_cmp_ge_u32_e32 vcc_lo, v21, v22
	v_cndmask_b32_e64 v21, 0, -1, vcc_lo
	s_delay_alu instid0(VALU_DEP_3)
	v_cmp_ge_u32_e32 vcc_lo, v11, v23
	v_cndmask_b32_e64 v36, 0, -1, vcc_lo
	v_cmp_ge_u32_e32 vcc_lo, v15, v22
	v_cndmask_b32_e64 v15, 0, -1, vcc_lo
	;; [unrolled: 2-line block ×3, first 2 shown]
	v_cmp_eq_u32_e32 vcc_lo, v11, v23
	v_cndmask_b32_e32 v11, v36, v21, vcc_lo
	v_cmp_eq_u32_e32 vcc_lo, v29, v23
	v_add_nc_u64_e32 v[36:37], 2, v[24:25]
	v_cndmask_b32_e32 v15, v22, v15, vcc_lo
	s_delay_alu instid0(VALU_DEP_4) | instskip(NEXT) | instid1(VALU_DEP_2)
	v_cmp_ne_u32_e32 vcc_lo, 0, v11
	v_cmp_ne_u32_e64 s0, 0, v15
	s_delay_alu instid0(VALU_DEP_4) | instskip(NEXT) | instid1(VALU_DEP_1)
	v_dual_cndmask_b32 v11, v39, v37, vcc_lo :: v_dual_cndmask_b32 v15, v38, v36, vcc_lo
	v_dual_cndmask_b32 v11, v25, v11, s0 :: v_dual_bitop2_b32 v20, v46, v20 bitop3:0x14
	s_delay_alu instid0(VALU_DEP_1) | instskip(NEXT) | instid1(VALU_DEP_1)
	v_dual_cndmask_b32 v15, v24, v15, s0 :: v_dual_bitop2_b32 v23, v11, v20 bitop3:0x14
	v_dual_mov_b32 v21, v20 :: v_dual_bitop2_b32 v22, v15, v20 bitop3:0x14
	s_delay_alu instid0(VALU_DEP_1)
	v_sub_nc_u64_e32 v[20:21], v[22:23], v[20:21]
.LBB69_49:                              ;   in Loop: Header=BB69_39 Depth=1
	s_and_not1_saveexec_b32 s0, s14
	s_cbranch_execz .LBB69_51
; %bb.50:                               ;   in Loop: Header=BB69_39 Depth=1
	v_cvt_f32_u32_e32 v11, v14
	v_dual_sub_nc_u32 v15, 0, v14 :: v_dual_mov_b32 v21, v28
	s_delay_alu instid0(VALU_DEP_2) | instskip(SKIP_1) | instid1(TRANS32_DEP_1)
	v_rcp_iflag_f32_e32 v11, v11
	v_nop
	v_mul_f32_e32 v11, 0x4f7ffffe, v11
	s_delay_alu instid0(VALU_DEP_1) | instskip(NEXT) | instid1(VALU_DEP_1)
	v_cvt_u32_f32_e32 v11, v11
	v_mul_lo_u32 v15, v15, v11
	s_delay_alu instid0(VALU_DEP_1) | instskip(NEXT) | instid1(VALU_DEP_1)
	v_mul_hi_u32 v15, v11, v15
	v_add_nc_u32_e32 v11, v11, v15
	s_delay_alu instid0(VALU_DEP_1) | instskip(NEXT) | instid1(VALU_DEP_1)
	v_mul_hi_u32 v11, v10, v11
	v_mul_lo_u32 v15, v11, v14
	s_delay_alu instid0(VALU_DEP_1) | instskip(NEXT) | instid1(VALU_DEP_1)
	v_sub_nc_u32_e32 v10, v10, v15
	v_dual_add_nc_u32 v15, 1, v11 :: v_dual_sub_nc_u32 v20, v10, v14
	v_cmp_ge_u32_e32 vcc_lo, v10, v14
	s_delay_alu instid0(VALU_DEP_2) | instskip(NEXT) | instid1(VALU_DEP_1)
	v_dual_cndmask_b32 v10, v10, v20 :: v_dual_cndmask_b32 v11, v11, v15
	v_cmp_ge_u32_e32 vcc_lo, v10, v14
	s_delay_alu instid0(VALU_DEP_2) | instskip(NEXT) | instid1(VALU_DEP_1)
	v_add_nc_u32_e32 v15, 1, v11
	v_cndmask_b32_e32 v20, v11, v15, vcc_lo
.LBB69_51:                              ;   in Loop: Header=BB69_39 Depth=1
	s_or_b32 exec_lo, exec_lo, s0
	v_or_b32_e32 v29, v13, v17
                                        ; implicit-def: $vgpr10_vgpr11
	s_mov_b32 s0, exec_lo
	s_delay_alu instid0(VALU_DEP_1)
	v_cmpx_ne_u64_e32 0, v[28:29]
	s_xor_b32 s14, exec_lo, s0
	s_cbranch_execz .LBB69_53
; %bb.52:                               ;   in Loop: Header=BB69_39 Depth=1
	v_dual_mov_b32 v39, v28 :: v_dual_ashrrev_i32 v10, 31, v17
	s_delay_alu instid0(VALU_DEP_1) | instskip(NEXT) | instid1(VALU_DEP_1)
	v_dual_mov_b32 v41, v28 :: v_dual_mov_b32 v11, v10
	v_add_nc_u64_e32 v[14:15], v[16:17], v[10:11]
	s_delay_alu instid0(VALU_DEP_1) | instskip(NEXT) | instid1(VALU_DEP_2)
	v_xor_b32_e32 v14, v14, v10
	v_xor_b32_e32 v15, v15, v10
	s_delay_alu instid0(VALU_DEP_2) | instskip(NEXT) | instid1(VALU_DEP_2)
	v_cvt_f32_u32_e32 v11, v14
	v_cvt_f32_u32_e32 v16, v15
	s_delay_alu instid0(VALU_DEP_1) | instskip(NEXT) | instid1(VALU_DEP_1)
	v_fmac_f32_e32 v11, 0x4f800000, v16
	v_rcp_f32_e32 v11, v11
	v_nop
	s_delay_alu instid0(TRANS32_DEP_1) | instskip(NEXT) | instid1(VALU_DEP_1)
	v_mul_f32_e32 v11, 0x5f7ffffc, v11
	v_mul_f32_e32 v16, 0x2f800000, v11
	s_delay_alu instid0(VALU_DEP_1) | instskip(NEXT) | instid1(VALU_DEP_1)
	v_trunc_f32_e32 v17, v16
	v_cvt_u32_f32_e32 v25, v17
	v_fmac_f32_e32 v11, 0xcf800000, v17
	s_delay_alu instid0(VALU_DEP_2) | instskip(NEXT) | instid1(VALU_DEP_2)
	v_dual_mov_b32 v17, v28 :: v_dual_mov_b32 v40, v25
	v_cvt_u32_f32_e32 v16, v11
	s_delay_alu instid0(VALU_DEP_1) | instskip(SKIP_1) | instid1(VALU_DEP_1)
	v_mov_b32_e32 v24, v16
	v_sub_nc_u64_e32 v[22:23], 0, v[14:15]
	v_mul_u64_e32 v[36:37], v[22:23], v[24:25]
	s_delay_alu instid0(VALU_DEP_1) | instskip(NEXT) | instid1(VALU_DEP_1)
	v_dual_mov_b32 v38, v37 :: v_dual_mov_b32 v37, v28
	v_mul_u64_e32 v[42:43], v[16:17], v[38:39]
	s_delay_alu instid0(VALU_DEP_2) | instskip(SKIP_2) | instid1(VALU_DEP_1)
	v_mul_u64_e32 v[44:45], v[40:41], v[36:37]
	v_mul_u64_e32 v[38:39], v[40:41], v[38:39]
	v_mul_hi_u32 v36, v16, v36
	v_add_nc_u64_e32 v[36:37], v[36:37], v[42:43]
	v_ashrrev_i32_e32 v42, 31, v13
	s_delay_alu instid0(VALU_DEP_2) | instskip(NEXT) | instid1(VALU_DEP_3)
	v_add_co_u32 v11, vcc_lo, v36, v44
	v_add_co_ci_u32_e32 v40, vcc_lo, v37, v45, vcc_lo
	v_add_co_ci_u32_e32 v39, vcc_lo, 0, v39, vcc_lo
	s_delay_alu instid0(VALU_DEP_1) | instskip(NEXT) | instid1(VALU_DEP_1)
	v_add_nc_u64_e32 v[36:37], v[40:41], v[38:39]
	v_add_co_u32 v16, vcc_lo, v16, v36
	s_delay_alu instid0(VALU_DEP_1) | instskip(SKIP_1) | instid1(VALU_DEP_2)
	v_add_co_ci_u32_e64 v24, null, v25, v37, vcc_lo
	v_dual_mov_b32 v37, v28 :: v_dual_mov_b32 v25, v28
	v_mov_b32_e32 v17, v24
	s_delay_alu instid0(VALU_DEP_1) | instskip(NEXT) | instid1(VALU_DEP_1)
	v_mul_u64_e32 v[22:23], v[22:23], v[16:17]
	v_dual_mov_b32 v17, v28 :: v_dual_mov_b32 v36, v23
	s_delay_alu instid0(VALU_DEP_2) | instskip(SKIP_1) | instid1(VALU_DEP_3)
	v_dual_mov_b32 v40, v22 :: v_dual_mov_b32 v23, v28
	v_mul_hi_u32 v22, v16, v22
	v_mul_u64_e32 v[38:39], v[16:17], v[36:37]
	s_delay_alu instid0(VALU_DEP_3) | instskip(SKIP_1) | instid1(VALU_DEP_3)
	v_mul_u64_e32 v[40:41], v[24:25], v[40:41]
	v_mul_u64_e32 v[36:37], v[24:25], v[36:37]
	v_add_nc_u64_e32 v[22:23], v[22:23], v[38:39]
	v_dual_mov_b32 v39, v28 :: v_dual_mov_b32 v43, v42
	v_xor_b32_e32 v10, v42, v10
	s_delay_alu instid0(VALU_DEP_3) | instskip(NEXT) | instid1(VALU_DEP_4)
	v_add_co_u32 v11, vcc_lo, v22, v40
	v_add_co_ci_u32_e32 v38, vcc_lo, v23, v41, vcc_lo
	v_add_co_ci_u32_e32 v37, vcc_lo, 0, v37, vcc_lo
	s_delay_alu instid0(VALU_DEP_1) | instskip(SKIP_2) | instid1(VALU_DEP_3)
	v_add_nc_u64_e32 v[22:23], v[38:39], v[36:37]
	v_mov_b32_e32 v37, v28
	v_add_nc_u64_e32 v[12:13], v[12:13], v[42:43]
	v_add_co_u32 v22, vcc_lo, v16, v22
	s_delay_alu instid0(VALU_DEP_2) | instskip(SKIP_1) | instid1(VALU_DEP_4)
	v_xor_b32_e32 v36, v12, v42
	v_add_co_ci_u32_e64 v16, null, v24, v23, vcc_lo
	v_dual_mov_b32 v23, v28 :: v_dual_bitop2_b32 v24, v13, v42 bitop3:0x14
	s_delay_alu instid0(VALU_DEP_2) | instskip(NEXT) | instid1(VALU_DEP_2)
	v_mul_u64_e32 v[38:39], v[36:37], v[16:17]
	v_mul_u64_e32 v[12:13], v[24:25], v[22:23]
	;; [unrolled: 1-line block ×3, first 2 shown]
	v_mul_hi_u32 v22, v36, v22
	s_delay_alu instid0(VALU_DEP_1) | instskip(SKIP_1) | instid1(VALU_DEP_2)
	v_add_nc_u64_e32 v[22:23], v[22:23], v[38:39]
	v_mov_b32_e32 v39, v28
	v_add_co_u32 v11, vcc_lo, v22, v12
	s_delay_alu instid0(VALU_DEP_3) | instskip(SKIP_1) | instid1(VALU_DEP_1)
	v_add_co_ci_u32_e32 v38, vcc_lo, v23, v13, vcc_lo
	v_add_co_ci_u32_e32 v17, vcc_lo, 0, v17, vcc_lo
	v_add_nc_u64_e32 v[12:13], v[38:39], v[16:17]
	s_delay_alu instid0(VALU_DEP_1) | instskip(NEXT) | instid1(VALU_DEP_1)
	v_mul_u64_e32 v[16:17], v[14:15], v[12:13]
	v_sub_nc_u32_e32 v11, v24, v17
	s_delay_alu instid0(VALU_DEP_2) | instskip(NEXT) | instid1(VALU_DEP_1)
	v_sub_co_u32 v16, vcc_lo, v36, v16
	v_sub_co_ci_u32_e64 v24, null, v24, v17, vcc_lo
	s_delay_alu instid0(VALU_DEP_3) | instskip(NEXT) | instid1(VALU_DEP_3)
	v_sub_co_ci_u32_e64 v11, null, v11, v15, vcc_lo
	v_sub_co_u32 v22, s0, v16, v14
	s_delay_alu instid0(VALU_DEP_1) | instskip(NEXT) | instid1(VALU_DEP_2)
	v_subrev_co_ci_u32_e64 v11, null, 0, v11, s0
	v_cmp_ge_u32_e32 vcc_lo, v22, v14
	v_cndmask_b32_e64 v17, 0, -1, vcc_lo
	s_delay_alu instid0(VALU_DEP_3)
	v_cmp_ge_u32_e32 vcc_lo, v11, v15
	v_cndmask_b32_e64 v22, 0, -1, vcc_lo
	v_cmp_ge_u32_e32 vcc_lo, v16, v14
	v_cndmask_b32_e64 v14, 0, -1, vcc_lo
	;; [unrolled: 2-line block ×3, first 2 shown]
	v_cmp_eq_u32_e32 vcc_lo, v11, v15
	v_cndmask_b32_e32 v11, v22, v17, vcc_lo
	v_cmp_eq_u32_e32 vcc_lo, v24, v15
	v_add_nc_u64_e32 v[16:17], 2, v[12:13]
	v_add_nc_u64_e32 v[22:23], 1, v[12:13]
	v_cndmask_b32_e32 v14, v25, v14, vcc_lo
	v_cmp_ne_u32_e32 vcc_lo, 0, v11
	s_delay_alu instid0(VALU_DEP_2) | instskip(NEXT) | instid1(VALU_DEP_4)
	v_cmp_ne_u32_e64 s0, 0, v14
	v_dual_cndmask_b32 v11, v23, v17 :: v_dual_cndmask_b32 v14, v22, v16
                                        ; implicit-def: $vgpr16_vgpr17
	s_delay_alu instid0(VALU_DEP_1) | instskip(NEXT) | instid1(VALU_DEP_1)
	v_dual_cndmask_b32 v13, v13, v11, s0 :: v_dual_cndmask_b32 v12, v12, v14, s0
	v_dual_mov_b32 v11, v10 :: v_dual_bitop2_b32 v13, v13, v10 bitop3:0x14
	s_delay_alu instid0(VALU_DEP_2) | instskip(NEXT) | instid1(VALU_DEP_1)
	v_xor_b32_e32 v12, v12, v10
	v_sub_nc_u64_e32 v[10:11], v[12:13], v[10:11]
                                        ; implicit-def: $vgpr12_vgpr13
.LBB69_53:                              ;   in Loop: Header=BB69_39 Depth=1
	s_and_not1_saveexec_b32 s0, s14
	s_cbranch_execz .LBB69_38
; %bb.54:                               ;   in Loop: Header=BB69_39 Depth=1
	v_cvt_f32_u32_e32 v10, v16
	v_sub_nc_u32_e32 v11, 0, v16
	s_delay_alu instid0(VALU_DEP_2) | instskip(SKIP_1) | instid1(TRANS32_DEP_1)
	v_rcp_iflag_f32_e32 v10, v10
	v_nop
	v_mul_f32_e32 v10, 0x4f7ffffe, v10
	s_delay_alu instid0(VALU_DEP_1) | instskip(NEXT) | instid1(VALU_DEP_1)
	v_cvt_u32_f32_e32 v10, v10
	v_mul_lo_u32 v11, v11, v10
	s_delay_alu instid0(VALU_DEP_1) | instskip(NEXT) | instid1(VALU_DEP_1)
	v_mul_hi_u32 v11, v10, v11
	v_add_nc_u32_e32 v10, v10, v11
	s_delay_alu instid0(VALU_DEP_1) | instskip(NEXT) | instid1(VALU_DEP_1)
	v_mul_hi_u32 v10, v12, v10
	v_mul_lo_u32 v11, v10, v16
	s_delay_alu instid0(VALU_DEP_1) | instskip(NEXT) | instid1(VALU_DEP_1)
	v_dual_sub_nc_u32 v11, v12, v11 :: v_dual_add_nc_u32 v12, 1, v10
	v_sub_nc_u32_e32 v13, v11, v16
	v_cmp_ge_u32_e32 vcc_lo, v11, v16
	s_delay_alu instid0(VALU_DEP_2) | instskip(NEXT) | instid1(VALU_DEP_1)
	v_dual_cndmask_b32 v11, v11, v13 :: v_dual_cndmask_b32 v10, v10, v12
	v_cmp_ge_u32_e32 vcc_lo, v11, v16
	s_delay_alu instid0(VALU_DEP_2) | instskip(NEXT) | instid1(VALU_DEP_1)
	v_dual_mov_b32 v11, v28 :: v_dual_add_nc_u32 v12, 1, v10
	v_cndmask_b32_e32 v10, v10, v12, vcc_lo
	s_branch .LBB69_38
.LBB69_55:
	s_sendmsg sendmsg(MSG_DEALLOC_VGPRS)
	s_endpgm
	.section	.rodata,"a",@progbits
	.p2align	6, 0x0
	.amdhsa_kernel _ZN2at6native12_GLOBAL__N_125multi_tensor_apply_kernelINS1_18TensorListMetadataILi3EEENS1_24PointwiseOpScalarFunctorIlLi3ELi3ELi0EEEJSt7dividesIlElEEEvT_T0_DpT1_
		.amdhsa_group_segment_fixed_size 0
		.amdhsa_private_segment_fixed_size 0
		.amdhsa_kernarg_size 3416
		.amdhsa_user_sgpr_count 2
		.amdhsa_user_sgpr_dispatch_ptr 0
		.amdhsa_user_sgpr_queue_ptr 0
		.amdhsa_user_sgpr_kernarg_segment_ptr 1
		.amdhsa_user_sgpr_dispatch_id 0
		.amdhsa_user_sgpr_kernarg_preload_length 0
		.amdhsa_user_sgpr_kernarg_preload_offset 0
		.amdhsa_user_sgpr_private_segment_size 0
		.amdhsa_wavefront_size32 1
		.amdhsa_uses_dynamic_stack 0
		.amdhsa_enable_private_segment 0
		.amdhsa_system_sgpr_workgroup_id_x 1
		.amdhsa_system_sgpr_workgroup_id_y 0
		.amdhsa_system_sgpr_workgroup_id_z 0
		.amdhsa_system_sgpr_workgroup_info 0
		.amdhsa_system_vgpr_workitem_id 0
		.amdhsa_next_free_vgpr 88
		.amdhsa_next_free_sgpr 30
		.amdhsa_named_barrier_count 0
		.amdhsa_reserve_vcc 1
		.amdhsa_float_round_mode_32 0
		.amdhsa_float_round_mode_16_64 0
		.amdhsa_float_denorm_mode_32 3
		.amdhsa_float_denorm_mode_16_64 3
		.amdhsa_fp16_overflow 0
		.amdhsa_memory_ordered 1
		.amdhsa_forward_progress 1
		.amdhsa_inst_pref_size 65
		.amdhsa_round_robin_scheduling 0
		.amdhsa_exception_fp_ieee_invalid_op 0
		.amdhsa_exception_fp_denorm_src 0
		.amdhsa_exception_fp_ieee_div_zero 0
		.amdhsa_exception_fp_ieee_overflow 0
		.amdhsa_exception_fp_ieee_underflow 0
		.amdhsa_exception_fp_ieee_inexact 0
		.amdhsa_exception_int_div_zero 0
	.end_amdhsa_kernel
	.section	.text._ZN2at6native12_GLOBAL__N_125multi_tensor_apply_kernelINS1_18TensorListMetadataILi3EEENS1_24PointwiseOpScalarFunctorIlLi3ELi3ELi0EEEJSt7dividesIlElEEEvT_T0_DpT1_,"axG",@progbits,_ZN2at6native12_GLOBAL__N_125multi_tensor_apply_kernelINS1_18TensorListMetadataILi3EEENS1_24PointwiseOpScalarFunctorIlLi3ELi3ELi0EEEJSt7dividesIlElEEEvT_T0_DpT1_,comdat
.Lfunc_end69:
	.size	_ZN2at6native12_GLOBAL__N_125multi_tensor_apply_kernelINS1_18TensorListMetadataILi3EEENS1_24PointwiseOpScalarFunctorIlLi3ELi3ELi0EEEJSt7dividesIlElEEEvT_T0_DpT1_, .Lfunc_end69-_ZN2at6native12_GLOBAL__N_125multi_tensor_apply_kernelINS1_18TensorListMetadataILi3EEENS1_24PointwiseOpScalarFunctorIlLi3ELi3ELi0EEEJSt7dividesIlElEEEvT_T0_DpT1_
                                        ; -- End function
	.set _ZN2at6native12_GLOBAL__N_125multi_tensor_apply_kernelINS1_18TensorListMetadataILi3EEENS1_24PointwiseOpScalarFunctorIlLi3ELi3ELi0EEEJSt7dividesIlElEEEvT_T0_DpT1_.num_vgpr, 88
	.set _ZN2at6native12_GLOBAL__N_125multi_tensor_apply_kernelINS1_18TensorListMetadataILi3EEENS1_24PointwiseOpScalarFunctorIlLi3ELi3ELi0EEEJSt7dividesIlElEEEvT_T0_DpT1_.num_agpr, 0
	.set _ZN2at6native12_GLOBAL__N_125multi_tensor_apply_kernelINS1_18TensorListMetadataILi3EEENS1_24PointwiseOpScalarFunctorIlLi3ELi3ELi0EEEJSt7dividesIlElEEEvT_T0_DpT1_.numbered_sgpr, 30
	.set _ZN2at6native12_GLOBAL__N_125multi_tensor_apply_kernelINS1_18TensorListMetadataILi3EEENS1_24PointwiseOpScalarFunctorIlLi3ELi3ELi0EEEJSt7dividesIlElEEEvT_T0_DpT1_.num_named_barrier, 0
	.set _ZN2at6native12_GLOBAL__N_125multi_tensor_apply_kernelINS1_18TensorListMetadataILi3EEENS1_24PointwiseOpScalarFunctorIlLi3ELi3ELi0EEEJSt7dividesIlElEEEvT_T0_DpT1_.private_seg_size, 0
	.set _ZN2at6native12_GLOBAL__N_125multi_tensor_apply_kernelINS1_18TensorListMetadataILi3EEENS1_24PointwiseOpScalarFunctorIlLi3ELi3ELi0EEEJSt7dividesIlElEEEvT_T0_DpT1_.uses_vcc, 1
	.set _ZN2at6native12_GLOBAL__N_125multi_tensor_apply_kernelINS1_18TensorListMetadataILi3EEENS1_24PointwiseOpScalarFunctorIlLi3ELi3ELi0EEEJSt7dividesIlElEEEvT_T0_DpT1_.uses_flat_scratch, 0
	.set _ZN2at6native12_GLOBAL__N_125multi_tensor_apply_kernelINS1_18TensorListMetadataILi3EEENS1_24PointwiseOpScalarFunctorIlLi3ELi3ELi0EEEJSt7dividesIlElEEEvT_T0_DpT1_.has_dyn_sized_stack, 0
	.set _ZN2at6native12_GLOBAL__N_125multi_tensor_apply_kernelINS1_18TensorListMetadataILi3EEENS1_24PointwiseOpScalarFunctorIlLi3ELi3ELi0EEEJSt7dividesIlElEEEvT_T0_DpT1_.has_recursion, 0
	.set _ZN2at6native12_GLOBAL__N_125multi_tensor_apply_kernelINS1_18TensorListMetadataILi3EEENS1_24PointwiseOpScalarFunctorIlLi3ELi3ELi0EEEJSt7dividesIlElEEEvT_T0_DpT1_.has_indirect_call, 0
	.section	.AMDGPU.csdata,"",@progbits
; Kernel info:
; codeLenInByte = 8260
; TotalNumSgprs: 32
; NumVgprs: 88
; ScratchSize: 0
; MemoryBound: 1
; FloatMode: 240
; IeeeMode: 1
; LDSByteSize: 0 bytes/workgroup (compile time only)
; SGPRBlocks: 0
; VGPRBlocks: 5
; NumSGPRsForWavesPerEU: 32
; NumVGPRsForWavesPerEU: 88
; NamedBarCnt: 0
; Occupancy: 10
; WaveLimiterHint : 0
; COMPUTE_PGM_RSRC2:SCRATCH_EN: 0
; COMPUTE_PGM_RSRC2:USER_SGPR: 2
; COMPUTE_PGM_RSRC2:TRAP_HANDLER: 0
; COMPUTE_PGM_RSRC2:TGID_X_EN: 1
; COMPUTE_PGM_RSRC2:TGID_Y_EN: 0
; COMPUTE_PGM_RSRC2:TGID_Z_EN: 0
; COMPUTE_PGM_RSRC2:TIDIG_COMP_CNT: 0
	.section	.text._ZN2at6native12_GLOBAL__N_125multi_tensor_apply_kernelINS1_18TensorListMetadataILi3EEENS1_24PointwiseOpScalarFunctorIsLi3ELi3ELi0EEEJSt7dividesIsEsEEEvT_T0_DpT1_,"axG",@progbits,_ZN2at6native12_GLOBAL__N_125multi_tensor_apply_kernelINS1_18TensorListMetadataILi3EEENS1_24PointwiseOpScalarFunctorIsLi3ELi3ELi0EEEJSt7dividesIsEsEEEvT_T0_DpT1_,comdat
	.globl	_ZN2at6native12_GLOBAL__N_125multi_tensor_apply_kernelINS1_18TensorListMetadataILi3EEENS1_24PointwiseOpScalarFunctorIsLi3ELi3ELi0EEEJSt7dividesIsEsEEEvT_T0_DpT1_ ; -- Begin function _ZN2at6native12_GLOBAL__N_125multi_tensor_apply_kernelINS1_18TensorListMetadataILi3EEENS1_24PointwiseOpScalarFunctorIsLi3ELi3ELi0EEEJSt7dividesIsEsEEEvT_T0_DpT1_
	.p2align	8
	.type	_ZN2at6native12_GLOBAL__N_125multi_tensor_apply_kernelINS1_18TensorListMetadataILi3EEENS1_24PointwiseOpScalarFunctorIsLi3ELi3ELi0EEEJSt7dividesIsEsEEEvT_T0_DpT1_,@function
_ZN2at6native12_GLOBAL__N_125multi_tensor_apply_kernelINS1_18TensorListMetadataILi3EEENS1_24PointwiseOpScalarFunctorIsLi3ELi3ELi0EEEJSt7dividesIsEsEEEvT_T0_DpT1_: ; @_ZN2at6native12_GLOBAL__N_125multi_tensor_apply_kernelINS1_18TensorListMetadataILi3EEENS1_24PointwiseOpScalarFunctorIsLi3ELi3ELi0EEEJSt7dividesIsEsEEEvT_T0_DpT1_
; %bb.0:
	s_load_b32 s2, s[0:1], 0xc48
	s_bfe_u32 s3, ttmp6, 0x4000c
	s_and_b32 s4, ttmp6, 15
	s_add_co_i32 s3, s3, 1
	s_getreg_b32 s5, hwreg(HW_REG_IB_STS2, 6, 4)
	s_mul_i32 s3, ttmp9, s3
	s_delay_alu instid0(SALU_CYCLE_1)
	s_add_co_i32 s4, s4, s3
	s_mov_b32 s3, 0
	s_wait_kmcnt 0x0
	s_lshr_b32 s22, s2, 16
	s_cmp_eq_u32 s5, 0
	s_cselect_b32 s2, ttmp9, s4
	s_load_u8 s12, s[0:1], s2 offset:0x600
	s_add_nc_u64 s[4:5], s[0:1], s[2:3]
	s_mul_u64 s[6:7], s[2:3], 3
	s_delay_alu instid0(SALU_CYCLE_1)
	s_add_nc_u64 s[4:5], s[4:5], s[6:7]
	s_load_b32 s14, s[4:5], 0x740
	s_wait_kmcnt 0x0
	s_clause 0x3
	s_load_b64 s[6:7], s[0:1], s12 offset:0x180 scale_offset
	s_load_b64 s[8:9], s[0:1], s12 offset:0x300 scale_offset
	;; [unrolled: 1-line block ×4, first 2 shown]
	s_ashr_i32 s15, s14, 31
	s_wait_xcnt 0x0
	s_lshl_b64 s[12:13], s[14:15], 17
	s_wait_kmcnt 0x0
	s_add_nc_u64 s[4:5], s[6:7], s[12:13]
	s_delay_alu instid0(SALU_CYCLE_1) | instskip(SKIP_2) | instid1(SALU_CYCLE_1)
	s_or_b32 s2, s8, s4
	s_and_b64 s[4:5], s[10:11], 7
	s_and_b32 s2, s2, 7
	s_cmp_eq_u32 s2, 0
	s_cselect_b32 s18, -1, 0
	s_and_b32 s2, s16, 3
	s_delay_alu instid0(SALU_CYCLE_1) | instskip(SKIP_4) | instid1(SALU_CYCLE_1)
	s_or_b64 s[2:3], s[4:5], s[2:3]
	s_lshl_b64 s[4:5], s[14:15], 16
	s_cmp_eq_u64 s[2:3], 0
	s_sub_nc_u64 s[14:15], s[16:17], s[4:5]
	s_cselect_b32 s2, -1, 0
	s_and_b32 s2, s18, s2
	s_delay_alu instid0(SALU_CYCLE_1)
	s_and_b32 vcc_lo, exec_lo, s2
	s_mov_b32 s2, -1
	s_cbranch_vccnz .LBB70_45
; %bb.1:
	v_cmp_lt_i64_e64 s2, s[14:15], 1
	s_and_b32 vcc_lo, exec_lo, s2
	s_cbranch_vccnz .LBB70_44
; %bb.2:
	s_load_b32 s2, s[0:1], 0xc5c
	v_min_i64 v[2:3], 0x10000, s[14:15]
	v_min_u64 v[4:5], 0x10000, s[14:15]
	v_dual_mov_b32 v1, 0 :: v_dual_lshlrev_b32 v14, 1, v0
	s_mov_b32 s19, 0
	s_and_b32 s4, 0xffff, s22
	s_mov_b32 s17, s19
	s_delay_alu instid0(VALU_DEP_1) | instskip(SKIP_3) | instid1(VALU_DEP_1)
	v_dual_mov_b32 v15, v1 :: v_dual_mov_b32 v35, v1
	s_mov_b32 s3, s19
	s_mov_b32 s5, s19
	s_mov_b64 s[20:21], 0
	v_add_nc_u64_e32 v[6:7], s[10:11], v[14:15]
	v_add_nc_u64_e32 v[8:9], s[6:7], v[14:15]
	;; [unrolled: 1-line block ×3, first 2 shown]
	s_wait_kmcnt 0x0
	s_and_b32 s18, s2, 0xffff
	s_delay_alu instid0(SALU_CYCLE_1)
	s_lshl_b32 s2, s18, 1
	v_add_nc_u64_e32 v[12:13], s[18:19], v[0:1]
	v_mad_nc_u64_u32 v[22:23], s18, 6, v[14:15]
	s_cmp_lg_u32 s4, 1
	s_mul_i32 s4, s18, 3
	s_cselect_b32 s23, -1, 0
	s_lshl_b32 s16, s18, 2
	v_add_nc_u64_e32 v[16:17], s[2:3], v[0:1]
	v_add_nc_u64_e32 v[28:29], s[16:17], v[14:15]
	v_lshlrev_b32_e32 v34, 1, v12
	v_add_nc_u64_e32 v[14:15], s[4:5], v[0:1]
	s_lshl_b32 s18, s18, 3
	v_add_nc_u64_e32 v[18:19], s[10:11], v[22:23]
	v_add_nc_u64_e32 v[20:21], s[6:7], v[22:23]
	;; [unrolled: 1-line block ×9, first 2 shown]
	s_branch .LBB70_4
.LBB70_3:                               ;   in Loop: Header=BB70_4 Depth=1
	s_wait_xcnt 0x0
	s_or_b32 exec_lo, exec_lo, s2
	s_add_nc_u64 s[20:21], s[20:21], s[16:17]
	v_add_nc_u64_e32 v[6:7], s[18:19], v[6:7]
	v_cmp_ge_i64_e32 vcc_lo, s[20:21], v[2:3]
	v_add_nc_u64_e32 v[8:9], s[18:19], v[8:9]
	v_add_nc_u64_e32 v[10:11], s[18:19], v[10:11]
	;; [unrolled: 1-line block ×11, first 2 shown]
	s_cbranch_vccnz .LBB70_44
.LBB70_4:                               ; =>This Inner Loop Header: Depth=1
	v_add_nc_u64_e32 v[36:37], s[20:21], v[0:1]
	v_dual_mov_b32 v44, 0 :: v_dual_mov_b32 v47, 0
	v_mov_b32_e32 v39, 0
	s_delay_alu instid0(VALU_DEP_3)
	v_cmp_lt_u64_e64 s2, v[36:37], v[4:5]
	s_and_saveexec_b32 s3, s2
	s_cbranch_execz .LBB70_6
; %bb.5:                                ;   in Loop: Header=BB70_4 Depth=1
	v_add_nc_u64_e32 v[36:37], s[12:13], v[6:7]
	v_add_nc_u64_e32 v[40:41], s[12:13], v[8:9]
	global_load_u16 v39, v[36:37], off
	global_load_i16 v47, v[40:41], off
.LBB70_6:                               ;   in Loop: Header=BB70_4 Depth=1
	s_wait_xcnt 0x0
	s_or_b32 exec_lo, exec_lo, s3
	s_and_saveexec_b32 s3, s2
	s_cbranch_execz .LBB70_8
; %bb.7:                                ;   in Loop: Header=BB70_4 Depth=1
	v_add_nc_u64_e32 v[36:37], s[12:13], v[10:11]
	global_load_i16 v44, v[36:37], off
.LBB70_8:                               ;   in Loop: Header=BB70_4 Depth=1
	s_wait_xcnt 0x0
	s_or_b32 exec_lo, exec_lo, s3
	v_add_nc_u64_e32 v[36:37], s[20:21], v[12:13]
	v_dual_mov_b32 v38, 0 :: v_dual_mov_b32 v45, 0
	v_mov_b32_e32 v46, 0
	s_delay_alu instid0(VALU_DEP_3)
	v_cmp_lt_u64_e64 s3, v[36:37], v[4:5]
	s_and_saveexec_b32 s4, s3
	s_cbranch_execz .LBB70_10
; %bb.9:                                ;   in Loop: Header=BB70_4 Depth=1
	v_add_nc_u64_e32 v[36:37], s[12:13], v[30:31]
	v_add_nc_u64_e32 v[40:41], s[12:13], v[32:33]
	global_load_u16 v38, v[36:37], off
	global_load_i16 v46, v[40:41], off
.LBB70_10:                              ;   in Loop: Header=BB70_4 Depth=1
	s_wait_xcnt 0x0
	s_or_b32 exec_lo, exec_lo, s4
	s_and_saveexec_b32 s4, s3
	s_cbranch_execz .LBB70_12
; %bb.11:                               ;   in Loop: Header=BB70_4 Depth=1
	v_add_nc_u64_e32 v[36:37], s[12:13], v[34:35]
	global_load_i16 v45, v[36:37], off
.LBB70_12:                              ;   in Loop: Header=BB70_4 Depth=1
	s_wait_xcnt 0x0
	s_or_b32 exec_lo, exec_lo, s4
	v_add_nc_u64_e32 v[36:37], s[20:21], v[16:17]
	v_dual_mov_b32 v43, 0 :: v_dual_mov_b32 v42, 0
	s_delay_alu instid0(VALU_DEP_2)
	v_cmp_lt_u64_e64 s4, v[36:37], v[4:5]
	v_mov_b32_e32 v37, 0
	s_and_saveexec_b32 s5, s4
	s_cbranch_execz .LBB70_14
; %bb.13:                               ;   in Loop: Header=BB70_4 Depth=1
	v_add_nc_u64_e32 v[40:41], s[12:13], v[24:25]
	v_add_nc_u64_e32 v[48:49], s[12:13], v[26:27]
	global_load_u16 v37, v[40:41], off
	global_load_i16 v43, v[48:49], off
.LBB70_14:                              ;   in Loop: Header=BB70_4 Depth=1
	s_wait_xcnt 0x0
	s_or_b32 exec_lo, exec_lo, s5
	s_and_saveexec_b32 s5, s4
	s_cbranch_execz .LBB70_16
; %bb.15:                               ;   in Loop: Header=BB70_4 Depth=1
	v_add_nc_u64_e32 v[40:41], s[12:13], v[28:29]
	global_load_i16 v42, v[40:41], off
.LBB70_16:                              ;   in Loop: Header=BB70_4 Depth=1
	s_wait_xcnt 0x0
	s_or_b32 exec_lo, exec_lo, s5
	v_add_nc_u64_e32 v[40:41], s[20:21], v[14:15]
	v_mov_b32_e32 v36, 0
	s_delay_alu instid0(VALU_DEP_2)
	v_cmp_lt_u64_e64 s5, v[40:41], v[4:5]
	v_dual_mov_b32 v40, 0 :: v_dual_mov_b32 v41, 0
	s_and_saveexec_b32 s24, s5
	s_cbranch_execz .LBB70_18
; %bb.17:                               ;   in Loop: Header=BB70_4 Depth=1
	v_add_nc_u64_e32 v[48:49], s[12:13], v[18:19]
	v_add_nc_u64_e32 v[50:51], s[12:13], v[20:21]
	global_load_u16 v36, v[48:49], off
	global_load_i16 v41, v[50:51], off
.LBB70_18:                              ;   in Loop: Header=BB70_4 Depth=1
	s_wait_xcnt 0x0
	s_or_b32 exec_lo, exec_lo, s24
	s_and_saveexec_b32 s24, s5
	s_cbranch_execz .LBB70_20
; %bb.19:                               ;   in Loop: Header=BB70_4 Depth=1
	v_add_nc_u64_e32 v[48:49], s[12:13], v[22:23]
	global_load_i16 v40, v[48:49], off
.LBB70_20:                              ;   in Loop: Header=BB70_4 Depth=1
	s_wait_xcnt 0x0
	s_or_b32 exec_lo, exec_lo, s24
	s_wait_loadcnt 0x0
	v_cvt_f32_i32_e32 v48, v44
	v_cvt_f32_i32_e32 v50, v47
	s_mov_b32 s24, -1
	v_xor_b32_e32 v44, v47, v44
	s_delay_alu instid0(VALU_DEP_3) | instskip(SKIP_1) | instid1(TRANS32_DEP_1)
	v_rcp_iflag_f32_e32 v49, v48
	v_nop
	v_dual_mul_f32 v49, v50, v49 :: v_dual_ashrrev_i32 v44, 30, v44
	s_delay_alu instid0(VALU_DEP_1) | instskip(NEXT) | instid1(VALU_DEP_2)
	v_or_b32_e32 v44, 1, v44
	v_trunc_f32_e32 v47, v49
	s_delay_alu instid0(VALU_DEP_1) | instskip(SKIP_1) | instid1(VALU_DEP_2)
	v_fma_f32 v49, -v47, v48, v50
	v_cvt_i32_f32_e32 v47, v47
	v_cmp_ge_f32_e64 vcc_lo, |v49|, |v48|
	v_cndmask_b32_e32 v44, 0, v44, vcc_lo
	s_and_b32 vcc_lo, exec_lo, s23
	s_delay_alu instid0(VALU_DEP_1)
	v_add_nc_u32_e32 v47, v47, v44
                                        ; implicit-def: $vgpr44
	s_cbranch_vccz .LBB70_22
; %bb.21:                               ;   in Loop: Header=BB70_4 Depth=1
	s_delay_alu instid0(VALU_DEP_1)
	v_mad_u16 v44, s22, v47, v39
	s_mov_b32 s24, 0
.LBB70_22:                              ;   in Loop: Header=BB70_4 Depth=1
	s_delay_alu instid0(SALU_CYCLE_1)
	s_and_not1_b32 vcc_lo, exec_lo, s24
	s_cbranch_vccnz .LBB70_24
; %bb.23:                               ;   in Loop: Header=BB70_4 Depth=1
	s_delay_alu instid0(VALU_DEP_1)
	v_add_nc_u16 v44, v39, v47
.LBB70_24:                              ;   in Loop: Header=BB70_4 Depth=1
	v_cvt_f32_i32_e32 v39, v45
	v_cvt_f32_i32_e32 v48, v46
	s_mov_b32 s24, -1
	v_xor_b32_e32 v45, v46, v45
	s_delay_alu instid0(VALU_DEP_3) | instskip(SKIP_1) | instid1(TRANS32_DEP_1)
	v_rcp_iflag_f32_e32 v47, v39
	v_nop
	v_mul_f32_e32 v47, v48, v47
	s_delay_alu instid0(VALU_DEP_1) | instskip(NEXT) | instid1(VALU_DEP_1)
	v_trunc_f32_e32 v46, v47
	v_dual_ashrrev_i32 v45, 30, v45 :: v_dual_fma_f32 v47, -v46, v39, v48
	s_delay_alu instid0(VALU_DEP_1) | instskip(SKIP_1) | instid1(VALU_DEP_3)
	v_or_b32_e32 v45, 1, v45
	v_cvt_i32_f32_e32 v46, v46
	v_cmp_ge_f32_e64 vcc_lo, |v47|, |v39|
	s_delay_alu instid0(VALU_DEP_3) | instskip(SKIP_1) | instid1(VALU_DEP_1)
	v_cndmask_b32_e32 v39, 0, v45, vcc_lo
	s_and_not1_b32 vcc_lo, exec_lo, s23
	v_add_nc_u32_e32 v45, v46, v39
                                        ; implicit-def: $vgpr39
	s_cbranch_vccnz .LBB70_26
; %bb.25:                               ;   in Loop: Header=BB70_4 Depth=1
	s_delay_alu instid0(VALU_DEP_1)
	v_mad_u16 v39, s22, v45, v38
	s_mov_b32 s24, 0
.LBB70_26:                              ;   in Loop: Header=BB70_4 Depth=1
	s_delay_alu instid0(SALU_CYCLE_1)
	s_and_not1_b32 vcc_lo, exec_lo, s24
	s_cbranch_vccnz .LBB70_28
; %bb.27:                               ;   in Loop: Header=BB70_4 Depth=1
	s_delay_alu instid0(VALU_DEP_1)
	v_add_nc_u16 v39, v38, v45
.LBB70_28:                              ;   in Loop: Header=BB70_4 Depth=1
	v_cvt_f32_i32_e32 v38, v42
	v_cvt_f32_i32_e32 v46, v43
	s_mov_b32 s24, -1
	v_xor_b32_e32 v42, v43, v42
	s_delay_alu instid0(VALU_DEP_3) | instskip(SKIP_1) | instid1(TRANS32_DEP_1)
	v_rcp_iflag_f32_e32 v45, v38
	v_nop
	v_dual_mul_f32 v45, v46, v45 :: v_dual_ashrrev_i32 v42, 30, v42
	s_delay_alu instid0(VALU_DEP_1) | instskip(NEXT) | instid1(VALU_DEP_2)
	v_or_b32_e32 v42, 1, v42
	v_trunc_f32_e32 v43, v45
	s_delay_alu instid0(VALU_DEP_1) | instskip(SKIP_1) | instid1(VALU_DEP_2)
	v_fma_f32 v45, -v43, v38, v46
	v_cvt_i32_f32_e32 v43, v43
	v_cmp_ge_f32_e64 vcc_lo, |v45|, |v38|
	v_cndmask_b32_e32 v38, 0, v42, vcc_lo
	s_and_not1_b32 vcc_lo, exec_lo, s23
	s_delay_alu instid0(VALU_DEP_1)
	v_add_nc_u32_e32 v42, v43, v38
                                        ; implicit-def: $vgpr38
	s_cbranch_vccnz .LBB70_30
; %bb.29:                               ;   in Loop: Header=BB70_4 Depth=1
	s_delay_alu instid0(VALU_DEP_1)
	v_mad_u16 v38, s22, v42, v37
	s_mov_b32 s24, 0
.LBB70_30:                              ;   in Loop: Header=BB70_4 Depth=1
	s_delay_alu instid0(SALU_CYCLE_1)
	s_and_not1_b32 vcc_lo, exec_lo, s24
	s_cbranch_vccnz .LBB70_32
; %bb.31:                               ;   in Loop: Header=BB70_4 Depth=1
	s_delay_alu instid0(VALU_DEP_1)
	v_add_nc_u16 v38, v37, v42
.LBB70_32:                              ;   in Loop: Header=BB70_4 Depth=1
	v_cvt_f32_i32_e32 v37, v40
	v_cvt_f32_i32_e32 v43, v41
	s_mov_b32 s24, -1
	v_xor_b32_e32 v40, v41, v40
	s_delay_alu instid0(VALU_DEP_3) | instskip(SKIP_1) | instid1(TRANS32_DEP_1)
	v_rcp_iflag_f32_e32 v42, v37
	v_nop
	v_mul_f32_e32 v42, v43, v42
	s_delay_alu instid0(VALU_DEP_1) | instskip(NEXT) | instid1(VALU_DEP_1)
	v_trunc_f32_e32 v41, v42
	v_dual_ashrrev_i32 v40, 30, v40 :: v_dual_fma_f32 v42, -v41, v37, v43
	s_delay_alu instid0(VALU_DEP_1) | instskip(SKIP_1) | instid1(VALU_DEP_3)
	v_or_b32_e32 v40, 1, v40
	v_cvt_i32_f32_e32 v41, v41
	v_cmp_ge_f32_e64 vcc_lo, |v42|, |v37|
	s_delay_alu instid0(VALU_DEP_3) | instskip(SKIP_1) | instid1(VALU_DEP_1)
	v_cndmask_b32_e32 v37, 0, v40, vcc_lo
	s_and_not1_b32 vcc_lo, exec_lo, s23
	v_add_nc_u32_e32 v40, v41, v37
                                        ; implicit-def: $vgpr37
	s_cbranch_vccz .LBB70_38
; %bb.33:                               ;   in Loop: Header=BB70_4 Depth=1
	s_and_not1_b32 vcc_lo, exec_lo, s24
	s_cbranch_vccz .LBB70_39
.LBB70_34:                              ;   in Loop: Header=BB70_4 Depth=1
	s_and_saveexec_b32 s24, s2
	s_delay_alu instid0(SALU_CYCLE_1)
	s_xor_b32 s2, exec_lo, s24
	s_cbranch_execnz .LBB70_40
.LBB70_35:                              ;   in Loop: Header=BB70_4 Depth=1
	s_or_b32 exec_lo, exec_lo, s2
	s_and_saveexec_b32 s2, s3
	s_cbranch_execnz .LBB70_41
.LBB70_36:                              ;   in Loop: Header=BB70_4 Depth=1
	s_or_b32 exec_lo, exec_lo, s2
	s_and_saveexec_b32 s2, s4
	s_cbranch_execnz .LBB70_42
.LBB70_37:                              ;   in Loop: Header=BB70_4 Depth=1
	s_or_b32 exec_lo, exec_lo, s2
	s_and_saveexec_b32 s2, s5
	s_cbranch_execz .LBB70_3
	s_branch .LBB70_43
.LBB70_38:                              ;   in Loop: Header=BB70_4 Depth=1
	s_delay_alu instid0(VALU_DEP_1)
	v_mad_u16 v37, s22, v40, v36
	s_cbranch_execnz .LBB70_34
.LBB70_39:                              ;   in Loop: Header=BB70_4 Depth=1
	s_delay_alu instid0(VALU_DEP_1) | instskip(SKIP_1) | instid1(SALU_CYCLE_1)
	v_add_nc_u16 v37, v36, v40
	s_and_saveexec_b32 s24, s2
	s_xor_b32 s2, exec_lo, s24
	s_cbranch_execz .LBB70_35
.LBB70_40:                              ;   in Loop: Header=BB70_4 Depth=1
	v_add_nc_u64_e32 v[40:41], s[12:13], v[6:7]
	global_store_b16 v[40:41], v44, off
	s_wait_xcnt 0x0
	s_or_b32 exec_lo, exec_lo, s2
	s_and_saveexec_b32 s2, s3
	s_cbranch_execz .LBB70_36
.LBB70_41:                              ;   in Loop: Header=BB70_4 Depth=1
	v_add_nc_u64_e32 v[40:41], s[12:13], v[30:31]
	global_store_b16 v[40:41], v39, off
	s_wait_xcnt 0x0
	s_or_b32 exec_lo, exec_lo, s2
	s_and_saveexec_b32 s2, s4
	s_cbranch_execz .LBB70_37
.LBB70_42:                              ;   in Loop: Header=BB70_4 Depth=1
	v_add_nc_u64_e32 v[40:41], s[12:13], v[24:25]
	global_store_b16 v[40:41], v38, off
	s_wait_xcnt 0x0
	s_or_b32 exec_lo, exec_lo, s2
	s_and_saveexec_b32 s2, s5
	s_cbranch_execz .LBB70_3
.LBB70_43:                              ;   in Loop: Header=BB70_4 Depth=1
	v_add_nc_u64_e32 v[38:39], s[12:13], v[18:19]
	global_store_b16 v[38:39], v37, off
	s_branch .LBB70_3
.LBB70_44:
	s_mov_b32 s2, 0
.LBB70_45:
	s_delay_alu instid0(SALU_CYCLE_1)
	s_and_not1_b32 vcc_lo, exec_lo, s2
	s_cbranch_vccnz .LBB70_49
; %bb.46:
	v_min_i64 v[2:3], 0x10000, s[14:15]
	v_dual_mov_b32 v5, 0 :: v_dual_lshlrev_b32 v4, 2, v0
	s_mov_b32 s2, exec_lo
	s_delay_alu instid0(VALU_DEP_1)
	v_cmpx_lt_i64_e64 v[4:5], v[2:3]
	s_cbranch_execz .LBB70_49
; %bb.47:
	s_load_b32 s0, s[0:1], 0xc5c
	v_dual_mov_b32 v1, v5 :: v_dual_lshlrev_b32 v4, 3, v0
	s_wait_xcnt 0x0
	s_mov_b32 s1, 0
	s_delay_alu instid0(SALU_CYCLE_1) | instskip(NEXT) | instid1(VALU_DEP_1)
	s_mov_b32 s3, s1
	v_add_nc_u64_e32 v[4:5], s[12:13], v[4:5]
	s_mov_b32 s4, s1
	s_wait_kmcnt 0x0
	s_and_b32 s0, s0, 0xffff
	s_delay_alu instid0(SALU_CYCLE_1)
	s_lshl_b32 s2, s0, 3
.LBB70_48:                              ; =>This Inner Loop Header: Depth=1
	s_delay_alu instid0(VALU_DEP_1)
	v_add_nc_u64_e32 v[6:7], s[6:7], v[4:5]
	v_add_nc_u64_e32 v[8:9], s[8:9], v[4:5]
	;; [unrolled: 1-line block ×5, first 2 shown]
	global_load_b64 v[12:13], v[6:7], off
	global_load_b64 v[14:15], v[8:9], off
	;; [unrolled: 1-line block ×3, first 2 shown]
	s_wait_loadcnt 0x2
	s_wait_xcnt 0x2
	v_bfe_i32 v6, v12, 0, 16
	s_wait_loadcnt 0x1
	v_bfe_i32 v7, v14, 0, 16
	s_wait_loadcnt 0x0
	s_wait_xcnt 0x1
	v_dual_lshrrev_b32 v8, 16, v16 :: v_dual_ashrrev_i32 v18, 16, v14
	v_ashrrev_i32_e32 v9, 16, v12
	v_alignbit_b32 v12, v13, v12, 16
	v_alignbit_b32 v14, v15, v14, 16
	v_xor_b32_e32 v19, v6, v7
	v_cvt_f32_i32_e32 v7, v7
	v_dual_ashrrev_i32 v13, 16, v13 :: v_dual_ashrrev_i32 v15, 16, v15
	v_xor_b32_e32 v20, v9, v18
	v_cvt_f32_i32_e32 v18, v18
	v_dual_ashrrev_i32 v12, 16, v12 :: v_dual_ashrrev_i32 v14, 16, v14
	s_delay_alu instid0(VALU_DEP_4)
	v_xor_b32_e32 v21, v13, v15
	v_rcp_iflag_f32_e32 v22, v7
	v_cvt_f32_i32_e32 v6, v6
	v_dual_ashrrev_i32 v19, 30, v19 :: v_dual_ashrrev_i32 v20, 30, v20
	v_cvt_f32_i32_e32 v15, v15
	v_rcp_iflag_f32_e32 v23, v18
	v_dual_ashrrev_i32 v21, 30, v21 :: v_dual_bitop2_b32 v24, v12, v14 bitop3:0x14
	v_cvt_f32_i32_e32 v14, v14
	v_cvt_f32_i32_e32 v9, v9
	v_dual_mul_f32 v22, v6, v22 :: v_dual_bitop2_b32 v20, 1, v20 bitop3:0x54
	v_rcp_iflag_f32_e32 v25, v15
	s_delay_alu instid0(VALU_DEP_3)
	v_rcp_iflag_f32_e32 v26, v14
	v_cvt_f32_i32_e32 v13, v13
	v_cvt_f32_i32_e32 v12, v12
	v_dual_mul_f32 v23, v9, v23 :: v_dual_bitop2_b32 v21, 1, v21 bitop3:0x54
	v_trunc_f32_e32 v22, v22
	v_dual_ashrrev_i32 v24, 30, v24 :: v_dual_bitop2_b32 v19, 1, v19 bitop3:0x54
	v_mul_f32_e32 v25, v13, v25
	s_delay_alu instid0(VALU_DEP_4) | instskip(NEXT) | instid1(VALU_DEP_4)
	v_trunc_f32_e32 v23, v23
	v_dual_mul_f32 v26, v12, v26 :: v_dual_fma_f32 v6, -v22, v7, v6
	s_delay_alu instid0(VALU_DEP_4) | instskip(NEXT) | instid1(VALU_DEP_4)
	v_or_b32_e32 v24, 1, v24
	v_trunc_f32_e32 v25, v25
	v_cvt_i32_f32_e32 v22, v22
	s_delay_alu instid0(VALU_DEP_4) | instskip(SKIP_4) | instid1(VALU_DEP_3)
	v_trunc_f32_e32 v26, v26
	v_cmp_ge_f32_e64 vcc_lo, |v6|, |v7|
	v_fma_f32 v9, -v23, v18, v9
	v_cvt_i32_f32_e32 v23, v23
	v_cndmask_b32_e32 v6, 0, v19, vcc_lo
	v_cmp_ge_f32_e64 vcc_lo, |v9|, |v18|
	v_fma_f32 v13, -v25, v15, v13
	v_cvt_i32_f32_e32 v25, v25
	v_cndmask_b32_e32 v7, 0, v20, vcc_lo
	s_delay_alu instid0(VALU_DEP_3) | instskip(SKIP_2) | instid1(VALU_DEP_3)
	v_cmp_ge_f32_e64 vcc_lo, |v13|, |v15|
	v_fma_f32 v9, -v26, v14, v12
	v_cvt_i32_f32_e32 v12, v26
	v_dual_add_nc_u32 v7, v23, v7 :: v_dual_cndmask_b32 v13, 0, v21, vcc_lo
	s_delay_alu instid0(VALU_DEP_3) | instskip(SKIP_1) | instid1(VALU_DEP_3)
	v_cmp_ge_f32_e64 vcc_lo, |v9|, |v14|
	v_dual_add_nc_u32 v6, v22, v6 :: v_dual_lshrrev_b32 v14, 16, v17
	v_mad_u16 v8, s22, v7, v8
	s_delay_alu instid0(VALU_DEP_3) | instskip(NEXT) | instid1(VALU_DEP_3)
	v_dual_add_nc_u32 v13, v25, v13 :: v_dual_cndmask_b32 v9, 0, v24, vcc_lo
	v_mad_u16 v15, s22, v6, v16
	v_lshlrev_b64_e32 v[6:7], 2, v[0:1]
	s_delay_alu instid0(VALU_DEP_3) | instskip(NEXT) | instid1(VALU_DEP_4)
	v_dual_lshlrev_b32 v8, 16, v8 :: v_dual_add_nc_u32 v9, v12, v9
	v_mad_u16 v12, s22, v13, v14
	s_delay_alu instid0(VALU_DEP_4) | instskip(NEXT) | instid1(VALU_DEP_4)
	v_and_b32_e32 v13, 0xffff, v15
	v_cmp_ge_i64_e32 vcc_lo, v[6:7], v[2:3]
	s_delay_alu instid0(VALU_DEP_3) | instskip(SKIP_1) | instid1(VALU_DEP_4)
	v_lshlrev_b32_e32 v12, 16, v12
	v_mad_u16 v9, s22, v9, v17
	v_or_b32_e32 v8, v8, v13
	s_or_b32 s4, vcc_lo, s4
	s_delay_alu instid0(VALU_DEP_2) | instskip(NEXT) | instid1(VALU_DEP_2)
	v_and_b32_e32 v9, 0xffff, v9
	v_or3_b32 v6, 0, v8, 0
	s_delay_alu instid0(VALU_DEP_2)
	v_or3_b32 v7, v9, 0, v12
	global_store_b64 v[10:11], v[6:7], off
	s_wait_xcnt 0x0
	s_and_not1_b32 exec_lo, exec_lo, s4
	s_cbranch_execnz .LBB70_48
.LBB70_49:
	s_endpgm
	.section	.rodata,"a",@progbits
	.p2align	6, 0x0
	.amdhsa_kernel _ZN2at6native12_GLOBAL__N_125multi_tensor_apply_kernelINS1_18TensorListMetadataILi3EEENS1_24PointwiseOpScalarFunctorIsLi3ELi3ELi0EEEJSt7dividesIsEsEEEvT_T0_DpT1_
		.amdhsa_group_segment_fixed_size 0
		.amdhsa_private_segment_fixed_size 0
		.amdhsa_kernarg_size 3408
		.amdhsa_user_sgpr_count 2
		.amdhsa_user_sgpr_dispatch_ptr 0
		.amdhsa_user_sgpr_queue_ptr 0
		.amdhsa_user_sgpr_kernarg_segment_ptr 1
		.amdhsa_user_sgpr_dispatch_id 0
		.amdhsa_user_sgpr_kernarg_preload_length 0
		.amdhsa_user_sgpr_kernarg_preload_offset 0
		.amdhsa_user_sgpr_private_segment_size 0
		.amdhsa_wavefront_size32 1
		.amdhsa_uses_dynamic_stack 0
		.amdhsa_enable_private_segment 0
		.amdhsa_system_sgpr_workgroup_id_x 1
		.amdhsa_system_sgpr_workgroup_id_y 0
		.amdhsa_system_sgpr_workgroup_id_z 0
		.amdhsa_system_sgpr_workgroup_info 0
		.amdhsa_system_vgpr_workitem_id 0
		.amdhsa_next_free_vgpr 52
		.amdhsa_next_free_sgpr 25
		.amdhsa_named_barrier_count 0
		.amdhsa_reserve_vcc 1
		.amdhsa_float_round_mode_32 0
		.amdhsa_float_round_mode_16_64 0
		.amdhsa_float_denorm_mode_32 3
		.amdhsa_float_denorm_mode_16_64 3
		.amdhsa_fp16_overflow 0
		.amdhsa_memory_ordered 1
		.amdhsa_forward_progress 1
		.amdhsa_inst_pref_size 19
		.amdhsa_round_robin_scheduling 0
		.amdhsa_exception_fp_ieee_invalid_op 0
		.amdhsa_exception_fp_denorm_src 0
		.amdhsa_exception_fp_ieee_div_zero 0
		.amdhsa_exception_fp_ieee_overflow 0
		.amdhsa_exception_fp_ieee_underflow 0
		.amdhsa_exception_fp_ieee_inexact 0
		.amdhsa_exception_int_div_zero 0
	.end_amdhsa_kernel
	.section	.text._ZN2at6native12_GLOBAL__N_125multi_tensor_apply_kernelINS1_18TensorListMetadataILi3EEENS1_24PointwiseOpScalarFunctorIsLi3ELi3ELi0EEEJSt7dividesIsEsEEEvT_T0_DpT1_,"axG",@progbits,_ZN2at6native12_GLOBAL__N_125multi_tensor_apply_kernelINS1_18TensorListMetadataILi3EEENS1_24PointwiseOpScalarFunctorIsLi3ELi3ELi0EEEJSt7dividesIsEsEEEvT_T0_DpT1_,comdat
.Lfunc_end70:
	.size	_ZN2at6native12_GLOBAL__N_125multi_tensor_apply_kernelINS1_18TensorListMetadataILi3EEENS1_24PointwiseOpScalarFunctorIsLi3ELi3ELi0EEEJSt7dividesIsEsEEEvT_T0_DpT1_, .Lfunc_end70-_ZN2at6native12_GLOBAL__N_125multi_tensor_apply_kernelINS1_18TensorListMetadataILi3EEENS1_24PointwiseOpScalarFunctorIsLi3ELi3ELi0EEEJSt7dividesIsEsEEEvT_T0_DpT1_
                                        ; -- End function
	.set _ZN2at6native12_GLOBAL__N_125multi_tensor_apply_kernelINS1_18TensorListMetadataILi3EEENS1_24PointwiseOpScalarFunctorIsLi3ELi3ELi0EEEJSt7dividesIsEsEEEvT_T0_DpT1_.num_vgpr, 52
	.set _ZN2at6native12_GLOBAL__N_125multi_tensor_apply_kernelINS1_18TensorListMetadataILi3EEENS1_24PointwiseOpScalarFunctorIsLi3ELi3ELi0EEEJSt7dividesIsEsEEEvT_T0_DpT1_.num_agpr, 0
	.set _ZN2at6native12_GLOBAL__N_125multi_tensor_apply_kernelINS1_18TensorListMetadataILi3EEENS1_24PointwiseOpScalarFunctorIsLi3ELi3ELi0EEEJSt7dividesIsEsEEEvT_T0_DpT1_.numbered_sgpr, 25
	.set _ZN2at6native12_GLOBAL__N_125multi_tensor_apply_kernelINS1_18TensorListMetadataILi3EEENS1_24PointwiseOpScalarFunctorIsLi3ELi3ELi0EEEJSt7dividesIsEsEEEvT_T0_DpT1_.num_named_barrier, 0
	.set _ZN2at6native12_GLOBAL__N_125multi_tensor_apply_kernelINS1_18TensorListMetadataILi3EEENS1_24PointwiseOpScalarFunctorIsLi3ELi3ELi0EEEJSt7dividesIsEsEEEvT_T0_DpT1_.private_seg_size, 0
	.set _ZN2at6native12_GLOBAL__N_125multi_tensor_apply_kernelINS1_18TensorListMetadataILi3EEENS1_24PointwiseOpScalarFunctorIsLi3ELi3ELi0EEEJSt7dividesIsEsEEEvT_T0_DpT1_.uses_vcc, 1
	.set _ZN2at6native12_GLOBAL__N_125multi_tensor_apply_kernelINS1_18TensorListMetadataILi3EEENS1_24PointwiseOpScalarFunctorIsLi3ELi3ELi0EEEJSt7dividesIsEsEEEvT_T0_DpT1_.uses_flat_scratch, 0
	.set _ZN2at6native12_GLOBAL__N_125multi_tensor_apply_kernelINS1_18TensorListMetadataILi3EEENS1_24PointwiseOpScalarFunctorIsLi3ELi3ELi0EEEJSt7dividesIsEsEEEvT_T0_DpT1_.has_dyn_sized_stack, 0
	.set _ZN2at6native12_GLOBAL__N_125multi_tensor_apply_kernelINS1_18TensorListMetadataILi3EEENS1_24PointwiseOpScalarFunctorIsLi3ELi3ELi0EEEJSt7dividesIsEsEEEvT_T0_DpT1_.has_recursion, 0
	.set _ZN2at6native12_GLOBAL__N_125multi_tensor_apply_kernelINS1_18TensorListMetadataILi3EEENS1_24PointwiseOpScalarFunctorIsLi3ELi3ELi0EEEJSt7dividesIsEsEEEvT_T0_DpT1_.has_indirect_call, 0
	.section	.AMDGPU.csdata,"",@progbits
; Kernel info:
; codeLenInByte = 2372
; TotalNumSgprs: 27
; NumVgprs: 52
; ScratchSize: 0
; MemoryBound: 0
; FloatMode: 240
; IeeeMode: 1
; LDSByteSize: 0 bytes/workgroup (compile time only)
; SGPRBlocks: 0
; VGPRBlocks: 3
; NumSGPRsForWavesPerEU: 27
; NumVGPRsForWavesPerEU: 52
; NamedBarCnt: 0
; Occupancy: 16
; WaveLimiterHint : 0
; COMPUTE_PGM_RSRC2:SCRATCH_EN: 0
; COMPUTE_PGM_RSRC2:USER_SGPR: 2
; COMPUTE_PGM_RSRC2:TRAP_HANDLER: 0
; COMPUTE_PGM_RSRC2:TGID_X_EN: 1
; COMPUTE_PGM_RSRC2:TGID_Y_EN: 0
; COMPUTE_PGM_RSRC2:TGID_Z_EN: 0
; COMPUTE_PGM_RSRC2:TIDIG_COMP_CNT: 0
	.section	.text._ZN2at6native12_GLOBAL__N_125multi_tensor_apply_kernelINS1_18TensorListMetadataILi3EEENS1_24PointwiseOpScalarFunctorIdLi3ELi3ELi0EEEJSt7dividesIdEdEEEvT_T0_DpT1_,"axG",@progbits,_ZN2at6native12_GLOBAL__N_125multi_tensor_apply_kernelINS1_18TensorListMetadataILi3EEENS1_24PointwiseOpScalarFunctorIdLi3ELi3ELi0EEEJSt7dividesIdEdEEEvT_T0_DpT1_,comdat
	.globl	_ZN2at6native12_GLOBAL__N_125multi_tensor_apply_kernelINS1_18TensorListMetadataILi3EEENS1_24PointwiseOpScalarFunctorIdLi3ELi3ELi0EEEJSt7dividesIdEdEEEvT_T0_DpT1_ ; -- Begin function _ZN2at6native12_GLOBAL__N_125multi_tensor_apply_kernelINS1_18TensorListMetadataILi3EEENS1_24PointwiseOpScalarFunctorIdLi3ELi3ELi0EEEJSt7dividesIdEdEEEvT_T0_DpT1_
	.p2align	8
	.type	_ZN2at6native12_GLOBAL__N_125multi_tensor_apply_kernelINS1_18TensorListMetadataILi3EEENS1_24PointwiseOpScalarFunctorIdLi3ELi3ELi0EEEJSt7dividesIdEdEEEvT_T0_DpT1_,@function
_ZN2at6native12_GLOBAL__N_125multi_tensor_apply_kernelINS1_18TensorListMetadataILi3EEENS1_24PointwiseOpScalarFunctorIdLi3ELi3ELi0EEEJSt7dividesIdEdEEEvT_T0_DpT1_: ; @_ZN2at6native12_GLOBAL__N_125multi_tensor_apply_kernelINS1_18TensorListMetadataILi3EEENS1_24PointwiseOpScalarFunctorIdLi3ELi3ELi0EEEJSt7dividesIdEdEEEvT_T0_DpT1_
; %bb.0:
	s_bfe_u32 s2, ttmp6, 0x4000c
	s_and_b32 s3, ttmp6, 15
	s_add_co_i32 s2, s2, 1
	s_getreg_b32 s4, hwreg(HW_REG_IB_STS2, 6, 4)
	s_mul_i32 s2, ttmp9, s2
	s_mov_b32 s17, 0
	s_add_co_i32 s3, s3, s2
	s_cmp_eq_u32 s4, 0
	s_load_b64 s[10:11], s[0:1], 0xc50
	s_cselect_b32 s16, ttmp9, s3
	s_delay_alu instid0(SALU_CYCLE_1) | instskip(SKIP_1) | instid1(SALU_CYCLE_1)
	s_add_nc_u64 s[2:3], s[0:1], s[16:17]
	s_mul_u64 s[4:5], s[16:17], 3
	s_add_nc_u64 s[2:3], s[2:3], s[4:5]
	s_clause 0x1
	s_load_b32 s20, s[2:3], 0x740
	s_load_u8 s6, s[0:1], s16 offset:0x600
	s_wait_kmcnt 0x0
	s_clause 0x3
	s_load_b64 s[2:3], s[0:1], s6 offset:0x180 scale_offset
	s_load_b64 s[4:5], s[0:1], s6 offset:0x300 scale_offset
	;; [unrolled: 1-line block ×4, first 2 shown]
	s_ashr_i32 s21, s20, 31
	s_delay_alu instid0(SALU_CYCLE_1)
	s_lshl_b64 s[14:15], s[20:21], 19
	s_wait_kmcnt 0x0
	s_add_nc_u64 s[6:7], s[2:3], s[14:15]
	s_add_nc_u64 s[8:9], s[4:5], s[14:15]
	;; [unrolled: 1-line block ×3, first 2 shown]
	s_or_b32 s16, s8, s6
	s_and_b64 s[24:25], s[12:13], 31
	s_and_b32 s16, s16, 31
	s_delay_alu instid0(SALU_CYCLE_1) | instskip(SKIP_4) | instid1(SALU_CYCLE_1)
	s_cmp_eq_u32 s16, 0
	s_cselect_b32 s26, -1, 0
	s_and_b32 s16, s22, 3
	s_lshl_b64 s[20:21], s[20:21], 16
	s_or_b64 s[16:17], s[24:25], s[16:17]
	s_cmp_eq_u64 s[16:17], 0
	s_cselect_b32 s16, -1, 0
	s_delay_alu instid0(SALU_CYCLE_1)
	s_and_b32 s24, s26, s16
	s_sub_nc_u64 s[16:17], s[22:23], s[20:21]
	s_and_b32 vcc_lo, exec_lo, s24
	s_mov_b32 s20, -1
	s_cbranch_vccnz .LBB71_45
; %bb.1:
	v_cmp_lt_i64_e64 s20, s[16:17], 1
	s_and_b32 vcc_lo, exec_lo, s20
	s_cbranch_vccnz .LBB71_44
; %bb.2:
	s_load_b32 s20, s[0:1], 0xc64
	v_min_i64 v[2:3], 0x10000, s[16:17]
	v_min_u64 v[4:5], 0x10000, s[16:17]
	v_cmp_neq_f64_e64 s24, s[10:11], 1.0
	v_dual_mov_b32 v1, 0 :: v_dual_lshlrev_b32 v12, 3, v0
	s_mov_b32 s21, 0
	s_delay_alu instid0(SALU_CYCLE_1) | instskip(NEXT) | instid1(VALU_DEP_1)
	s_mov_b32 s29, s21
	v_dual_mov_b32 v13, v1 :: v_dual_mov_b32 v35, v1
	s_mov_b32 s23, s21
	s_mov_b32 s27, s21
	s_delay_alu instid0(VALU_DEP_1) | instskip(SKIP_3) | instid1(SALU_CYCLE_1)
	v_add_nc_u64_e32 v[6:7], s[18:19], v[12:13]
	v_add_nc_u64_e32 v[8:9], s[2:3], v[12:13]
	s_wait_kmcnt 0x0
	s_and_b32 s20, s20, 0xffff
	v_add_nc_u64_e32 v[10:11], s[20:21], v[0:1]
	v_mad_nc_u64_u32 v[28:29], s20, 24, v[12:13]
	s_lshl_b32 s28, s20, 4
	s_mul_i32 s26, s20, 3
	v_add_nc_u64_e32 v[22:23], s[28:29], v[12:13]
	s_lshl_b32 s22, s20, 1
	v_add_nc_u64_e32 v[12:13], s[4:5], v[12:13]
	v_lshlrev_b32_e32 v34, 3, v10
	v_add_nc_u64_e32 v[14:15], s[26:27], v[0:1]
	v_add_nc_u64_e32 v[16:17], s[22:23], v[0:1]
	s_mov_b64 s[22:23], 0
	v_add_nc_u64_e32 v[18:19], s[18:19], v[22:23]
	v_add_nc_u64_e32 v[20:21], s[2:3], v[22:23]
	;; [unrolled: 1-line block ×9, first 2 shown]
	s_lshl_b32 s18, s20, 2
	s_mov_b32 s19, s21
	s_lshl_b32 s20, s20, 5
	s_branch .LBB71_4
.LBB71_3:                               ;   in Loop: Header=BB71_4 Depth=1
	s_wait_xcnt 0x0
	s_or_b32 exec_lo, exec_lo, s2
	s_add_nc_u64 s[22:23], s[22:23], s[18:19]
	v_add_nc_u64_e32 v[6:7], s[20:21], v[6:7]
	v_cmp_ge_i64_e32 vcc_lo, s[22:23], v[2:3]
	v_add_nc_u64_e32 v[8:9], s[20:21], v[8:9]
	v_add_nc_u64_e32 v[12:13], s[20:21], v[12:13]
	;; [unrolled: 1-line block ×11, first 2 shown]
	s_cbranch_vccnz .LBB71_44
.LBB71_4:                               ; =>This Inner Loop Header: Depth=1
	v_add_nc_u64_e32 v[36:37], s[22:23], v[0:1]
	v_mov_b64_e32 v[56:57], 0
	v_mov_b64_e32 v[58:59], 0
	;; [unrolled: 1-line block ×3, first 2 shown]
	s_delay_alu instid0(VALU_DEP_4)
	v_cmp_lt_u64_e64 s2, v[36:37], v[4:5]
	s_and_saveexec_b32 s3, s2
	s_cbranch_execz .LBB71_6
; %bb.5:                                ;   in Loop: Header=BB71_4 Depth=1
	v_add_nc_u64_e32 v[36:37], s[14:15], v[6:7]
	v_add_nc_u64_e32 v[38:39], s[14:15], v[8:9]
	global_load_b64 v[42:43], v[36:37], off
	global_load_b64 v[58:59], v[38:39], off
.LBB71_6:                               ;   in Loop: Header=BB71_4 Depth=1
	s_wait_xcnt 0x0
	s_or_b32 exec_lo, exec_lo, s3
	s_and_saveexec_b32 s3, s2
	s_cbranch_execz .LBB71_8
; %bb.7:                                ;   in Loop: Header=BB71_4 Depth=1
	v_add_nc_u64_e32 v[36:37], s[14:15], v[12:13]
	global_load_b64 v[56:57], v[36:37], off
.LBB71_8:                               ;   in Loop: Header=BB71_4 Depth=1
	s_wait_xcnt 0x0
	s_or_b32 exec_lo, exec_lo, s3
	v_add_nc_u64_e32 v[36:37], s[22:23], v[10:11]
	v_mov_b64_e32 v[52:53], 0
	v_mov_b64_e32 v[54:55], 0
	;; [unrolled: 1-line block ×3, first 2 shown]
	s_delay_alu instid0(VALU_DEP_4)
	v_cmp_lt_u64_e64 s3, v[36:37], v[4:5]
	s_and_saveexec_b32 s4, s3
	s_cbranch_execz .LBB71_10
; %bb.9:                                ;   in Loop: Header=BB71_4 Depth=1
	v_add_nc_u64_e32 v[36:37], s[14:15], v[30:31]
	v_add_nc_u64_e32 v[38:39], s[14:15], v[32:33]
	global_load_b64 v[40:41], v[36:37], off
	global_load_b64 v[54:55], v[38:39], off
.LBB71_10:                              ;   in Loop: Header=BB71_4 Depth=1
	s_wait_xcnt 0x0
	s_or_b32 exec_lo, exec_lo, s4
	s_and_saveexec_b32 s4, s3
	s_cbranch_execz .LBB71_12
; %bb.11:                               ;   in Loop: Header=BB71_4 Depth=1
	v_add_nc_u64_e32 v[36:37], s[14:15], v[34:35]
	global_load_b64 v[52:53], v[36:37], off
.LBB71_12:                              ;   in Loop: Header=BB71_4 Depth=1
	s_wait_xcnt 0x0
	s_or_b32 exec_lo, exec_lo, s4
	v_add_nc_u64_e32 v[36:37], s[22:23], v[16:17]
	v_mov_b64_e32 v[48:49], 0
	v_mov_b64_e32 v[50:51], 0
	;; [unrolled: 1-line block ×3, first 2 shown]
	s_delay_alu instid0(VALU_DEP_4)
	v_cmp_lt_u64_e64 s4, v[36:37], v[4:5]
	s_and_saveexec_b32 s5, s4
	s_cbranch_execz .LBB71_14
; %bb.13:                               ;   in Loop: Header=BB71_4 Depth=1
	v_add_nc_u64_e32 v[36:37], s[14:15], v[18:19]
	v_add_nc_u64_e32 v[44:45], s[14:15], v[20:21]
	global_load_b64 v[38:39], v[36:37], off
	global_load_b64 v[50:51], v[44:45], off
.LBB71_14:                              ;   in Loop: Header=BB71_4 Depth=1
	s_wait_xcnt 0x0
	s_or_b32 exec_lo, exec_lo, s5
	s_and_saveexec_b32 s5, s4
	s_cbranch_execz .LBB71_16
; %bb.15:                               ;   in Loop: Header=BB71_4 Depth=1
	v_add_nc_u64_e32 v[36:37], s[14:15], v[22:23]
	global_load_b64 v[48:49], v[36:37], off
.LBB71_16:                              ;   in Loop: Header=BB71_4 Depth=1
	s_wait_xcnt 0x0
	s_or_b32 exec_lo, exec_lo, s5
	v_add_nc_u64_e32 v[36:37], s[22:23], v[14:15]
	v_mov_b64_e32 v[44:45], 0
	v_mov_b64_e32 v[46:47], 0
	s_delay_alu instid0(VALU_DEP_3)
	v_cmp_lt_u64_e64 s5, v[36:37], v[4:5]
	v_mov_b64_e32 v[36:37], 0
	s_and_saveexec_b32 s25, s5
	s_cbranch_execz .LBB71_18
; %bb.17:                               ;   in Loop: Header=BB71_4 Depth=1
	v_add_nc_u64_e32 v[60:61], s[14:15], v[24:25]
	v_add_nc_u64_e32 v[62:63], s[14:15], v[26:27]
	global_load_b64 v[36:37], v[60:61], off
	global_load_b64 v[46:47], v[62:63], off
.LBB71_18:                              ;   in Loop: Header=BB71_4 Depth=1
	s_wait_xcnt 0x0
	s_or_b32 exec_lo, exec_lo, s25
	s_and_saveexec_b32 s25, s5
	s_cbranch_execz .LBB71_20
; %bb.19:                               ;   in Loop: Header=BB71_4 Depth=1
	v_add_nc_u64_e32 v[44:45], s[14:15], v[28:29]
	global_load_b64 v[44:45], v[44:45], off
.LBB71_20:                              ;   in Loop: Header=BB71_4 Depth=1
	s_wait_xcnt 0x0
	s_or_b32 exec_lo, exec_lo, s25
	s_wait_loadcnt 0x0
	v_div_scale_f64 v[60:61], null, v[56:57], v[56:57], v[58:59]
	s_delay_alu instid0(VALU_DEP_1) | instskip(SKIP_1) | instid1(TRANS32_DEP_1)
	v_rcp_f64_e32 v[62:63], v[60:61]
	v_nop
	v_fma_f64 v[64:65], -v[60:61], v[62:63], 1.0
	s_delay_alu instid0(VALU_DEP_1) | instskip(NEXT) | instid1(VALU_DEP_1)
	v_fmac_f64_e32 v[62:63], v[62:63], v[64:65]
	v_fma_f64 v[64:65], -v[60:61], v[62:63], 1.0
	s_delay_alu instid0(VALU_DEP_1) | instskip(SKIP_1) | instid1(VALU_DEP_1)
	v_fmac_f64_e32 v[62:63], v[62:63], v[64:65]
	v_div_scale_f64 v[64:65], vcc_lo, v[58:59], v[56:57], v[58:59]
	v_mul_f64_e32 v[66:67], v[64:65], v[62:63]
	s_delay_alu instid0(VALU_DEP_1) | instskip(NEXT) | instid1(VALU_DEP_1)
	v_fma_f64 v[60:61], -v[60:61], v[66:67], v[64:65]
	v_div_fmas_f64 v[60:61], v[60:61], v[62:63], v[66:67]
	s_and_b32 vcc_lo, exec_lo, s24
	s_delay_alu instid0(VALU_DEP_1)
	v_div_fixup_f64 v[58:59], v[60:61], v[56:57], v[58:59]
	s_cbranch_vccz .LBB71_40
; %bb.21:                               ;   in Loop: Header=BB71_4 Depth=1
	s_delay_alu instid0(VALU_DEP_1)
	v_fma_f64 v[56:57], s[10:11], v[58:59], v[42:43]
	s_cbranch_execnz .LBB71_23
.LBB71_22:                              ;   in Loop: Header=BB71_4 Depth=1
	s_delay_alu instid0(VALU_DEP_1)
	v_add_f64_e32 v[56:57], v[42:43], v[58:59]
.LBB71_23:                              ;   in Loop: Header=BB71_4 Depth=1
	v_div_scale_f64 v[42:43], null, v[52:53], v[52:53], v[54:55]
	s_delay_alu instid0(VALU_DEP_1) | instskip(SKIP_1) | instid1(TRANS32_DEP_1)
	v_rcp_f64_e32 v[58:59], v[42:43]
	v_nop
	v_fma_f64 v[60:61], -v[42:43], v[58:59], 1.0
	s_delay_alu instid0(VALU_DEP_1) | instskip(NEXT) | instid1(VALU_DEP_1)
	v_fmac_f64_e32 v[58:59], v[58:59], v[60:61]
	v_fma_f64 v[60:61], -v[42:43], v[58:59], 1.0
	s_delay_alu instid0(VALU_DEP_1) | instskip(SKIP_1) | instid1(VALU_DEP_1)
	v_fmac_f64_e32 v[58:59], v[58:59], v[60:61]
	v_div_scale_f64 v[60:61], vcc_lo, v[54:55], v[52:53], v[54:55]
	v_mul_f64_e32 v[62:63], v[60:61], v[58:59]
	s_delay_alu instid0(VALU_DEP_1) | instskip(NEXT) | instid1(VALU_DEP_1)
	v_fma_f64 v[42:43], -v[42:43], v[62:63], v[60:61]
	v_div_fmas_f64 v[42:43], v[42:43], v[58:59], v[62:63]
	s_and_not1_b32 vcc_lo, exec_lo, s24
	s_delay_alu instid0(VALU_DEP_1)
	v_div_fixup_f64 v[52:53], v[42:43], v[52:53], v[54:55]
	s_cbranch_vccnz .LBB71_41
; %bb.24:                               ;   in Loop: Header=BB71_4 Depth=1
	s_delay_alu instid0(VALU_DEP_1)
	v_fma_f64 v[42:43], s[10:11], v[52:53], v[40:41]
	s_cbranch_execnz .LBB71_26
.LBB71_25:                              ;   in Loop: Header=BB71_4 Depth=1
	s_delay_alu instid0(VALU_DEP_1)
	v_add_f64_e32 v[42:43], v[40:41], v[52:53]
.LBB71_26:                              ;   in Loop: Header=BB71_4 Depth=1
	v_div_scale_f64 v[40:41], null, v[48:49], v[48:49], v[50:51]
	s_delay_alu instid0(VALU_DEP_1) | instskip(SKIP_1) | instid1(TRANS32_DEP_1)
	v_rcp_f64_e32 v[52:53], v[40:41]
	v_nop
	v_fma_f64 v[54:55], -v[40:41], v[52:53], 1.0
	s_delay_alu instid0(VALU_DEP_1) | instskip(NEXT) | instid1(VALU_DEP_1)
	v_fmac_f64_e32 v[52:53], v[52:53], v[54:55]
	v_fma_f64 v[54:55], -v[40:41], v[52:53], 1.0
	s_delay_alu instid0(VALU_DEP_1) | instskip(SKIP_1) | instid1(VALU_DEP_1)
	v_fmac_f64_e32 v[52:53], v[52:53], v[54:55]
	v_div_scale_f64 v[54:55], vcc_lo, v[50:51], v[48:49], v[50:51]
	v_mul_f64_e32 v[58:59], v[54:55], v[52:53]
	s_delay_alu instid0(VALU_DEP_1) | instskip(NEXT) | instid1(VALU_DEP_1)
	v_fma_f64 v[40:41], -v[40:41], v[58:59], v[54:55]
	v_div_fmas_f64 v[40:41], v[40:41], v[52:53], v[58:59]
	s_and_not1_b32 vcc_lo, exec_lo, s24
	s_delay_alu instid0(VALU_DEP_1)
	v_div_fixup_f64 v[48:49], v[40:41], v[48:49], v[50:51]
	s_cbranch_vccnz .LBB71_42
; %bb.27:                               ;   in Loop: Header=BB71_4 Depth=1
	s_delay_alu instid0(VALU_DEP_1)
	v_fma_f64 v[40:41], s[10:11], v[48:49], v[38:39]
	s_cbranch_execnz .LBB71_29
.LBB71_28:                              ;   in Loop: Header=BB71_4 Depth=1
	s_delay_alu instid0(VALU_DEP_1)
	v_add_f64_e32 v[40:41], v[38:39], v[48:49]
.LBB71_29:                              ;   in Loop: Header=BB71_4 Depth=1
	v_div_scale_f64 v[38:39], null, v[44:45], v[44:45], v[46:47]
	s_delay_alu instid0(VALU_DEP_1) | instskip(SKIP_1) | instid1(TRANS32_DEP_1)
	v_rcp_f64_e32 v[48:49], v[38:39]
	v_nop
	v_fma_f64 v[50:51], -v[38:39], v[48:49], 1.0
	s_delay_alu instid0(VALU_DEP_1) | instskip(NEXT) | instid1(VALU_DEP_1)
	v_fmac_f64_e32 v[48:49], v[48:49], v[50:51]
	v_fma_f64 v[50:51], -v[38:39], v[48:49], 1.0
	s_delay_alu instid0(VALU_DEP_1) | instskip(SKIP_1) | instid1(VALU_DEP_1)
	v_fmac_f64_e32 v[48:49], v[48:49], v[50:51]
	v_div_scale_f64 v[50:51], vcc_lo, v[46:47], v[44:45], v[46:47]
	v_mul_f64_e32 v[52:53], v[50:51], v[48:49]
	s_delay_alu instid0(VALU_DEP_1) | instskip(NEXT) | instid1(VALU_DEP_1)
	v_fma_f64 v[38:39], -v[38:39], v[52:53], v[50:51]
	v_div_fmas_f64 v[38:39], v[38:39], v[48:49], v[52:53]
	s_and_not1_b32 vcc_lo, exec_lo, s24
	s_delay_alu instid0(VALU_DEP_1)
	v_div_fixup_f64 v[44:45], v[38:39], v[44:45], v[46:47]
	s_cbranch_vccnz .LBB71_43
; %bb.30:                               ;   in Loop: Header=BB71_4 Depth=1
	s_delay_alu instid0(VALU_DEP_1)
	v_fma_f64 v[38:39], s[10:11], v[44:45], v[36:37]
	s_cbranch_execnz .LBB71_32
.LBB71_31:                              ;   in Loop: Header=BB71_4 Depth=1
	s_delay_alu instid0(VALU_DEP_1)
	v_add_f64_e32 v[38:39], v[36:37], v[44:45]
.LBB71_32:                              ;   in Loop: Header=BB71_4 Depth=1
	s_and_saveexec_b32 s25, s2
	s_delay_alu instid0(SALU_CYCLE_1)
	s_xor_b32 s2, exec_lo, s25
	s_cbranch_execnz .LBB71_36
; %bb.33:                               ;   in Loop: Header=BB71_4 Depth=1
	s_or_b32 exec_lo, exec_lo, s2
	s_and_saveexec_b32 s2, s3
	s_cbranch_execnz .LBB71_37
.LBB71_34:                              ;   in Loop: Header=BB71_4 Depth=1
	s_or_b32 exec_lo, exec_lo, s2
	s_and_saveexec_b32 s2, s4
	s_cbranch_execnz .LBB71_38
.LBB71_35:                              ;   in Loop: Header=BB71_4 Depth=1
	s_or_b32 exec_lo, exec_lo, s2
	s_and_saveexec_b32 s2, s5
	s_cbranch_execz .LBB71_3
	s_branch .LBB71_39
.LBB71_36:                              ;   in Loop: Header=BB71_4 Depth=1
	v_add_nc_u64_e32 v[36:37], s[14:15], v[6:7]
	global_store_b64 v[36:37], v[56:57], off
	s_wait_xcnt 0x0
	s_or_b32 exec_lo, exec_lo, s2
	s_and_saveexec_b32 s2, s3
	s_cbranch_execz .LBB71_34
.LBB71_37:                              ;   in Loop: Header=BB71_4 Depth=1
	v_add_nc_u64_e32 v[36:37], s[14:15], v[30:31]
	global_store_b64 v[36:37], v[42:43], off
	s_wait_xcnt 0x0
	s_or_b32 exec_lo, exec_lo, s2
	s_and_saveexec_b32 s2, s4
	s_cbranch_execz .LBB71_35
.LBB71_38:                              ;   in Loop: Header=BB71_4 Depth=1
	v_add_nc_u64_e32 v[36:37], s[14:15], v[18:19]
	global_store_b64 v[36:37], v[40:41], off
	s_wait_xcnt 0x0
	s_or_b32 exec_lo, exec_lo, s2
	s_and_saveexec_b32 s2, s5
	s_cbranch_execz .LBB71_3
.LBB71_39:                              ;   in Loop: Header=BB71_4 Depth=1
	v_add_nc_u64_e32 v[36:37], s[14:15], v[24:25]
	global_store_b64 v[36:37], v[38:39], off
	s_branch .LBB71_3
.LBB71_40:                              ;   in Loop: Header=BB71_4 Depth=1
                                        ; implicit-def: $vgpr56_vgpr57
	s_branch .LBB71_22
.LBB71_41:                              ;   in Loop: Header=BB71_4 Depth=1
                                        ; implicit-def: $vgpr42_vgpr43
	s_branch .LBB71_25
.LBB71_42:                              ;   in Loop: Header=BB71_4 Depth=1
                                        ; implicit-def: $vgpr40_vgpr41
	s_branch .LBB71_28
.LBB71_43:                              ;   in Loop: Header=BB71_4 Depth=1
                                        ; implicit-def: $vgpr38_vgpr39
	s_branch .LBB71_31
.LBB71_44:
	s_mov_b32 s20, 0
.LBB71_45:
	s_delay_alu instid0(SALU_CYCLE_1)
	s_and_not1_b32 vcc_lo, exec_lo, s20
	s_cbranch_vccnz .LBB71_65
; %bb.46:
	v_min_i64 v[26:27], 0x10000, s[16:17]
	v_dual_mov_b32 v29, 0 :: v_dual_lshlrev_b32 v28, 2, v0
	s_mov_b32 s2, exec_lo
	s_delay_alu instid0(VALU_DEP_1)
	v_cmpx_lt_i64_e64 v[28:29], v[26:27]
	s_cbranch_execz .LBB71_65
; %bb.47:
	v_cmp_neq_f64_e64 s4, s[10:11], 1.0
	s_load_b32 s0, s[0:1], 0xc64
	v_dual_mov_b32 v1, v29 :: v_dual_lshlrev_b32 v28, 5, v0
	s_wait_xcnt 0x0
	s_mov_b32 s1, 0
	s_delay_alu instid0(SALU_CYCLE_1) | instskip(SKIP_3) | instid1(SALU_CYCLE_1)
	s_mov_b32 s3, s1
	s_mov_b32 s5, s1
	s_wait_kmcnt 0x0
	s_and_b32 s0, s0, 0xffff
	s_lshl_b32 s2, s0, 5
	s_branch .LBB71_49
.LBB71_48:                              ;   in Loop: Header=BB71_49 Depth=1
	v_add_nc_u64_e32 v[0:1], s[0:1], v[0:1]
	s_add_nc_u64 s[8:9], s[8:9], s[2:3]
	s_add_nc_u64 s[12:13], s[12:13], s[2:3]
	;; [unrolled: 1-line block ×3, first 2 shown]
	s_clause 0x1
	global_store_b128 v[30:31], v[6:9], off
	global_store_b128 v[30:31], v[10:13], off offset:16
	v_lshlrev_b64_e32 v[2:3], 2, v[0:1]
	s_delay_alu instid0(VALU_DEP_1)
	v_cmp_ge_i64_e32 vcc_lo, v[2:3], v[26:27]
	s_or_b32 s5, vcc_lo, s5
	s_wait_xcnt 0x0
	s_and_not1_b32 exec_lo, exec_lo, s5
	s_cbranch_execz .LBB71_65
.LBB71_49:                              ; =>This Inner Loop Header: Depth=1
	v_add_nc_u64_e32 v[32:33], s[6:7], v[28:29]
	v_add_nc_u64_e32 v[34:35], s[8:9], v[28:29]
	;; [unrolled: 1-line block ×3, first 2 shown]
	global_load_b128 v[6:9], v[32:33], off
	global_load_b128 v[22:25], v[34:35], off
	global_load_b128 v[10:13], v[32:33], off offset:16
	global_load_b128 v[14:17], v[34:35], off offset:16
	s_clause 0x1
	global_load_b128 v[2:5], v[30:31], off offset:16
	global_load_b128 v[18:21], v[30:31], off
	s_wait_loadcnt 0x4
	v_div_scale_f64 v[36:37], null, v[22:23], v[22:23], v[6:7]
	s_wait_xcnt 0x3
	s_delay_alu instid0(VALU_DEP_1) | instskip(SKIP_2) | instid1(TRANS32_DEP_1)
	v_rcp_f64_e32 v[32:33], v[36:37]
	s_wait_xcnt 0x2
	v_nop
	v_fma_f64 v[34:35], -v[36:37], v[32:33], 1.0
	s_delay_alu instid0(VALU_DEP_1) | instskip(NEXT) | instid1(VALU_DEP_1)
	v_fmac_f64_e32 v[32:33], v[32:33], v[34:35]
	v_fma_f64 v[34:35], -v[36:37], v[32:33], 1.0
	s_delay_alu instid0(VALU_DEP_1) | instskip(SKIP_1) | instid1(VALU_DEP_1)
	v_fmac_f64_e32 v[32:33], v[32:33], v[34:35]
	v_div_scale_f64 v[34:35], vcc_lo, v[6:7], v[22:23], v[6:7]
	v_mul_f64_e32 v[38:39], v[34:35], v[32:33]
	s_delay_alu instid0(VALU_DEP_1) | instskip(NEXT) | instid1(VALU_DEP_1)
	v_fma_f64 v[34:35], -v[36:37], v[38:39], v[34:35]
	v_div_fmas_f64 v[32:33], v[34:35], v[32:33], v[38:39]
	s_and_b32 vcc_lo, exec_lo, s4
	s_delay_alu instid0(VALU_DEP_1)
	v_div_fixup_f64 v[22:23], v[32:33], v[22:23], v[6:7]
	s_cbranch_vccz .LBB71_60
; %bb.50:                               ;   in Loop: Header=BB71_49 Depth=1
	s_wait_loadcnt 0x0
	s_delay_alu instid0(VALU_DEP_1)
	v_fma_f64 v[6:7], s[10:11], v[22:23], v[18:19]
	s_cbranch_execnz .LBB71_52
.LBB71_51:                              ;   in Loop: Header=BB71_49 Depth=1
	s_wait_loadcnt 0x0
	s_delay_alu instid0(VALU_DEP_1)
	v_add_f64_e32 v[6:7], v[18:19], v[22:23]
.LBB71_52:                              ;   in Loop: Header=BB71_49 Depth=1
	s_wait_loadcnt 0x0
	v_div_scale_f64 v[18:19], null, v[24:25], v[24:25], v[8:9]
	s_delay_alu instid0(VALU_DEP_1) | instskip(SKIP_1) | instid1(TRANS32_DEP_1)
	v_rcp_f64_e32 v[22:23], v[18:19]
	v_nop
	v_fma_f64 v[32:33], -v[18:19], v[22:23], 1.0
	s_delay_alu instid0(VALU_DEP_1) | instskip(NEXT) | instid1(VALU_DEP_1)
	v_fmac_f64_e32 v[22:23], v[22:23], v[32:33]
	v_fma_f64 v[32:33], -v[18:19], v[22:23], 1.0
	s_delay_alu instid0(VALU_DEP_1) | instskip(SKIP_1) | instid1(VALU_DEP_1)
	v_fmac_f64_e32 v[22:23], v[22:23], v[32:33]
	v_div_scale_f64 v[32:33], vcc_lo, v[8:9], v[24:25], v[8:9]
	v_mul_f64_e32 v[34:35], v[32:33], v[22:23]
	s_delay_alu instid0(VALU_DEP_1) | instskip(NEXT) | instid1(VALU_DEP_1)
	v_fma_f64 v[18:19], -v[18:19], v[34:35], v[32:33]
	v_div_fmas_f64 v[18:19], v[18:19], v[22:23], v[34:35]
	s_and_not1_b32 vcc_lo, exec_lo, s4
	s_delay_alu instid0(VALU_DEP_1)
	v_div_fixup_f64 v[18:19], v[18:19], v[24:25], v[8:9]
	s_cbranch_vccnz .LBB71_61
; %bb.53:                               ;   in Loop: Header=BB71_49 Depth=1
	s_delay_alu instid0(VALU_DEP_1)
	v_fma_f64 v[8:9], s[10:11], v[18:19], v[20:21]
	s_cbranch_execnz .LBB71_55
.LBB71_54:                              ;   in Loop: Header=BB71_49 Depth=1
	s_delay_alu instid0(VALU_DEP_1)
	v_add_f64_e32 v[8:9], v[20:21], v[18:19]
.LBB71_55:                              ;   in Loop: Header=BB71_49 Depth=1
	v_div_scale_f64 v[18:19], null, v[14:15], v[14:15], v[10:11]
	s_delay_alu instid0(VALU_DEP_1) | instskip(SKIP_1) | instid1(TRANS32_DEP_1)
	v_rcp_f64_e32 v[20:21], v[18:19]
	v_nop
	v_fma_f64 v[22:23], -v[18:19], v[20:21], 1.0
	s_delay_alu instid0(VALU_DEP_1) | instskip(NEXT) | instid1(VALU_DEP_1)
	v_fmac_f64_e32 v[20:21], v[20:21], v[22:23]
	v_fma_f64 v[22:23], -v[18:19], v[20:21], 1.0
	s_delay_alu instid0(VALU_DEP_1) | instskip(SKIP_1) | instid1(VALU_DEP_1)
	v_fmac_f64_e32 v[20:21], v[20:21], v[22:23]
	v_div_scale_f64 v[22:23], vcc_lo, v[10:11], v[14:15], v[10:11]
	v_mul_f64_e32 v[24:25], v[22:23], v[20:21]
	s_delay_alu instid0(VALU_DEP_1) | instskip(NEXT) | instid1(VALU_DEP_1)
	v_fma_f64 v[18:19], -v[18:19], v[24:25], v[22:23]
	v_div_fmas_f64 v[18:19], v[18:19], v[20:21], v[24:25]
	s_and_not1_b32 vcc_lo, exec_lo, s4
	s_delay_alu instid0(VALU_DEP_1)
	v_div_fixup_f64 v[14:15], v[18:19], v[14:15], v[10:11]
	s_cbranch_vccnz .LBB71_62
; %bb.56:                               ;   in Loop: Header=BB71_49 Depth=1
	s_delay_alu instid0(VALU_DEP_1)
	v_fma_f64 v[10:11], s[10:11], v[14:15], v[2:3]
	s_cbranch_execnz .LBB71_58
.LBB71_57:                              ;   in Loop: Header=BB71_49 Depth=1
	s_delay_alu instid0(VALU_DEP_1)
	v_add_f64_e32 v[10:11], v[2:3], v[14:15]
.LBB71_58:                              ;   in Loop: Header=BB71_49 Depth=1
	v_div_scale_f64 v[2:3], null, v[16:17], v[16:17], v[12:13]
	s_delay_alu instid0(VALU_DEP_1) | instskip(SKIP_1) | instid1(TRANS32_DEP_1)
	v_rcp_f64_e32 v[14:15], v[2:3]
	v_nop
	v_fma_f64 v[18:19], -v[2:3], v[14:15], 1.0
	s_delay_alu instid0(VALU_DEP_1) | instskip(NEXT) | instid1(VALU_DEP_1)
	v_fmac_f64_e32 v[14:15], v[14:15], v[18:19]
	v_fma_f64 v[18:19], -v[2:3], v[14:15], 1.0
	s_delay_alu instid0(VALU_DEP_1) | instskip(SKIP_1) | instid1(VALU_DEP_1)
	v_fmac_f64_e32 v[14:15], v[14:15], v[18:19]
	v_div_scale_f64 v[18:19], vcc_lo, v[12:13], v[16:17], v[12:13]
	v_mul_f64_e32 v[20:21], v[18:19], v[14:15]
	s_delay_alu instid0(VALU_DEP_1) | instskip(NEXT) | instid1(VALU_DEP_1)
	v_fma_f64 v[2:3], -v[2:3], v[20:21], v[18:19]
	v_div_fmas_f64 v[2:3], v[2:3], v[14:15], v[20:21]
	s_and_not1_b32 vcc_lo, exec_lo, s4
	s_delay_alu instid0(VALU_DEP_1)
	v_div_fixup_f64 v[2:3], v[2:3], v[16:17], v[12:13]
	s_cbranch_vccnz .LBB71_63
; %bb.59:                               ;   in Loop: Header=BB71_49 Depth=1
	s_delay_alu instid0(VALU_DEP_1)
	v_fma_f64 v[12:13], s[10:11], v[2:3], v[4:5]
	s_cbranch_execnz .LBB71_48
	s_branch .LBB71_64
.LBB71_60:                              ;   in Loop: Header=BB71_49 Depth=1
                                        ; implicit-def: $vgpr6_vgpr7
	s_branch .LBB71_51
.LBB71_61:                              ;   in Loop: Header=BB71_49 Depth=1
	s_branch .LBB71_54
.LBB71_62:                              ;   in Loop: Header=BB71_49 Depth=1
                                        ; implicit-def: $vgpr10_vgpr11
	s_branch .LBB71_57
.LBB71_63:                              ;   in Loop: Header=BB71_49 Depth=1
.LBB71_64:                              ;   in Loop: Header=BB71_49 Depth=1
	s_delay_alu instid0(VALU_DEP_1)
	v_add_f64_e32 v[12:13], v[4:5], v[2:3]
	s_branch .LBB71_48
.LBB71_65:
	s_sendmsg sendmsg(MSG_DEALLOC_VGPRS)
	s_endpgm
	.section	.rodata,"a",@progbits
	.p2align	6, 0x0
	.amdhsa_kernel _ZN2at6native12_GLOBAL__N_125multi_tensor_apply_kernelINS1_18TensorListMetadataILi3EEENS1_24PointwiseOpScalarFunctorIdLi3ELi3ELi0EEEJSt7dividesIdEdEEEvT_T0_DpT1_
		.amdhsa_group_segment_fixed_size 0
		.amdhsa_private_segment_fixed_size 0
		.amdhsa_kernarg_size 3416
		.amdhsa_user_sgpr_count 2
		.amdhsa_user_sgpr_dispatch_ptr 0
		.amdhsa_user_sgpr_queue_ptr 0
		.amdhsa_user_sgpr_kernarg_segment_ptr 1
		.amdhsa_user_sgpr_dispatch_id 0
		.amdhsa_user_sgpr_kernarg_preload_length 0
		.amdhsa_user_sgpr_kernarg_preload_offset 0
		.amdhsa_user_sgpr_private_segment_size 0
		.amdhsa_wavefront_size32 1
		.amdhsa_uses_dynamic_stack 0
		.amdhsa_enable_private_segment 0
		.amdhsa_system_sgpr_workgroup_id_x 1
		.amdhsa_system_sgpr_workgroup_id_y 0
		.amdhsa_system_sgpr_workgroup_id_z 0
		.amdhsa_system_sgpr_workgroup_info 0
		.amdhsa_system_vgpr_workitem_id 0
		.amdhsa_next_free_vgpr 68
		.amdhsa_next_free_sgpr 30
		.amdhsa_named_barrier_count 0
		.amdhsa_reserve_vcc 1
		.amdhsa_float_round_mode_32 0
		.amdhsa_float_round_mode_16_64 0
		.amdhsa_float_denorm_mode_32 3
		.amdhsa_float_denorm_mode_16_64 3
		.amdhsa_fp16_overflow 0
		.amdhsa_memory_ordered 1
		.amdhsa_forward_progress 1
		.amdhsa_inst_pref_size 20
		.amdhsa_round_robin_scheduling 0
		.amdhsa_exception_fp_ieee_invalid_op 0
		.amdhsa_exception_fp_denorm_src 0
		.amdhsa_exception_fp_ieee_div_zero 0
		.amdhsa_exception_fp_ieee_overflow 0
		.amdhsa_exception_fp_ieee_underflow 0
		.amdhsa_exception_fp_ieee_inexact 0
		.amdhsa_exception_int_div_zero 0
	.end_amdhsa_kernel
	.section	.text._ZN2at6native12_GLOBAL__N_125multi_tensor_apply_kernelINS1_18TensorListMetadataILi3EEENS1_24PointwiseOpScalarFunctorIdLi3ELi3ELi0EEEJSt7dividesIdEdEEEvT_T0_DpT1_,"axG",@progbits,_ZN2at6native12_GLOBAL__N_125multi_tensor_apply_kernelINS1_18TensorListMetadataILi3EEENS1_24PointwiseOpScalarFunctorIdLi3ELi3ELi0EEEJSt7dividesIdEdEEEvT_T0_DpT1_,comdat
.Lfunc_end71:
	.size	_ZN2at6native12_GLOBAL__N_125multi_tensor_apply_kernelINS1_18TensorListMetadataILi3EEENS1_24PointwiseOpScalarFunctorIdLi3ELi3ELi0EEEJSt7dividesIdEdEEEvT_T0_DpT1_, .Lfunc_end71-_ZN2at6native12_GLOBAL__N_125multi_tensor_apply_kernelINS1_18TensorListMetadataILi3EEENS1_24PointwiseOpScalarFunctorIdLi3ELi3ELi0EEEJSt7dividesIdEdEEEvT_T0_DpT1_
                                        ; -- End function
	.set _ZN2at6native12_GLOBAL__N_125multi_tensor_apply_kernelINS1_18TensorListMetadataILi3EEENS1_24PointwiseOpScalarFunctorIdLi3ELi3ELi0EEEJSt7dividesIdEdEEEvT_T0_DpT1_.num_vgpr, 68
	.set _ZN2at6native12_GLOBAL__N_125multi_tensor_apply_kernelINS1_18TensorListMetadataILi3EEENS1_24PointwiseOpScalarFunctorIdLi3ELi3ELi0EEEJSt7dividesIdEdEEEvT_T0_DpT1_.num_agpr, 0
	.set _ZN2at6native12_GLOBAL__N_125multi_tensor_apply_kernelINS1_18TensorListMetadataILi3EEENS1_24PointwiseOpScalarFunctorIdLi3ELi3ELi0EEEJSt7dividesIdEdEEEvT_T0_DpT1_.numbered_sgpr, 30
	.set _ZN2at6native12_GLOBAL__N_125multi_tensor_apply_kernelINS1_18TensorListMetadataILi3EEENS1_24PointwiseOpScalarFunctorIdLi3ELi3ELi0EEEJSt7dividesIdEdEEEvT_T0_DpT1_.num_named_barrier, 0
	.set _ZN2at6native12_GLOBAL__N_125multi_tensor_apply_kernelINS1_18TensorListMetadataILi3EEENS1_24PointwiseOpScalarFunctorIdLi3ELi3ELi0EEEJSt7dividesIdEdEEEvT_T0_DpT1_.private_seg_size, 0
	.set _ZN2at6native12_GLOBAL__N_125multi_tensor_apply_kernelINS1_18TensorListMetadataILi3EEENS1_24PointwiseOpScalarFunctorIdLi3ELi3ELi0EEEJSt7dividesIdEdEEEvT_T0_DpT1_.uses_vcc, 1
	.set _ZN2at6native12_GLOBAL__N_125multi_tensor_apply_kernelINS1_18TensorListMetadataILi3EEENS1_24PointwiseOpScalarFunctorIdLi3ELi3ELi0EEEJSt7dividesIdEdEEEvT_T0_DpT1_.uses_flat_scratch, 0
	.set _ZN2at6native12_GLOBAL__N_125multi_tensor_apply_kernelINS1_18TensorListMetadataILi3EEENS1_24PointwiseOpScalarFunctorIdLi3ELi3ELi0EEEJSt7dividesIdEdEEEvT_T0_DpT1_.has_dyn_sized_stack, 0
	.set _ZN2at6native12_GLOBAL__N_125multi_tensor_apply_kernelINS1_18TensorListMetadataILi3EEENS1_24PointwiseOpScalarFunctorIdLi3ELi3ELi0EEEJSt7dividesIdEdEEEvT_T0_DpT1_.has_recursion, 0
	.set _ZN2at6native12_GLOBAL__N_125multi_tensor_apply_kernelINS1_18TensorListMetadataILi3EEENS1_24PointwiseOpScalarFunctorIdLi3ELi3ELi0EEEJSt7dividesIdEdEEEvT_T0_DpT1_.has_indirect_call, 0
	.section	.AMDGPU.csdata,"",@progbits
; Kernel info:
; codeLenInByte = 2488
; TotalNumSgprs: 32
; NumVgprs: 68
; ScratchSize: 0
; MemoryBound: 1
; FloatMode: 240
; IeeeMode: 1
; LDSByteSize: 0 bytes/workgroup (compile time only)
; SGPRBlocks: 0
; VGPRBlocks: 4
; NumSGPRsForWavesPerEU: 32
; NumVGPRsForWavesPerEU: 68
; NamedBarCnt: 0
; Occupancy: 12
; WaveLimiterHint : 0
; COMPUTE_PGM_RSRC2:SCRATCH_EN: 0
; COMPUTE_PGM_RSRC2:USER_SGPR: 2
; COMPUTE_PGM_RSRC2:TRAP_HANDLER: 0
; COMPUTE_PGM_RSRC2:TGID_X_EN: 1
; COMPUTE_PGM_RSRC2:TGID_Y_EN: 0
; COMPUTE_PGM_RSRC2:TGID_Z_EN: 0
; COMPUTE_PGM_RSRC2:TIDIG_COMP_CNT: 0
	.section	.text._ZN2at6native12_GLOBAL__N_125multi_tensor_apply_kernelINS1_18TensorListMetadataILi3EEENS1_24PointwiseOpScalarFunctorIfLi3ELi3ELi0EEEJSt7dividesIfEfEEEvT_T0_DpT1_,"axG",@progbits,_ZN2at6native12_GLOBAL__N_125multi_tensor_apply_kernelINS1_18TensorListMetadataILi3EEENS1_24PointwiseOpScalarFunctorIfLi3ELi3ELi0EEEJSt7dividesIfEfEEEvT_T0_DpT1_,comdat
	.globl	_ZN2at6native12_GLOBAL__N_125multi_tensor_apply_kernelINS1_18TensorListMetadataILi3EEENS1_24PointwiseOpScalarFunctorIfLi3ELi3ELi0EEEJSt7dividesIfEfEEEvT_T0_DpT1_ ; -- Begin function _ZN2at6native12_GLOBAL__N_125multi_tensor_apply_kernelINS1_18TensorListMetadataILi3EEENS1_24PointwiseOpScalarFunctorIfLi3ELi3ELi0EEEJSt7dividesIfEfEEEvT_T0_DpT1_
	.p2align	8
	.type	_ZN2at6native12_GLOBAL__N_125multi_tensor_apply_kernelINS1_18TensorListMetadataILi3EEENS1_24PointwiseOpScalarFunctorIfLi3ELi3ELi0EEEJSt7dividesIfEfEEEvT_T0_DpT1_,@function
_ZN2at6native12_GLOBAL__N_125multi_tensor_apply_kernelINS1_18TensorListMetadataILi3EEENS1_24PointwiseOpScalarFunctorIfLi3ELi3ELi0EEEJSt7dividesIfEfEEEvT_T0_DpT1_: ; @_ZN2at6native12_GLOBAL__N_125multi_tensor_apply_kernelINS1_18TensorListMetadataILi3EEENS1_24PointwiseOpScalarFunctorIfLi3ELi3ELi0EEEJSt7dividesIfEfEEEvT_T0_DpT1_
; %bb.0:
	s_bfe_u32 s2, ttmp6, 0x4000c
	s_and_b32 s3, ttmp6, 15
	s_add_co_i32 s2, s2, 1
	s_getreg_b32 s4, hwreg(HW_REG_IB_STS2, 6, 4)
	s_mul_i32 s2, ttmp9, s2
	s_delay_alu instid0(SALU_CYCLE_1) | instskip(SKIP_3) | instid1(SALU_CYCLE_1)
	s_add_co_i32 s2, s3, s2
	s_cmp_eq_u32 s4, 0
	s_mov_b32 s3, 0
	s_cselect_b32 s2, ttmp9, s2
	s_add_nc_u64 s[4:5], s[0:1], s[2:3]
	s_mul_u64 s[6:7], s[2:3], 3
	s_delay_alu instid0(SALU_CYCLE_1)
	s_add_nc_u64 s[4:5], s[4:5], s[6:7]
	s_clause 0x1
	s_load_b32 s16, s[4:5], 0x740
	s_load_u8 s12, s[0:1], s2 offset:0x600
	s_wait_kmcnt 0x0
	s_clause 0x3
	s_load_b64 s[8:9], s[0:1], s12 offset:0x180 scale_offset
	s_load_b64 s[6:7], s[0:1], s12 offset:0x300 scale_offset
	;; [unrolled: 1-line block ×4, first 2 shown]
	s_ashr_i32 s17, s16, 31
	s_wait_xcnt 0x0
	s_lshl_b64 s[12:13], s[16:17], 18
	s_wait_kmcnt 0x0
	s_add_nc_u64 s[14:15], s[8:9], s[12:13]
	s_delay_alu instid0(SALU_CYCLE_1)
	s_or_b32 s2, s6, s14
	s_load_b32 s14, s[0:1], 0xc4c
	s_and_b32 s2, s2, 15
	s_and_b64 s[18:19], s[10:11], 15
	s_cmp_eq_u32 s2, 0
	s_cselect_b32 s15, -1, 0
	s_and_b32 s2, s4, 3
	s_lshl_b64 s[16:17], s[16:17], 16
	s_or_b64 s[2:3], s[18:19], s[2:3]
	s_sub_nc_u64 s[16:17], s[4:5], s[16:17]
	s_cmp_eq_u64 s[2:3], 0
	s_cselect_b32 s2, -1, 0
	s_delay_alu instid0(SALU_CYCLE_1) | instskip(NEXT) | instid1(SALU_CYCLE_1)
	s_and_b32 s2, s15, s2
	s_and_b32 vcc_lo, exec_lo, s2
	s_mov_b32 s2, -1
	s_cbranch_vccnz .LBB72_29
; %bb.1:
	v_cmp_lt_i64_e64 s2, s[16:17], 1
	s_and_b32 vcc_lo, exec_lo, s2
	s_cbranch_vccnz .LBB72_28
; %bb.2:
	s_load_b32 s2, s[0:1], 0xc5c
	v_min_i64 v[2:3], 0x10000, s[16:17]
	v_min_u64 v[4:5], 0x10000, s[16:17]
	v_dual_mov_b32 v1, 0 :: v_dual_lshlrev_b32 v16, 2, v0
	s_mov_b32 s21, 0
	s_delay_alu instid0(SALU_CYCLE_1) | instskip(NEXT) | instid1(VALU_DEP_1)
	s_mov_b32 s23, s21
	v_dual_mov_b32 v17, v1 :: v_dual_mov_b32 v35, v1
	s_mov_b32 s5, s21
	s_mov_b32 s19, s21
	s_delay_alu instid0(VALU_DEP_1) | instskip(SKIP_4) | instid1(SALU_CYCLE_1)
	v_add_nc_u64_e32 v[6:7], s[10:11], v[16:17]
	v_add_nc_u64_e32 v[8:9], s[8:9], v[16:17]
	;; [unrolled: 1-line block ×3, first 2 shown]
	s_wait_kmcnt 0x0
	s_and_b32 s20, s2, 0xffff
	s_lshl_b32 s4, s20, 1
	s_cmp_eq_f32 s14, 1.0
	v_add_nc_u64_e32 v[10:11], s[20:21], v[0:1]
	v_mad_nc_u64_u32 v[22:23], s20, 12, v[16:17]
	s_mul_i32 s18, s20, 3
	s_cselect_b32 s2, -1, 0
	s_lshl_b32 s22, s20, 3
	v_add_nc_u64_e32 v[14:15], s[18:19], v[0:1]
	v_add_nc_u64_e32 v[32:33], s[22:23], v[16:17]
	v_lshlrev_b32_e32 v34, 2, v10
	v_add_nc_u64_e32 v[16:17], s[4:5], v[0:1]
	s_lshl_b32 s18, s20, 2
	s_lshl_b32 s20, s20, 4
	s_mov_b64 s[22:23], 0
	v_add_nc_u64_e32 v[18:19], s[10:11], v[22:23]
	v_add_nc_u64_e32 v[20:21], s[8:9], v[22:23]
	;; [unrolled: 1-line block ×9, first 2 shown]
	s_branch .LBB72_4
.LBB72_3:                               ;   in Loop: Header=BB72_4 Depth=1
	s_wait_xcnt 0x0
	s_or_b32 exec_lo, exec_lo, s3
	s_add_nc_u64 s[22:23], s[22:23], s[18:19]
	v_add_nc_u64_e32 v[6:7], s[20:21], v[6:7]
	v_cmp_lt_i64_e32 vcc_lo, s[22:23], v[2:3]
	v_add_nc_u64_e32 v[8:9], s[20:21], v[8:9]
	v_add_nc_u64_e32 v[12:13], s[20:21], v[12:13]
	;; [unrolled: 1-line block ×11, first 2 shown]
	s_cbranch_vccz .LBB72_28
.LBB72_4:                               ; =>This Inner Loop Header: Depth=1
	s_wait_loadcnt 0x0
	v_add_nc_u64_e32 v[36:37], s[22:23], v[0:1]
	v_mov_b32_e32 v39, 0
	s_delay_alu instid0(VALU_DEP_2)
	v_cmp_lt_u64_e32 vcc_lo, v[36:37], v[4:5]
	v_mov_b32_e32 v37, 0
	s_and_saveexec_b32 s3, vcc_lo
	s_cbranch_execz .LBB72_6
; %bb.5:                                ;   in Loop: Header=BB72_4 Depth=1
	v_add_nc_u64_e32 v[40:41], s[12:13], v[6:7]
	v_add_nc_u64_e32 v[42:43], s[12:13], v[8:9]
	global_load_b32 v37, v[40:41], off
	global_load_b32 v39, v[42:43], off
.LBB72_6:                               ;   in Loop: Header=BB72_4 Depth=1
	s_wait_xcnt 0x0
	s_or_b32 exec_lo, exec_lo, s3
	v_dual_mov_b32 v36, 0 :: v_dual_mov_b32 v44, 0
	s_and_saveexec_b32 s3, vcc_lo
	s_cbranch_execz .LBB72_8
; %bb.7:                                ;   in Loop: Header=BB72_4 Depth=1
	v_add_nc_u64_e32 v[40:41], s[12:13], v[12:13]
	global_load_b32 v44, v[40:41], off
.LBB72_8:                               ;   in Loop: Header=BB72_4 Depth=1
	s_wait_xcnt 0x0
	s_or_b32 exec_lo, exec_lo, s3
	v_add_nc_u64_e32 v[40:41], s[22:23], v[10:11]
	s_delay_alu instid0(VALU_DEP_1)
	v_cmp_lt_u64_e64 s3, v[40:41], v[4:5]
	v_mov_b32_e32 v40, 0
	s_and_saveexec_b32 s4, s3
	s_cbranch_execz .LBB72_10
; %bb.9:                                ;   in Loop: Header=BB72_4 Depth=1
	v_add_nc_u64_e32 v[42:43], s[12:13], v[24:25]
	v_add_nc_u64_e32 v[46:47], s[12:13], v[26:27]
	global_load_b32 v40, v[42:43], off
	global_load_b32 v36, v[46:47], off
.LBB72_10:                              ;   in Loop: Header=BB72_4 Depth=1
	s_wait_xcnt 0x0
	s_or_b32 exec_lo, exec_lo, s4
	v_dual_mov_b32 v38, 0 :: v_dual_mov_b32 v45, 0
	s_and_saveexec_b32 s4, s3
	s_cbranch_execz .LBB72_12
; %bb.11:                               ;   in Loop: Header=BB72_4 Depth=1
	v_add_nc_u64_e32 v[42:43], s[12:13], v[34:35]
	global_load_b32 v45, v[42:43], off
.LBB72_12:                              ;   in Loop: Header=BB72_4 Depth=1
	s_wait_xcnt 0x0
	s_or_b32 exec_lo, exec_lo, s4
	v_add_nc_u64_e32 v[42:43], s[22:23], v[16:17]
	s_delay_alu instid0(VALU_DEP_1)
	v_cmp_lt_u64_e64 s4, v[42:43], v[4:5]
	v_mov_b32_e32 v42, 0
	s_and_saveexec_b32 s5, s4
	s_cbranch_execz .LBB72_14
; %bb.13:                               ;   in Loop: Header=BB72_4 Depth=1
	v_add_nc_u64_e32 v[46:47], s[12:13], v[28:29]
	v_add_nc_u64_e32 v[48:49], s[12:13], v[30:31]
	global_load_b32 v42, v[46:47], off
	global_load_b32 v38, v[48:49], off
.LBB72_14:                              ;   in Loop: Header=BB72_4 Depth=1
	s_wait_xcnt 0x0
	s_or_b32 exec_lo, exec_lo, s5
	v_dual_mov_b32 v41, 0 :: v_dual_mov_b32 v46, 0
	s_and_saveexec_b32 s5, s4
	s_cbranch_execz .LBB72_16
; %bb.15:                               ;   in Loop: Header=BB72_4 Depth=1
	v_add_nc_u64_e32 v[46:47], s[12:13], v[32:33]
	global_load_b32 v46, v[46:47], off
.LBB72_16:                              ;   in Loop: Header=BB72_4 Depth=1
	s_wait_xcnt 0x0
	s_or_b32 exec_lo, exec_lo, s5
	v_add_nc_u64_e32 v[48:49], s[22:23], v[14:15]
	v_mov_b32_e32 v43, 0
	s_delay_alu instid0(VALU_DEP_2)
	v_cmp_lt_u64_e64 s5, v[48:49], v[4:5]
	s_and_saveexec_b32 s15, s5
	s_cbranch_execnz .LBB72_22
; %bb.17:                               ;   in Loop: Header=BB72_4 Depth=1
	s_or_b32 exec_lo, exec_lo, s15
	v_mov_b32_e32 v47, 0
	s_and_saveexec_b32 s15, s5
	s_cbranch_execnz .LBB72_23
.LBB72_18:                              ;   in Loop: Header=BB72_4 Depth=1
	s_or_b32 exec_lo, exec_lo, s15
	s_and_saveexec_b32 s15, vcc_lo
	s_cbranch_execnz .LBB72_24
.LBB72_19:                              ;   in Loop: Header=BB72_4 Depth=1
	s_or_b32 exec_lo, exec_lo, s15
	s_and_saveexec_b32 s15, s3
	s_cbranch_execnz .LBB72_25
.LBB72_20:                              ;   in Loop: Header=BB72_4 Depth=1
	s_or_b32 exec_lo, exec_lo, s15
	s_and_saveexec_b32 s3, s4
	s_cbranch_execnz .LBB72_26
.LBB72_21:                              ;   in Loop: Header=BB72_4 Depth=1
	s_or_b32 exec_lo, exec_lo, s3
	s_and_saveexec_b32 s3, s5
	s_cbranch_execz .LBB72_3
	s_branch .LBB72_27
.LBB72_22:                              ;   in Loop: Header=BB72_4 Depth=1
	v_add_nc_u64_e32 v[48:49], s[12:13], v[18:19]
	v_add_nc_u64_e32 v[50:51], s[12:13], v[20:21]
	global_load_b32 v43, v[48:49], off
	global_load_b32 v41, v[50:51], off
	s_wait_xcnt 0x0
	s_or_b32 exec_lo, exec_lo, s15
	v_mov_b32_e32 v47, 0
	s_and_saveexec_b32 s15, s5
	s_cbranch_execz .LBB72_18
.LBB72_23:                              ;   in Loop: Header=BB72_4 Depth=1
	v_add_nc_u64_e32 v[48:49], s[12:13], v[22:23]
	global_load_b32 v47, v[48:49], off
	s_wait_xcnt 0x0
	s_or_b32 exec_lo, exec_lo, s15
	s_and_saveexec_b32 s15, vcc_lo
	s_cbranch_execz .LBB72_19
.LBB72_24:                              ;   in Loop: Header=BB72_4 Depth=1
	s_wait_loadcnt 0x0
	v_div_scale_f32 v48, null, v44, v44, v39
	v_div_scale_f32 v51, vcc_lo, v39, v44, v39
	s_delay_alu instid0(VALU_DEP_2) | instskip(SKIP_1) | instid1(TRANS32_DEP_1)
	v_rcp_f32_e32 v49, v48
	v_nop
	v_fma_f32 v50, -v48, v49, 1.0
	s_delay_alu instid0(VALU_DEP_1) | instskip(NEXT) | instid1(VALU_DEP_1)
	v_fmac_f32_e32 v49, v50, v49
	v_mul_f32_e32 v50, v51, v49
	s_delay_alu instid0(VALU_DEP_1) | instskip(NEXT) | instid1(VALU_DEP_1)
	v_fma_f32 v52, -v48, v50, v51
	v_fmac_f32_e32 v50, v52, v49
	s_delay_alu instid0(VALU_DEP_1) | instskip(NEXT) | instid1(VALU_DEP_1)
	v_fma_f32 v48, -v48, v50, v51
	v_div_fmas_f32 v48, v48, v49, v50
	s_delay_alu instid0(VALU_DEP_1) | instskip(SKIP_1) | instid1(VALU_DEP_2)
	v_div_fixup_f32 v39, v48, v44, v39
	v_add_nc_u64_e32 v[48:49], s[12:13], v[6:7]
	v_dual_add_f32 v44, v37, v39 :: v_dual_fmac_f32 v37, s14, v39
	s_delay_alu instid0(VALU_DEP_1)
	v_cndmask_b32_e64 v37, v37, v44, s2
	global_store_b32 v[48:49], v37, off
	s_wait_xcnt 0x0
	s_or_b32 exec_lo, exec_lo, s15
	s_and_saveexec_b32 s15, s3
	s_cbranch_execz .LBB72_20
.LBB72_25:                              ;   in Loop: Header=BB72_4 Depth=1
	s_wait_loadcnt 0x0
	v_div_scale_f32 v37, null, v45, v45, v36
	v_div_scale_f32 v48, vcc_lo, v36, v45, v36
	s_delay_alu instid0(VALU_DEP_2) | instskip(SKIP_1) | instid1(TRANS32_DEP_1)
	v_rcp_f32_e32 v39, v37
	v_nop
	v_fma_f32 v44, -v37, v39, 1.0
	s_delay_alu instid0(VALU_DEP_1) | instskip(NEXT) | instid1(VALU_DEP_1)
	v_fmac_f32_e32 v39, v44, v39
	v_mul_f32_e32 v44, v48, v39
	s_delay_alu instid0(VALU_DEP_1) | instskip(NEXT) | instid1(VALU_DEP_1)
	v_fma_f32 v49, -v37, v44, v48
	v_fmac_f32_e32 v44, v49, v39
	s_delay_alu instid0(VALU_DEP_1) | instskip(NEXT) | instid1(VALU_DEP_1)
	v_fma_f32 v37, -v37, v44, v48
	v_div_fmas_f32 v37, v37, v39, v44
	s_delay_alu instid0(VALU_DEP_1) | instskip(NEXT) | instid1(VALU_DEP_1)
	v_div_fixup_f32 v36, v37, v45, v36
	v_dual_add_f32 v39, v40, v36 :: v_dual_fmac_f32 v40, s14, v36
	v_add_nc_u64_e32 v[36:37], s[12:13], v[24:25]
	s_delay_alu instid0(VALU_DEP_2)
	v_cndmask_b32_e64 v39, v40, v39, s2
	global_store_b32 v[36:37], v39, off
	s_wait_xcnt 0x0
	s_or_b32 exec_lo, exec_lo, s15
	s_and_saveexec_b32 s3, s4
	s_cbranch_execz .LBB72_21
.LBB72_26:                              ;   in Loop: Header=BB72_4 Depth=1
	s_wait_loadcnt 0x0
	v_div_scale_f32 v36, null, v46, v46, v38
	v_div_scale_f32 v40, vcc_lo, v38, v46, v38
	s_delay_alu instid0(VALU_DEP_2) | instskip(SKIP_1) | instid1(TRANS32_DEP_1)
	v_rcp_f32_e32 v37, v36
	v_nop
	v_fma_f32 v39, -v36, v37, 1.0
	s_delay_alu instid0(VALU_DEP_1) | instskip(NEXT) | instid1(VALU_DEP_1)
	v_fmac_f32_e32 v37, v39, v37
	v_mul_f32_e32 v39, v40, v37
	s_delay_alu instid0(VALU_DEP_1) | instskip(NEXT) | instid1(VALU_DEP_1)
	v_fma_f32 v44, -v36, v39, v40
	v_fmac_f32_e32 v39, v44, v37
	s_delay_alu instid0(VALU_DEP_1) | instskip(NEXT) | instid1(VALU_DEP_1)
	v_fma_f32 v36, -v36, v39, v40
	v_div_fmas_f32 v36, v36, v37, v39
	s_delay_alu instid0(VALU_DEP_1) | instskip(NEXT) | instid1(VALU_DEP_1)
	v_div_fixup_f32 v36, v36, v46, v38
	v_dual_add_f32 v38, v42, v36 :: v_dual_fmac_f32 v42, s14, v36
	v_add_nc_u64_e32 v[36:37], s[12:13], v[28:29]
	s_delay_alu instid0(VALU_DEP_2)
	v_cndmask_b32_e64 v38, v42, v38, s2
	global_store_b32 v[36:37], v38, off
	s_wait_xcnt 0x0
	s_or_b32 exec_lo, exec_lo, s3
	s_and_saveexec_b32 s3, s5
	s_cbranch_execz .LBB72_3
.LBB72_27:                              ;   in Loop: Header=BB72_4 Depth=1
	s_wait_loadcnt 0x0
	v_div_scale_f32 v36, null, v47, v47, v41
	v_div_scale_f32 v39, vcc_lo, v41, v47, v41
	s_delay_alu instid0(VALU_DEP_2) | instskip(SKIP_1) | instid1(TRANS32_DEP_1)
	v_rcp_f32_e32 v37, v36
	v_nop
	v_fma_f32 v38, -v36, v37, 1.0
	s_delay_alu instid0(VALU_DEP_1) | instskip(NEXT) | instid1(VALU_DEP_1)
	v_fmac_f32_e32 v37, v38, v37
	v_mul_f32_e32 v38, v39, v37
	s_delay_alu instid0(VALU_DEP_1) | instskip(NEXT) | instid1(VALU_DEP_1)
	v_fma_f32 v40, -v36, v38, v39
	v_fmac_f32_e32 v38, v40, v37
	s_delay_alu instid0(VALU_DEP_1) | instskip(NEXT) | instid1(VALU_DEP_1)
	v_fma_f32 v36, -v36, v38, v39
	v_div_fmas_f32 v36, v36, v37, v38
	s_delay_alu instid0(VALU_DEP_1) | instskip(NEXT) | instid1(VALU_DEP_1)
	v_div_fixup_f32 v36, v36, v47, v41
	v_dual_add_f32 v38, v43, v36 :: v_dual_fmac_f32 v43, s14, v36
	v_add_nc_u64_e32 v[36:37], s[12:13], v[18:19]
	s_delay_alu instid0(VALU_DEP_2)
	v_cndmask_b32_e64 v38, v43, v38, s2
	global_store_b32 v[36:37], v38, off
	s_branch .LBB72_3
.LBB72_28:
	s_mov_b32 s2, 0
.LBB72_29:
	s_delay_alu instid0(SALU_CYCLE_1)
	s_and_not1_b32 vcc_lo, exec_lo, s2
	s_cbranch_vccnz .LBB72_33
; %bb.30:
	v_min_i64 v[2:3], 0x10000, s[16:17]
	v_dual_mov_b32 v7, 0 :: v_dual_lshlrev_b32 v6, 2, v0
	s_mov_b32 s2, exec_lo
	s_delay_alu instid0(VALU_DEP_1)
	v_cmpx_lt_i64_e64 v[6:7], v[2:3]
	s_cbranch_execz .LBB72_33
; %bb.31:
	s_wait_xcnt 0x0
	s_load_b32 s1, s[0:1], 0xc5c
	v_dual_mov_b32 v1, v7 :: v_dual_lshlrev_b32 v6, 4, v0
	s_wait_kmcnt 0x0
	s_mov_b32 s15, s14
	s_cmp_eq_f32 s14, 1.0
	v_mov_b64_e32 v[4:5], s[14:15]
	s_mov_b32 s5, 0
	v_add_nc_u64_e32 v[6:7], s[12:13], v[6:7]
	s_cselect_b32 s0, -1, 0
	s_add_nc_u64 s[10:11], s[10:11], 8
	s_add_nc_u64 s[8:9], s[8:9], 8
	s_mov_b32 s13, s5
	s_mov_b32 s14, s5
	s_and_b32 s4, s1, 0xffff
	s_delay_alu instid0(SALU_CYCLE_1)
	s_lshl_b32 s12, s4, 4
.LBB72_32:                              ; =>This Inner Loop Header: Depth=1
	v_add_nc_u64_e32 v[16:17], s[8:9], v[6:7]
	v_add_nc_u64_e32 v[18:19], s[6:7], v[6:7]
	;; [unrolled: 1-line block ×5, first 2 shown]
	global_load_b128 v[8:11], v[16:17], off offset:-8
	global_load_b128 v[12:15], v[18:19], off
	global_load_b128 v[16:19], v[20:21], off offset:-8
	v_lshlrev_b64_e32 v[22:23], 2, v[0:1]
	s_wait_loadcnt 0x1
	v_div_scale_f32 v24, null, v13, v13, v9
	v_div_scale_f32 v26, null, v12, v12, v8
	;; [unrolled: 1-line block ×3, first 2 shown]
	s_delay_alu instid0(VALU_DEP_3) | instskip(SKIP_1) | instid1(VALU_DEP_3)
	v_rcp_f32_e32 v32, v24
	v_div_scale_f32 v30, null, v14, v14, v10
	v_rcp_f32_e32 v33, v26
	s_delay_alu instid0(VALU_DEP_2) | instskip(SKIP_1) | instid1(VALU_DEP_2)
	v_rcp_f32_e32 v34, v28
	v_div_scale_f32 v25, vcc_lo, v9, v13, v9
	v_rcp_f32_e32 v35, v30
	v_fma_f32 v36, -v24, v32, 1.0
	v_div_scale_f32 v27, s1, v8, v12, v8
	s_delay_alu instid0(TRANS32_DEP_3) | instskip(NEXT) | instid1(TRANS32_DEP_2)
	v_fma_f32 v37, -v26, v33, 1.0
	v_fma_f32 v38, -v28, v34, 1.0
	s_delay_alu instid0(VALU_DEP_4) | instskip(NEXT) | instid1(TRANS32_DEP_1)
	v_fmac_f32_e32 v32, v36, v32
	v_fma_f32 v39, -v30, v35, 1.0
	v_div_scale_f32 v29, s2, v11, v15, v11
	s_delay_alu instid0(VALU_DEP_4) | instskip(NEXT) | instid1(VALU_DEP_3)
	v_dual_fmac_f32 v33, v37, v33 :: v_dual_fmac_f32 v34, v38, v34
	v_dual_fmac_f32 v35, v39, v35 :: v_dual_mul_f32 v36, v25, v32
	v_div_scale_f32 v31, s3, v10, v14, v10
	s_delay_alu instid0(VALU_DEP_3) | instskip(NEXT) | instid1(VALU_DEP_2)
	v_dual_mul_f32 v37, v27, v33 :: v_dual_mul_f32 v38, v29, v34
	v_dual_fma_f32 v40, -v24, v36, v25 :: v_dual_mul_f32 v39, v31, v35
	s_delay_alu instid0(VALU_DEP_2) | instskip(NEXT) | instid1(VALU_DEP_2)
	v_dual_fma_f32 v41, -v26, v37, v27 :: v_dual_fma_f32 v42, -v28, v38, v29
	v_dual_fmac_f32 v36, v40, v32 :: v_dual_fma_f32 v43, -v30, v39, v31
	s_delay_alu instid0(VALU_DEP_2) | instskip(NEXT) | instid1(VALU_DEP_2)
	v_dual_fmac_f32 v37, v41, v33 :: v_dual_fmac_f32 v38, v42, v34
	v_dual_fma_f32 v24, -v24, v36, v25 :: v_dual_fmac_f32 v39, v43, v35
	s_delay_alu instid0(VALU_DEP_2) | instskip(NEXT) | instid1(VALU_DEP_2)
	v_dual_fma_f32 v25, -v26, v37, v27 :: v_dual_fma_f32 v26, -v28, v38, v29
	v_div_fmas_f32 v24, v24, v32, v36
	s_mov_b32 vcc_lo, s1
	s_delay_alu instid0(VALU_DEP_3) | instskip(NEXT) | instid1(VALU_DEP_3)
	v_fma_f32 v27, -v30, v39, v31
	v_div_fmas_f32 v25, v25, v33, v37
	s_mov_b32 vcc_lo, s2
	v_div_fixup_f32 v9, v24, v13, v9
	v_div_fmas_f32 v26, v26, v34, v38
	s_mov_b32 vcc_lo, s3
	v_div_fixup_f32 v8, v25, v12, v8
	v_div_fmas_f32 v13, v27, v35, v39
	v_cmp_ge_i64_e32 vcc_lo, v[22:23], v[2:3]
	v_div_fixup_f32 v11, v26, v15, v11
	s_delay_alu instid0(VALU_DEP_3)
	v_div_fixup_f32 v10, v13, v14, v10
	s_wait_loadcnt 0x0
	v_pk_add_f32 v[12:13], v[16:17], v[8:9]
	v_pk_fma_f32 v[8:9], v[4:5], v[8:9], v[16:17]
	s_or_b32 s14, vcc_lo, s14
	v_pk_add_f32 v[14:15], v[18:19], v[10:11]
	v_pk_fma_f32 v[10:11], v[4:5], v[10:11], v[18:19]
	s_delay_alu instid0(VALU_DEP_3) | instskip(NEXT) | instid1(VALU_DEP_2)
	v_dual_cndmask_b32 v9, v9, v13, s0 :: v_dual_cndmask_b32 v8, v8, v12, s0
	v_dual_cndmask_b32 v11, v11, v15, s0 :: v_dual_cndmask_b32 v10, v10, v14, s0
	global_store_b128 v[20:21], v[8:11], off offset:-8
	s_wait_xcnt 0x0
	s_and_not1_b32 exec_lo, exec_lo, s14
	s_cbranch_execnz .LBB72_32
.LBB72_33:
	s_endpgm
	.section	.rodata,"a",@progbits
	.p2align	6, 0x0
	.amdhsa_kernel _ZN2at6native12_GLOBAL__N_125multi_tensor_apply_kernelINS1_18TensorListMetadataILi3EEENS1_24PointwiseOpScalarFunctorIfLi3ELi3ELi0EEEJSt7dividesIfEfEEEvT_T0_DpT1_
		.amdhsa_group_segment_fixed_size 0
		.amdhsa_private_segment_fixed_size 0
		.amdhsa_kernarg_size 3408
		.amdhsa_user_sgpr_count 2
		.amdhsa_user_sgpr_dispatch_ptr 0
		.amdhsa_user_sgpr_queue_ptr 0
		.amdhsa_user_sgpr_kernarg_segment_ptr 1
		.amdhsa_user_sgpr_dispatch_id 0
		.amdhsa_user_sgpr_kernarg_preload_length 0
		.amdhsa_user_sgpr_kernarg_preload_offset 0
		.amdhsa_user_sgpr_private_segment_size 0
		.amdhsa_wavefront_size32 1
		.amdhsa_uses_dynamic_stack 0
		.amdhsa_enable_private_segment 0
		.amdhsa_system_sgpr_workgroup_id_x 1
		.amdhsa_system_sgpr_workgroup_id_y 0
		.amdhsa_system_sgpr_workgroup_id_z 0
		.amdhsa_system_sgpr_workgroup_info 0
		.amdhsa_system_vgpr_workitem_id 0
		.amdhsa_next_free_vgpr 53
		.amdhsa_next_free_sgpr 24
		.amdhsa_named_barrier_count 0
		.amdhsa_reserve_vcc 1
		.amdhsa_float_round_mode_32 0
		.amdhsa_float_round_mode_16_64 0
		.amdhsa_float_denorm_mode_32 3
		.amdhsa_float_denorm_mode_16_64 3
		.amdhsa_fp16_overflow 0
		.amdhsa_memory_ordered 1
		.amdhsa_forward_progress 1
		.amdhsa_inst_pref_size 18
		.amdhsa_round_robin_scheduling 0
		.amdhsa_exception_fp_ieee_invalid_op 0
		.amdhsa_exception_fp_denorm_src 0
		.amdhsa_exception_fp_ieee_div_zero 0
		.amdhsa_exception_fp_ieee_overflow 0
		.amdhsa_exception_fp_ieee_underflow 0
		.amdhsa_exception_fp_ieee_inexact 0
		.amdhsa_exception_int_div_zero 0
	.end_amdhsa_kernel
	.section	.text._ZN2at6native12_GLOBAL__N_125multi_tensor_apply_kernelINS1_18TensorListMetadataILi3EEENS1_24PointwiseOpScalarFunctorIfLi3ELi3ELi0EEEJSt7dividesIfEfEEEvT_T0_DpT1_,"axG",@progbits,_ZN2at6native12_GLOBAL__N_125multi_tensor_apply_kernelINS1_18TensorListMetadataILi3EEENS1_24PointwiseOpScalarFunctorIfLi3ELi3ELi0EEEJSt7dividesIfEfEEEvT_T0_DpT1_,comdat
.Lfunc_end72:
	.size	_ZN2at6native12_GLOBAL__N_125multi_tensor_apply_kernelINS1_18TensorListMetadataILi3EEENS1_24PointwiseOpScalarFunctorIfLi3ELi3ELi0EEEJSt7dividesIfEfEEEvT_T0_DpT1_, .Lfunc_end72-_ZN2at6native12_GLOBAL__N_125multi_tensor_apply_kernelINS1_18TensorListMetadataILi3EEENS1_24PointwiseOpScalarFunctorIfLi3ELi3ELi0EEEJSt7dividesIfEfEEEvT_T0_DpT1_
                                        ; -- End function
	.set _ZN2at6native12_GLOBAL__N_125multi_tensor_apply_kernelINS1_18TensorListMetadataILi3EEENS1_24PointwiseOpScalarFunctorIfLi3ELi3ELi0EEEJSt7dividesIfEfEEEvT_T0_DpT1_.num_vgpr, 53
	.set _ZN2at6native12_GLOBAL__N_125multi_tensor_apply_kernelINS1_18TensorListMetadataILi3EEENS1_24PointwiseOpScalarFunctorIfLi3ELi3ELi0EEEJSt7dividesIfEfEEEvT_T0_DpT1_.num_agpr, 0
	.set _ZN2at6native12_GLOBAL__N_125multi_tensor_apply_kernelINS1_18TensorListMetadataILi3EEENS1_24PointwiseOpScalarFunctorIfLi3ELi3ELi0EEEJSt7dividesIfEfEEEvT_T0_DpT1_.numbered_sgpr, 24
	.set _ZN2at6native12_GLOBAL__N_125multi_tensor_apply_kernelINS1_18TensorListMetadataILi3EEENS1_24PointwiseOpScalarFunctorIfLi3ELi3ELi0EEEJSt7dividesIfEfEEEvT_T0_DpT1_.num_named_barrier, 0
	.set _ZN2at6native12_GLOBAL__N_125multi_tensor_apply_kernelINS1_18TensorListMetadataILi3EEENS1_24PointwiseOpScalarFunctorIfLi3ELi3ELi0EEEJSt7dividesIfEfEEEvT_T0_DpT1_.private_seg_size, 0
	.set _ZN2at6native12_GLOBAL__N_125multi_tensor_apply_kernelINS1_18TensorListMetadataILi3EEENS1_24PointwiseOpScalarFunctorIfLi3ELi3ELi0EEEJSt7dividesIfEfEEEvT_T0_DpT1_.uses_vcc, 1
	.set _ZN2at6native12_GLOBAL__N_125multi_tensor_apply_kernelINS1_18TensorListMetadataILi3EEENS1_24PointwiseOpScalarFunctorIfLi3ELi3ELi0EEEJSt7dividesIfEfEEEvT_T0_DpT1_.uses_flat_scratch, 0
	.set _ZN2at6native12_GLOBAL__N_125multi_tensor_apply_kernelINS1_18TensorListMetadataILi3EEENS1_24PointwiseOpScalarFunctorIfLi3ELi3ELi0EEEJSt7dividesIfEfEEEvT_T0_DpT1_.has_dyn_sized_stack, 0
	.set _ZN2at6native12_GLOBAL__N_125multi_tensor_apply_kernelINS1_18TensorListMetadataILi3EEENS1_24PointwiseOpScalarFunctorIfLi3ELi3ELi0EEEJSt7dividesIfEfEEEvT_T0_DpT1_.has_recursion, 0
	.set _ZN2at6native12_GLOBAL__N_125multi_tensor_apply_kernelINS1_18TensorListMetadataILi3EEENS1_24PointwiseOpScalarFunctorIfLi3ELi3ELi0EEEJSt7dividesIfEfEEEvT_T0_DpT1_.has_indirect_call, 0
	.section	.AMDGPU.csdata,"",@progbits
; Kernel info:
; codeLenInByte = 2248
; TotalNumSgprs: 26
; NumVgprs: 53
; ScratchSize: 0
; MemoryBound: 0
; FloatMode: 240
; IeeeMode: 1
; LDSByteSize: 0 bytes/workgroup (compile time only)
; SGPRBlocks: 0
; VGPRBlocks: 3
; NumSGPRsForWavesPerEU: 26
; NumVGPRsForWavesPerEU: 53
; NamedBarCnt: 0
; Occupancy: 16
; WaveLimiterHint : 0
; COMPUTE_PGM_RSRC2:SCRATCH_EN: 0
; COMPUTE_PGM_RSRC2:USER_SGPR: 2
; COMPUTE_PGM_RSRC2:TRAP_HANDLER: 0
; COMPUTE_PGM_RSRC2:TGID_X_EN: 1
; COMPUTE_PGM_RSRC2:TGID_Y_EN: 0
; COMPUTE_PGM_RSRC2:TGID_Z_EN: 0
; COMPUTE_PGM_RSRC2:TIDIG_COMP_CNT: 0
	.section	.text._ZN2at6native12_GLOBAL__N_125multi_tensor_apply_kernelINS1_18TensorListMetadataILi3EEENS1_24PointwiseOpScalarFunctorIN3c107complexIdEELi3ELi3ELi0EEEJSt7dividesIS8_ES8_EEEvT_T0_DpT1_,"axG",@progbits,_ZN2at6native12_GLOBAL__N_125multi_tensor_apply_kernelINS1_18TensorListMetadataILi3EEENS1_24PointwiseOpScalarFunctorIN3c107complexIdEELi3ELi3ELi0EEEJSt7dividesIS8_ES8_EEEvT_T0_DpT1_,comdat
	.globl	_ZN2at6native12_GLOBAL__N_125multi_tensor_apply_kernelINS1_18TensorListMetadataILi3EEENS1_24PointwiseOpScalarFunctorIN3c107complexIdEELi3ELi3ELi0EEEJSt7dividesIS8_ES8_EEEvT_T0_DpT1_ ; -- Begin function _ZN2at6native12_GLOBAL__N_125multi_tensor_apply_kernelINS1_18TensorListMetadataILi3EEENS1_24PointwiseOpScalarFunctorIN3c107complexIdEELi3ELi3ELi0EEEJSt7dividesIS8_ES8_EEEvT_T0_DpT1_
	.p2align	8
	.type	_ZN2at6native12_GLOBAL__N_125multi_tensor_apply_kernelINS1_18TensorListMetadataILi3EEENS1_24PointwiseOpScalarFunctorIN3c107complexIdEELi3ELi3ELi0EEEJSt7dividesIS8_ES8_EEEvT_T0_DpT1_,@function
_ZN2at6native12_GLOBAL__N_125multi_tensor_apply_kernelINS1_18TensorListMetadataILi3EEENS1_24PointwiseOpScalarFunctorIN3c107complexIdEELi3ELi3ELi0EEEJSt7dividesIS8_ES8_EEEvT_T0_DpT1_: ; @_ZN2at6native12_GLOBAL__N_125multi_tensor_apply_kernelINS1_18TensorListMetadataILi3EEENS1_24PointwiseOpScalarFunctorIN3c107complexIdEELi3ELi3ELi0EEEJSt7dividesIS8_ES8_EEEvT_T0_DpT1_
; %bb.0:
	s_bfe_u32 s2, ttmp6, 0x4000c
	s_and_b32 s3, ttmp6, 15
	s_add_co_i32 s2, s2, 1
	s_getreg_b32 s4, hwreg(HW_REG_IB_STS2, 6, 4)
	s_mul_i32 s2, ttmp9, s2
	s_delay_alu instid0(SALU_CYCLE_1) | instskip(SKIP_3) | instid1(SALU_CYCLE_1)
	s_add_co_i32 s2, s3, s2
	s_cmp_eq_u32 s4, 0
	s_mov_b32 s3, 0
	s_cselect_b32 s2, ttmp9, s2
	s_add_nc_u64 s[4:5], s[0:1], s[2:3]
	s_mul_u64 s[6:7], s[2:3], 3
	s_delay_alu instid0(SALU_CYCLE_1)
	s_add_nc_u64 s[4:5], s[4:5], s[6:7]
	s_clause 0x1
	s_load_b32 s6, s[4:5], 0x740
	s_load_u8 s7, s[0:1], s2 offset:0x600
	s_wait_kmcnt 0x0
	s_clause 0x3
	s_load_b64 s[4:5], s[0:1], s7 offset:0x180 scale_offset
	s_load_b64 s[8:9], s[0:1], s7 offset:0x300 scale_offset
	;; [unrolled: 1-line block ×4, first 2 shown]
	s_wait_xcnt 0x0
	s_ashr_i32 s7, s6, 31
	s_delay_alu instid0(SALU_CYCLE_1)
	s_lshl_b64 s[20:21], s[6:7], 20
	s_wait_kmcnt 0x0
	s_add_nc_u64 s[12:13], s[4:5], s[20:21]
	s_add_nc_u64 s[14:15], s[8:9], s[20:21]
	s_load_b128 s[8:11], s[0:1], 0xc50
	s_or_b32 s2, s14, s12
	s_add_nc_u64 s[16:17], s[16:17], s[20:21]
	s_and_b32 s2, s2, 63
	s_and_b64 s[4:5], s[16:17], 63
	s_cmp_eq_u32 s2, 0
	s_cselect_b32 s20, -1, 0
	s_and_b32 s2, s18, 3
	s_delay_alu instid0(SALU_CYCLE_1) | instskip(SKIP_4) | instid1(SALU_CYCLE_1)
	s_or_b64 s[2:3], s[4:5], s[2:3]
	s_lshl_b64 s[4:5], s[6:7], 16
	s_cmp_eq_u64 s[2:3], 0
	s_sub_nc_u64 s[18:19], s[18:19], s[4:5]
	s_cselect_b32 s2, -1, 0
	s_and_b32 s2, s20, s2
	s_delay_alu instid0(SALU_CYCLE_1)
	s_and_b32 vcc_lo, exec_lo, s2
	s_mov_b32 s2, -1
	s_cbranch_vccnz .LBB73_109
; %bb.1:
	v_cmp_lt_i64_e64 s2, s[18:19], 1
	s_and_b32 vcc_lo, exec_lo, s2
	s_cbranch_vccnz .LBB73_108
; %bb.2:
	s_wait_kmcnt 0x0
	v_cmp_neq_f64_e64 s2, s[8:9], 1.0
	v_cmp_neq_f64_e64 s3, s[10:11], 0
	v_min_i64 v[50:51], 0x10000, s[18:19]
	v_min_u64 v[52:53], 0x10000, s[18:19]
	s_load_b32 s4, s[0:1], 0xc6c
	v_mov_b32_e32 v1, 0
	s_mov_b32 s21, 0
	s_mov_b64 s[22:23], 0
	s_mov_b32 s25, s21
	s_mov_b32 s27, s21
	;; [unrolled: 1-line block ×3, first 2 shown]
	s_wait_kmcnt 0x0
	s_and_b32 s20, s4, 0xffff
	s_delay_alu instid0(SALU_CYCLE_1)
	s_lshl_b32 s24, s20, 1
	s_mul_i32 s26, s20, 3
	s_lshl_b32 s28, s20, 2
	s_or_b32 s30, s2, s3
	s_branch .LBB73_4
.LBB73_3:                               ;   in Loop: Header=BB73_4 Depth=1
	s_wait_xcnt 0x0
	s_or_b32 exec_lo, exec_lo, s2
	s_add_nc_u64 s[22:23], s[22:23], s[28:29]
	s_delay_alu instid0(SALU_CYCLE_1)
	v_cmp_ge_i64_e32 vcc_lo, s[22:23], v[50:51]
	s_cbranch_vccnz .LBB73_108
.LBB73_4:                               ; =>This Inner Loop Header: Depth=1
	v_add_nc_u64_e32 v[54:55], s[22:23], v[0:1]
	v_mov_b64_e32 v[48:49], 0
	v_mov_b64_e32 v[44:45], 0
	v_mov_b64_e32 v[42:43], 0
	v_mov_b64_e32 v[4:5], 0
	v_mov_b64_e32 v[2:3], 0
	v_cmp_lt_u64_e64 s2, v[54:55], v[52:53]
	s_and_saveexec_b32 s3, s2
	s_cbranch_execz .LBB73_6
; %bb.5:                                ;   in Loop: Header=BB73_4 Depth=1
	v_lshlrev_b64_e32 v[2:3], 4, v[54:55]
	s_delay_alu instid0(VALU_DEP_1)
	v_add_nc_u64_e32 v[6:7], s[16:17], v[2:3]
	v_add_nc_u64_e32 v[8:9], s[12:13], v[2:3]
	global_load_b128 v[2:5], v[6:7], off
	global_load_b128 v[42:45], v[8:9], off
.LBB73_6:                               ;   in Loop: Header=BB73_4 Depth=1
	s_wait_xcnt 0x0
	s_or_b32 exec_lo, exec_lo, s3
	v_mov_b64_e32 v[46:47], 0
	s_and_saveexec_b32 s3, s2
	s_cbranch_execz .LBB73_8
; %bb.7:                                ;   in Loop: Header=BB73_4 Depth=1
	v_lshl_add_u64 v[6:7], v[54:55], 4, s[14:15]
	global_load_b128 v[46:49], v[6:7], off
.LBB73_8:                               ;   in Loop: Header=BB73_4 Depth=1
	s_wait_xcnt 0x0
	s_or_b32 exec_lo, exec_lo, s3
	v_add_nc_u64_e32 v[56:57], s[20:21], v[54:55]
	v_mov_b64_e32 v[40:41], 0
	v_mov_b64_e32 v[36:37], 0
	;; [unrolled: 1-line block ×5, first 2 shown]
	v_cmp_lt_u64_e64 s3, v[56:57], v[52:53]
	s_and_saveexec_b32 s4, s3
	s_cbranch_execz .LBB73_10
; %bb.9:                                ;   in Loop: Header=BB73_4 Depth=1
	v_lshlrev_b64_e32 v[6:7], 4, v[56:57]
	s_delay_alu instid0(VALU_DEP_1)
	v_add_nc_u64_e32 v[10:11], s[16:17], v[6:7]
	v_add_nc_u64_e32 v[12:13], s[12:13], v[6:7]
	global_load_b128 v[6:9], v[10:11], off
	global_load_b128 v[34:37], v[12:13], off
.LBB73_10:                              ;   in Loop: Header=BB73_4 Depth=1
	s_wait_xcnt 0x0
	s_or_b32 exec_lo, exec_lo, s4
	v_mov_b64_e32 v[38:39], 0
	s_and_saveexec_b32 s4, s3
	s_cbranch_execz .LBB73_12
; %bb.11:                               ;   in Loop: Header=BB73_4 Depth=1
	v_lshl_add_u64 v[10:11], v[56:57], 4, s[14:15]
	global_load_b128 v[38:41], v[10:11], off
.LBB73_12:                              ;   in Loop: Header=BB73_4 Depth=1
	s_wait_xcnt 0x0
	s_or_b32 exec_lo, exec_lo, s4
	v_add_nc_u64_e32 v[58:59], s[24:25], v[54:55]
	v_mov_b64_e32 v[32:33], 0
	v_mov_b64_e32 v[28:29], 0
	;; [unrolled: 1-line block ×5, first 2 shown]
	v_cmp_lt_u64_e64 s4, v[58:59], v[52:53]
	s_and_saveexec_b32 s5, s4
	s_cbranch_execz .LBB73_14
; %bb.13:                               ;   in Loop: Header=BB73_4 Depth=1
	v_lshlrev_b64_e32 v[10:11], 4, v[58:59]
	s_delay_alu instid0(VALU_DEP_1)
	v_add_nc_u64_e32 v[14:15], s[16:17], v[10:11]
	v_add_nc_u64_e32 v[16:17], s[12:13], v[10:11]
	global_load_b128 v[10:13], v[14:15], off
	global_load_b128 v[26:29], v[16:17], off
.LBB73_14:                              ;   in Loop: Header=BB73_4 Depth=1
	s_wait_xcnt 0x0
	s_or_b32 exec_lo, exec_lo, s5
	v_mov_b64_e32 v[30:31], 0
	s_and_saveexec_b32 s5, s4
	s_cbranch_execz .LBB73_16
; %bb.15:                               ;   in Loop: Header=BB73_4 Depth=1
	v_lshl_add_u64 v[14:15], v[58:59], 4, s[14:15]
	global_load_b128 v[30:33], v[14:15], off
.LBB73_16:                              ;   in Loop: Header=BB73_4 Depth=1
	s_wait_xcnt 0x0
	s_or_b32 exec_lo, exec_lo, s5
	v_add_nc_u64_e32 v[60:61], s[26:27], v[54:55]
	v_mov_b64_e32 v[24:25], 0
	v_mov_b64_e32 v[20:21], 0
	;; [unrolled: 1-line block ×5, first 2 shown]
	v_cmp_lt_u64_e64 s5, v[60:61], v[52:53]
	s_and_saveexec_b32 s6, s5
	s_cbranch_execz .LBB73_18
; %bb.17:                               ;   in Loop: Header=BB73_4 Depth=1
	v_lshlrev_b64_e32 v[14:15], 4, v[60:61]
	s_delay_alu instid0(VALU_DEP_1)
	v_add_nc_u64_e32 v[22:23], s[16:17], v[14:15]
	v_add_nc_u64_e32 v[62:63], s[12:13], v[14:15]
	global_load_b128 v[14:17], v[22:23], off
	global_load_b128 v[18:21], v[62:63], off
.LBB73_18:                              ;   in Loop: Header=BB73_4 Depth=1
	s_wait_xcnt 0x0
	s_or_b32 exec_lo, exec_lo, s6
	v_mov_b64_e32 v[22:23], 0
	s_and_saveexec_b32 s6, s5
	s_cbranch_execz .LBB73_20
; %bb.19:                               ;   in Loop: Header=BB73_4 Depth=1
	v_lshl_add_u64 v[22:23], v[60:61], 4, s[14:15]
	global_load_b128 v[22:25], v[22:23], off
.LBB73_20:                              ;   in Loop: Header=BB73_4 Depth=1
	s_wait_xcnt 0x0
	s_or_b32 exec_lo, exec_lo, s6
	s_wait_loadcnt 0x0
	v_cmp_gt_f64_e32 vcc_lo, 0, v[46:47]
	v_xor_b32_e32 v62, 0x80000000, v47
	v_mov_b32_e32 v66, v46
	v_xor_b32_e32 v63, 0x80000000, v49
	s_mov_b32 s7, -1
                                        ; implicit-def: $vgpr64_vgpr65
	s_delay_alu instid0(VALU_DEP_3) | instskip(SKIP_1) | instid1(VALU_DEP_3)
	v_dual_mov_b32 v68, v48 :: v_dual_cndmask_b32 v67, v47, v62
	v_cmp_gt_f64_e32 vcc_lo, 0, v[48:49]
	v_cndmask_b32_e32 v69, v49, v63, vcc_lo
	s_and_b32 vcc_lo, exec_lo, s30
                                        ; implicit-def: $vgpr62_vgpr63
	s_delay_alu instid0(VALU_DEP_1)
	v_cmp_ge_f64_e64 s6, v[66:67], v[68:69]
	s_cbranch_vccz .LBB73_30
; %bb.21:                               ;   in Loop: Header=BB73_4 Depth=1
                                        ; implicit-def: $vgpr62_vgpr63
                                        ; implicit-def: $vgpr70_vgpr71
	s_and_saveexec_b32 s7, s6
	s_delay_alu instid0(SALU_CYCLE_1)
	s_xor_b32 s31, exec_lo, s7
	s_cbranch_execz .LBB73_27
; %bb.22:                               ;   in Loop: Header=BB73_4 Depth=1
	v_cmp_neq_f64_e32 vcc_lo, 0, v[46:47]
	v_cmp_neq_f64_e64 s7, 0, v[48:49]
                                        ; implicit-def: $vgpr62_vgpr63
                                        ; implicit-def: $vgpr70_vgpr71
	s_or_b32 s7, s7, vcc_lo
	s_delay_alu instid0(SALU_CYCLE_1) | instskip(NEXT) | instid1(SALU_CYCLE_1)
	s_and_saveexec_b32 s33, s7
	s_xor_b32 s7, exec_lo, s33
	s_cbranch_execz .LBB73_24
; %bb.23:                               ;   in Loop: Header=BB73_4 Depth=1
	v_div_scale_f64 v[62:63], null, v[46:47], v[46:47], v[48:49]
	v_div_scale_f64 v[72:73], vcc_lo, v[48:49], v[46:47], v[48:49]
	s_delay_alu instid0(VALU_DEP_2) | instskip(SKIP_1) | instid1(TRANS32_DEP_1)
	v_rcp_f64_e32 v[64:65], v[62:63]
	v_nop
	v_fma_f64 v[70:71], -v[62:63], v[64:65], 1.0
	s_delay_alu instid0(VALU_DEP_1) | instskip(NEXT) | instid1(VALU_DEP_1)
	v_fmac_f64_e32 v[64:65], v[64:65], v[70:71]
	v_fma_f64 v[70:71], -v[62:63], v[64:65], 1.0
	s_delay_alu instid0(VALU_DEP_1) | instskip(NEXT) | instid1(VALU_DEP_1)
	v_fmac_f64_e32 v[64:65], v[64:65], v[70:71]
	v_mul_f64_e32 v[70:71], v[72:73], v[64:65]
	s_delay_alu instid0(VALU_DEP_1) | instskip(NEXT) | instid1(VALU_DEP_1)
	v_fma_f64 v[62:63], -v[62:63], v[70:71], v[72:73]
	v_div_fmas_f64 v[62:63], v[62:63], v[64:65], v[70:71]
	s_delay_alu instid0(VALU_DEP_1) | instskip(NEXT) | instid1(VALU_DEP_1)
	v_div_fixup_f64 v[62:63], v[62:63], v[46:47], v[48:49]
	v_fma_f64 v[64:65], v[48:49], v[62:63], v[46:47]
	s_delay_alu instid0(VALU_DEP_1) | instskip(SKIP_1) | instid1(VALU_DEP_2)
	v_div_scale_f64 v[70:71], null, v[64:65], v[64:65], 1.0
	v_div_scale_f64 v[76:77], vcc_lo, 1.0, v[64:65], 1.0
	v_rcp_f64_e32 v[72:73], v[70:71]
	v_nop
	s_delay_alu instid0(TRANS32_DEP_1) | instskip(NEXT) | instid1(VALU_DEP_1)
	v_fma_f64 v[74:75], -v[70:71], v[72:73], 1.0
	v_fmac_f64_e32 v[72:73], v[72:73], v[74:75]
	s_delay_alu instid0(VALU_DEP_1) | instskip(NEXT) | instid1(VALU_DEP_1)
	v_fma_f64 v[74:75], -v[70:71], v[72:73], 1.0
	v_fmac_f64_e32 v[72:73], v[72:73], v[74:75]
	s_delay_alu instid0(VALU_DEP_1) | instskip(NEXT) | instid1(VALU_DEP_1)
	v_mul_f64_e32 v[74:75], v[76:77], v[72:73]
	v_fma_f64 v[70:71], -v[70:71], v[74:75], v[76:77]
	s_delay_alu instid0(VALU_DEP_1) | instskip(SKIP_2) | instid1(VALU_DEP_3)
	v_div_fmas_f64 v[70:71], v[70:71], v[72:73], v[74:75]
	v_fma_f64 v[72:73], v[44:45], v[62:63], v[42:43]
	v_fma_f64 v[62:63], -v[42:43], v[62:63], v[44:45]
	v_div_fixup_f64 v[64:65], v[70:71], v[64:65], 1.0
	s_delay_alu instid0(VALU_DEP_1) | instskip(NEXT) | instid1(VALU_DEP_3)
	v_mul_f64_e32 v[70:71], v[72:73], v[64:65]
	v_mul_f64_e32 v[62:63], v[62:63], v[64:65]
.LBB73_24:                              ;   in Loop: Header=BB73_4 Depth=1
	s_and_not1_saveexec_b32 s33, s7
	s_cbranch_execz .LBB73_26
; %bb.25:                               ;   in Loop: Header=BB73_4 Depth=1
	v_div_scale_f64 v[62:63], null, v[66:67], v[66:67], v[42:43]
	v_div_scale_f64 v[64:65], null, v[68:69], v[68:69], v[44:45]
	v_div_scale_f64 v[78:79], vcc_lo, v[42:43], v[66:67], v[42:43]
	s_delay_alu instid0(VALU_DEP_3) | instskip(NEXT) | instid1(VALU_DEP_2)
	v_rcp_f64_e32 v[70:71], v[62:63]
	v_rcp_f64_e32 v[72:73], v[64:65]
	s_delay_alu instid0(TRANS32_DEP_2) | instskip(NEXT) | instid1(TRANS32_DEP_1)
	v_fma_f64 v[74:75], -v[62:63], v[70:71], 1.0
	v_fma_f64 v[76:77], -v[64:65], v[72:73], 1.0
	s_delay_alu instid0(VALU_DEP_2) | instskip(NEXT) | instid1(VALU_DEP_2)
	v_fmac_f64_e32 v[70:71], v[70:71], v[74:75]
	v_fmac_f64_e32 v[72:73], v[72:73], v[76:77]
	s_delay_alu instid0(VALU_DEP_2) | instskip(NEXT) | instid1(VALU_DEP_2)
	v_fma_f64 v[74:75], -v[62:63], v[70:71], 1.0
	v_fma_f64 v[76:77], -v[64:65], v[72:73], 1.0
	s_delay_alu instid0(VALU_DEP_2) | instskip(SKIP_1) | instid1(VALU_DEP_3)
	v_fmac_f64_e32 v[70:71], v[70:71], v[74:75]
	v_div_scale_f64 v[74:75], s7, v[44:45], v[68:69], v[44:45]
	v_fmac_f64_e32 v[72:73], v[72:73], v[76:77]
	s_delay_alu instid0(VALU_DEP_3) | instskip(NEXT) | instid1(VALU_DEP_2)
	v_mul_f64_e32 v[76:77], v[78:79], v[70:71]
	v_mul_f64_e32 v[80:81], v[74:75], v[72:73]
	s_delay_alu instid0(VALU_DEP_2) | instskip(NEXT) | instid1(VALU_DEP_2)
	v_fma_f64 v[62:63], -v[62:63], v[76:77], v[78:79]
	v_fma_f64 v[64:65], -v[64:65], v[80:81], v[74:75]
	s_delay_alu instid0(VALU_DEP_2) | instskip(SKIP_1) | instid1(VALU_DEP_2)
	v_div_fmas_f64 v[62:63], v[62:63], v[70:71], v[76:77]
	s_mov_b32 vcc_lo, s7
	v_div_fmas_f64 v[64:65], v[64:65], v[72:73], v[80:81]
	s_delay_alu instid0(VALU_DEP_2) | instskip(NEXT) | instid1(VALU_DEP_2)
	v_div_fixup_f64 v[70:71], v[62:63], v[66:67], v[42:43]
	v_div_fixup_f64 v[62:63], v[64:65], v[68:69], v[44:45]
.LBB73_26:                              ;   in Loop: Header=BB73_4 Depth=1
	s_or_b32 exec_lo, exec_lo, s33
.LBB73_27:                              ;   in Loop: Header=BB73_4 Depth=1
	s_and_not1_saveexec_b32 s7, s31
	s_cbranch_execz .LBB73_29
; %bb.28:                               ;   in Loop: Header=BB73_4 Depth=1
	v_div_scale_f64 v[62:63], null, v[48:49], v[48:49], v[46:47]
	v_div_scale_f64 v[72:73], vcc_lo, v[46:47], v[48:49], v[46:47]
	s_delay_alu instid0(VALU_DEP_2) | instskip(SKIP_1) | instid1(TRANS32_DEP_1)
	v_rcp_f64_e32 v[64:65], v[62:63]
	v_nop
	v_fma_f64 v[70:71], -v[62:63], v[64:65], 1.0
	s_delay_alu instid0(VALU_DEP_1) | instskip(NEXT) | instid1(VALU_DEP_1)
	v_fmac_f64_e32 v[64:65], v[64:65], v[70:71]
	v_fma_f64 v[70:71], -v[62:63], v[64:65], 1.0
	s_delay_alu instid0(VALU_DEP_1) | instskip(NEXT) | instid1(VALU_DEP_1)
	v_fmac_f64_e32 v[64:65], v[64:65], v[70:71]
	v_mul_f64_e32 v[70:71], v[72:73], v[64:65]
	s_delay_alu instid0(VALU_DEP_1) | instskip(NEXT) | instid1(VALU_DEP_1)
	v_fma_f64 v[62:63], -v[62:63], v[70:71], v[72:73]
	v_div_fmas_f64 v[62:63], v[62:63], v[64:65], v[70:71]
	s_delay_alu instid0(VALU_DEP_1) | instskip(NEXT) | instid1(VALU_DEP_1)
	v_div_fixup_f64 v[62:63], v[62:63], v[48:49], v[46:47]
	v_fma_f64 v[64:65], v[46:47], v[62:63], v[48:49]
	s_delay_alu instid0(VALU_DEP_1) | instskip(SKIP_1) | instid1(VALU_DEP_2)
	v_div_scale_f64 v[70:71], null, v[64:65], v[64:65], 1.0
	v_div_scale_f64 v[76:77], vcc_lo, 1.0, v[64:65], 1.0
	v_rcp_f64_e32 v[72:73], v[70:71]
	v_nop
	s_delay_alu instid0(TRANS32_DEP_1) | instskip(NEXT) | instid1(VALU_DEP_1)
	v_fma_f64 v[74:75], -v[70:71], v[72:73], 1.0
	v_fmac_f64_e32 v[72:73], v[72:73], v[74:75]
	s_delay_alu instid0(VALU_DEP_1) | instskip(NEXT) | instid1(VALU_DEP_1)
	v_fma_f64 v[74:75], -v[70:71], v[72:73], 1.0
	v_fmac_f64_e32 v[72:73], v[72:73], v[74:75]
	s_delay_alu instid0(VALU_DEP_1) | instskip(NEXT) | instid1(VALU_DEP_1)
	v_mul_f64_e32 v[74:75], v[76:77], v[72:73]
	v_fma_f64 v[70:71], -v[70:71], v[74:75], v[76:77]
	s_delay_alu instid0(VALU_DEP_1) | instskip(SKIP_2) | instid1(VALU_DEP_3)
	v_div_fmas_f64 v[70:71], v[70:71], v[72:73], v[74:75]
	v_fma_f64 v[72:73], v[42:43], v[62:63], v[44:45]
	v_fma_f64 v[62:63], v[44:45], v[62:63], -v[42:43]
	v_div_fixup_f64 v[64:65], v[70:71], v[64:65], 1.0
	s_delay_alu instid0(VALU_DEP_1) | instskip(NEXT) | instid1(VALU_DEP_3)
	v_mul_f64_e32 v[70:71], v[72:73], v[64:65]
	v_mul_f64_e32 v[62:63], v[62:63], v[64:65]
.LBB73_29:                              ;   in Loop: Header=BB73_4 Depth=1
	s_or_b32 exec_lo, exec_lo, s7
	s_delay_alu instid0(VALU_DEP_1) | instskip(SKIP_2) | instid1(VALU_DEP_2)
	v_mul_f64_e32 v[64:65], s[10:11], v[62:63]
	v_mul_f64_e32 v[62:63], s[8:9], v[62:63]
	s_mov_b32 s7, 0
	v_fma_f64 v[64:65], s[8:9], v[70:71], -v[64:65]
	s_delay_alu instid0(VALU_DEP_2)
	v_fmac_f64_e32 v[62:63], s[10:11], v[70:71]
.LBB73_30:                              ;   in Loop: Header=BB73_4 Depth=1
	s_and_b32 vcc_lo, exec_lo, s7
	s_cbranch_vccz .LBB73_40
; %bb.31:                               ;   in Loop: Header=BB73_4 Depth=1
                                        ; implicit-def: $vgpr62_vgpr63
                                        ; implicit-def: $vgpr64_vgpr65
	s_and_saveexec_b32 s7, s6
	s_delay_alu instid0(SALU_CYCLE_1)
	s_xor_b32 s7, exec_lo, s7
	s_cbranch_execz .LBB73_37
; %bb.32:                               ;   in Loop: Header=BB73_4 Depth=1
	v_cmp_neq_f64_e32 vcc_lo, 0, v[46:47]
	v_cmp_neq_f64_e64 s6, 0, v[48:49]
                                        ; implicit-def: $vgpr62_vgpr63
                                        ; implicit-def: $vgpr64_vgpr65
	s_or_b32 s6, s6, vcc_lo
	s_delay_alu instid0(SALU_CYCLE_1) | instskip(NEXT) | instid1(SALU_CYCLE_1)
	s_and_saveexec_b32 s31, s6
	s_xor_b32 s6, exec_lo, s31
	s_cbranch_execz .LBB73_34
; %bb.33:                               ;   in Loop: Header=BB73_4 Depth=1
	v_div_scale_f64 v[62:63], null, v[46:47], v[46:47], v[48:49]
	v_div_scale_f64 v[68:69], vcc_lo, v[48:49], v[46:47], v[48:49]
	s_delay_alu instid0(VALU_DEP_2) | instskip(SKIP_1) | instid1(TRANS32_DEP_1)
	v_rcp_f64_e32 v[64:65], v[62:63]
	v_nop
	v_fma_f64 v[66:67], -v[62:63], v[64:65], 1.0
	s_delay_alu instid0(VALU_DEP_1) | instskip(NEXT) | instid1(VALU_DEP_1)
	v_fmac_f64_e32 v[64:65], v[64:65], v[66:67]
	v_fma_f64 v[66:67], -v[62:63], v[64:65], 1.0
	s_delay_alu instid0(VALU_DEP_1) | instskip(NEXT) | instid1(VALU_DEP_1)
	v_fmac_f64_e32 v[64:65], v[64:65], v[66:67]
	v_mul_f64_e32 v[66:67], v[68:69], v[64:65]
	s_delay_alu instid0(VALU_DEP_1) | instskip(NEXT) | instid1(VALU_DEP_1)
	v_fma_f64 v[62:63], -v[62:63], v[66:67], v[68:69]
	v_div_fmas_f64 v[62:63], v[62:63], v[64:65], v[66:67]
	s_delay_alu instid0(VALU_DEP_1) | instskip(NEXT) | instid1(VALU_DEP_1)
	v_div_fixup_f64 v[62:63], v[62:63], v[46:47], v[48:49]
	v_fmac_f64_e32 v[46:47], v[48:49], v[62:63]
	s_delay_alu instid0(VALU_DEP_1) | instskip(SKIP_1) | instid1(VALU_DEP_2)
	v_div_scale_f64 v[48:49], null, v[46:47], v[46:47], 1.0
	v_div_scale_f64 v[68:69], vcc_lo, 1.0, v[46:47], 1.0
	v_rcp_f64_e32 v[64:65], v[48:49]
	v_nop
	s_delay_alu instid0(TRANS32_DEP_1) | instskip(NEXT) | instid1(VALU_DEP_1)
	v_fma_f64 v[66:67], -v[48:49], v[64:65], 1.0
	v_fmac_f64_e32 v[64:65], v[64:65], v[66:67]
	s_delay_alu instid0(VALU_DEP_1) | instskip(NEXT) | instid1(VALU_DEP_1)
	v_fma_f64 v[66:67], -v[48:49], v[64:65], 1.0
	v_fmac_f64_e32 v[64:65], v[64:65], v[66:67]
	s_delay_alu instid0(VALU_DEP_1) | instskip(NEXT) | instid1(VALU_DEP_1)
	v_mul_f64_e32 v[66:67], v[68:69], v[64:65]
	v_fma_f64 v[48:49], -v[48:49], v[66:67], v[68:69]
                                        ; implicit-def: $vgpr68_vgpr69
	s_delay_alu instid0(VALU_DEP_1) | instskip(SKIP_2) | instid1(VALU_DEP_3)
	v_div_fmas_f64 v[48:49], v[48:49], v[64:65], v[66:67]
	v_fma_f64 v[64:65], v[44:45], v[62:63], v[42:43]
	v_fma_f64 v[42:43], -v[42:43], v[62:63], v[44:45]
                                        ; implicit-def: $vgpr66_vgpr67
	v_div_fixup_f64 v[46:47], v[48:49], v[46:47], 1.0
	s_delay_alu instid0(VALU_DEP_1) | instskip(NEXT) | instid1(VALU_DEP_3)
	v_mul_f64_e32 v[64:65], v[64:65], v[46:47]
	v_mul_f64_e32 v[62:63], v[42:43], v[46:47]
                                        ; implicit-def: $vgpr42_vgpr43
.LBB73_34:                              ;   in Loop: Header=BB73_4 Depth=1
	s_and_not1_saveexec_b32 s31, s6
	s_cbranch_execz .LBB73_36
; %bb.35:                               ;   in Loop: Header=BB73_4 Depth=1
	v_div_scale_f64 v[46:47], null, v[66:67], v[66:67], v[42:43]
	v_div_scale_f64 v[48:49], null, v[68:69], v[68:69], v[44:45]
	v_div_scale_f64 v[74:75], vcc_lo, v[42:43], v[66:67], v[42:43]
	s_delay_alu instid0(VALU_DEP_3) | instskip(NEXT) | instid1(VALU_DEP_2)
	v_rcp_f64_e32 v[62:63], v[46:47]
	v_rcp_f64_e32 v[64:65], v[48:49]
	s_delay_alu instid0(TRANS32_DEP_2) | instskip(NEXT) | instid1(TRANS32_DEP_1)
	v_fma_f64 v[70:71], -v[46:47], v[62:63], 1.0
	v_fma_f64 v[72:73], -v[48:49], v[64:65], 1.0
	s_delay_alu instid0(VALU_DEP_2) | instskip(NEXT) | instid1(VALU_DEP_2)
	v_fmac_f64_e32 v[62:63], v[62:63], v[70:71]
	v_fmac_f64_e32 v[64:65], v[64:65], v[72:73]
	s_delay_alu instid0(VALU_DEP_2) | instskip(NEXT) | instid1(VALU_DEP_2)
	v_fma_f64 v[70:71], -v[46:47], v[62:63], 1.0
	v_fma_f64 v[72:73], -v[48:49], v[64:65], 1.0
	s_delay_alu instid0(VALU_DEP_2) | instskip(SKIP_1) | instid1(VALU_DEP_3)
	v_fmac_f64_e32 v[62:63], v[62:63], v[70:71]
	v_div_scale_f64 v[70:71], s6, v[44:45], v[68:69], v[44:45]
	v_fmac_f64_e32 v[64:65], v[64:65], v[72:73]
	s_delay_alu instid0(VALU_DEP_3) | instskip(NEXT) | instid1(VALU_DEP_2)
	v_mul_f64_e32 v[72:73], v[74:75], v[62:63]
	v_mul_f64_e32 v[76:77], v[70:71], v[64:65]
	s_delay_alu instid0(VALU_DEP_2) | instskip(NEXT) | instid1(VALU_DEP_2)
	v_fma_f64 v[46:47], -v[46:47], v[72:73], v[74:75]
	v_fma_f64 v[48:49], -v[48:49], v[76:77], v[70:71]
	s_delay_alu instid0(VALU_DEP_2) | instskip(SKIP_1) | instid1(VALU_DEP_2)
	v_div_fmas_f64 v[46:47], v[46:47], v[62:63], v[72:73]
	s_mov_b32 vcc_lo, s6
	v_div_fmas_f64 v[48:49], v[48:49], v[64:65], v[76:77]
	s_delay_alu instid0(VALU_DEP_2) | instskip(NEXT) | instid1(VALU_DEP_2)
	v_div_fixup_f64 v[64:65], v[46:47], v[66:67], v[42:43]
	v_div_fixup_f64 v[62:63], v[48:49], v[68:69], v[44:45]
.LBB73_36:                              ;   in Loop: Header=BB73_4 Depth=1
	s_or_b32 exec_lo, exec_lo, s31
                                        ; implicit-def: $vgpr48_vgpr49
                                        ; implicit-def: $vgpr42_vgpr43
.LBB73_37:                              ;   in Loop: Header=BB73_4 Depth=1
	s_and_not1_saveexec_b32 s6, s7
	s_cbranch_execz .LBB73_39
; %bb.38:                               ;   in Loop: Header=BB73_4 Depth=1
	v_div_scale_f64 v[62:63], null, v[48:49], v[48:49], v[46:47]
	v_div_scale_f64 v[68:69], vcc_lo, v[46:47], v[48:49], v[46:47]
	s_delay_alu instid0(VALU_DEP_2) | instskip(SKIP_1) | instid1(TRANS32_DEP_1)
	v_rcp_f64_e32 v[64:65], v[62:63]
	v_nop
	v_fma_f64 v[66:67], -v[62:63], v[64:65], 1.0
	s_delay_alu instid0(VALU_DEP_1) | instskip(NEXT) | instid1(VALU_DEP_1)
	v_fmac_f64_e32 v[64:65], v[64:65], v[66:67]
	v_fma_f64 v[66:67], -v[62:63], v[64:65], 1.0
	s_delay_alu instid0(VALU_DEP_1) | instskip(NEXT) | instid1(VALU_DEP_1)
	v_fmac_f64_e32 v[64:65], v[64:65], v[66:67]
	v_mul_f64_e32 v[66:67], v[68:69], v[64:65]
	s_delay_alu instid0(VALU_DEP_1) | instskip(NEXT) | instid1(VALU_DEP_1)
	v_fma_f64 v[62:63], -v[62:63], v[66:67], v[68:69]
	v_div_fmas_f64 v[62:63], v[62:63], v[64:65], v[66:67]
	s_delay_alu instid0(VALU_DEP_1) | instskip(NEXT) | instid1(VALU_DEP_1)
	v_div_fixup_f64 v[62:63], v[62:63], v[48:49], v[46:47]
	v_fmac_f64_e32 v[48:49], v[46:47], v[62:63]
	s_delay_alu instid0(VALU_DEP_1) | instskip(SKIP_1) | instid1(VALU_DEP_2)
	v_div_scale_f64 v[46:47], null, v[48:49], v[48:49], 1.0
	v_div_scale_f64 v[68:69], vcc_lo, 1.0, v[48:49], 1.0
	v_rcp_f64_e32 v[64:65], v[46:47]
	v_nop
	s_delay_alu instid0(TRANS32_DEP_1) | instskip(NEXT) | instid1(VALU_DEP_1)
	v_fma_f64 v[66:67], -v[46:47], v[64:65], 1.0
	v_fmac_f64_e32 v[64:65], v[64:65], v[66:67]
	s_delay_alu instid0(VALU_DEP_1) | instskip(NEXT) | instid1(VALU_DEP_1)
	v_fma_f64 v[66:67], -v[46:47], v[64:65], 1.0
	v_fmac_f64_e32 v[64:65], v[64:65], v[66:67]
	s_delay_alu instid0(VALU_DEP_1) | instskip(NEXT) | instid1(VALU_DEP_1)
	v_mul_f64_e32 v[66:67], v[68:69], v[64:65]
	v_fma_f64 v[46:47], -v[46:47], v[66:67], v[68:69]
	s_delay_alu instid0(VALU_DEP_1) | instskip(SKIP_2) | instid1(VALU_DEP_3)
	v_div_fmas_f64 v[46:47], v[46:47], v[64:65], v[66:67]
	v_fma_f64 v[64:65], v[42:43], v[62:63], v[44:45]
	v_fma_f64 v[42:43], v[44:45], v[62:63], -v[42:43]
	v_div_fixup_f64 v[46:47], v[46:47], v[48:49], 1.0
	s_delay_alu instid0(VALU_DEP_1) | instskip(NEXT) | instid1(VALU_DEP_3)
	v_mul_f64_e32 v[64:65], v[64:65], v[46:47]
	v_mul_f64_e32 v[62:63], v[42:43], v[46:47]
.LBB73_39:                              ;   in Loop: Header=BB73_4 Depth=1
	s_or_b32 exec_lo, exec_lo, s6
.LBB73_40:                              ;   in Loop: Header=BB73_4 Depth=1
	v_cmp_gt_f64_e32 vcc_lo, 0, v[38:39]
	v_xor_b32_e32 v42, 0x80000000, v39
	v_mov_b32_e32 v46, v38
	v_xor_b32_e32 v43, 0x80000000, v41
	s_mov_b32 s7, -1
                                        ; implicit-def: $vgpr44_vgpr45
	s_delay_alu instid0(VALU_DEP_3) | instskip(SKIP_1) | instid1(VALU_DEP_3)
	v_dual_mov_b32 v48, v40 :: v_dual_cndmask_b32 v47, v39, v42
	v_cmp_gt_f64_e32 vcc_lo, 0, v[40:41]
	v_cndmask_b32_e32 v49, v41, v43, vcc_lo
	s_and_not1_b32 vcc_lo, exec_lo, s30
                                        ; implicit-def: $vgpr42_vgpr43
	s_delay_alu instid0(VALU_DEP_1)
	v_cmp_ge_f64_e64 s6, v[46:47], v[48:49]
	s_cbranch_vccnz .LBB73_50
; %bb.41:                               ;   in Loop: Header=BB73_4 Depth=1
                                        ; implicit-def: $vgpr42_vgpr43
                                        ; implicit-def: $vgpr66_vgpr67
	s_and_saveexec_b32 s7, s6
	s_delay_alu instid0(SALU_CYCLE_1)
	s_xor_b32 s31, exec_lo, s7
	s_cbranch_execz .LBB73_47
; %bb.42:                               ;   in Loop: Header=BB73_4 Depth=1
	v_cmp_neq_f64_e32 vcc_lo, 0, v[38:39]
	v_cmp_neq_f64_e64 s7, 0, v[40:41]
                                        ; implicit-def: $vgpr42_vgpr43
                                        ; implicit-def: $vgpr66_vgpr67
	s_or_b32 s7, s7, vcc_lo
	s_delay_alu instid0(SALU_CYCLE_1) | instskip(NEXT) | instid1(SALU_CYCLE_1)
	s_and_saveexec_b32 s33, s7
	s_xor_b32 s7, exec_lo, s33
	s_cbranch_execz .LBB73_44
; %bb.43:                               ;   in Loop: Header=BB73_4 Depth=1
	v_div_scale_f64 v[42:43], null, v[38:39], v[38:39], v[40:41]
	v_div_scale_f64 v[68:69], vcc_lo, v[40:41], v[38:39], v[40:41]
	s_delay_alu instid0(VALU_DEP_2) | instskip(SKIP_1) | instid1(TRANS32_DEP_1)
	v_rcp_f64_e32 v[44:45], v[42:43]
	v_nop
	v_fma_f64 v[66:67], -v[42:43], v[44:45], 1.0
	s_delay_alu instid0(VALU_DEP_1) | instskip(NEXT) | instid1(VALU_DEP_1)
	v_fmac_f64_e32 v[44:45], v[44:45], v[66:67]
	v_fma_f64 v[66:67], -v[42:43], v[44:45], 1.0
	s_delay_alu instid0(VALU_DEP_1) | instskip(NEXT) | instid1(VALU_DEP_1)
	v_fmac_f64_e32 v[44:45], v[44:45], v[66:67]
	v_mul_f64_e32 v[66:67], v[68:69], v[44:45]
	s_delay_alu instid0(VALU_DEP_1) | instskip(NEXT) | instid1(VALU_DEP_1)
	v_fma_f64 v[42:43], -v[42:43], v[66:67], v[68:69]
	v_div_fmas_f64 v[42:43], v[42:43], v[44:45], v[66:67]
	s_delay_alu instid0(VALU_DEP_1) | instskip(NEXT) | instid1(VALU_DEP_1)
	v_div_fixup_f64 v[42:43], v[42:43], v[38:39], v[40:41]
	v_fma_f64 v[44:45], v[40:41], v[42:43], v[38:39]
	s_delay_alu instid0(VALU_DEP_1) | instskip(SKIP_1) | instid1(VALU_DEP_2)
	v_div_scale_f64 v[66:67], null, v[44:45], v[44:45], 1.0
	v_div_scale_f64 v[72:73], vcc_lo, 1.0, v[44:45], 1.0
	v_rcp_f64_e32 v[68:69], v[66:67]
	v_nop
	s_delay_alu instid0(TRANS32_DEP_1) | instskip(NEXT) | instid1(VALU_DEP_1)
	v_fma_f64 v[70:71], -v[66:67], v[68:69], 1.0
	v_fmac_f64_e32 v[68:69], v[68:69], v[70:71]
	s_delay_alu instid0(VALU_DEP_1) | instskip(NEXT) | instid1(VALU_DEP_1)
	v_fma_f64 v[70:71], -v[66:67], v[68:69], 1.0
	v_fmac_f64_e32 v[68:69], v[68:69], v[70:71]
	s_delay_alu instid0(VALU_DEP_1) | instskip(NEXT) | instid1(VALU_DEP_1)
	v_mul_f64_e32 v[70:71], v[72:73], v[68:69]
	v_fma_f64 v[66:67], -v[66:67], v[70:71], v[72:73]
	s_delay_alu instid0(VALU_DEP_1) | instskip(SKIP_2) | instid1(VALU_DEP_3)
	v_div_fmas_f64 v[66:67], v[66:67], v[68:69], v[70:71]
	v_fma_f64 v[68:69], v[36:37], v[42:43], v[34:35]
	v_fma_f64 v[42:43], -v[34:35], v[42:43], v[36:37]
	v_div_fixup_f64 v[44:45], v[66:67], v[44:45], 1.0
	s_delay_alu instid0(VALU_DEP_1) | instskip(NEXT) | instid1(VALU_DEP_3)
	v_mul_f64_e32 v[66:67], v[68:69], v[44:45]
	v_mul_f64_e32 v[42:43], v[42:43], v[44:45]
.LBB73_44:                              ;   in Loop: Header=BB73_4 Depth=1
	s_and_not1_saveexec_b32 s33, s7
	s_cbranch_execz .LBB73_46
; %bb.45:                               ;   in Loop: Header=BB73_4 Depth=1
	v_div_scale_f64 v[42:43], null, v[46:47], v[46:47], v[34:35]
	v_div_scale_f64 v[44:45], null, v[48:49], v[48:49], v[36:37]
	v_div_scale_f64 v[74:75], vcc_lo, v[34:35], v[46:47], v[34:35]
	s_delay_alu instid0(VALU_DEP_3) | instskip(NEXT) | instid1(VALU_DEP_2)
	v_rcp_f64_e32 v[66:67], v[42:43]
	v_rcp_f64_e32 v[68:69], v[44:45]
	s_delay_alu instid0(TRANS32_DEP_2) | instskip(NEXT) | instid1(TRANS32_DEP_1)
	v_fma_f64 v[70:71], -v[42:43], v[66:67], 1.0
	v_fma_f64 v[72:73], -v[44:45], v[68:69], 1.0
	s_delay_alu instid0(VALU_DEP_2) | instskip(NEXT) | instid1(VALU_DEP_2)
	v_fmac_f64_e32 v[66:67], v[66:67], v[70:71]
	v_fmac_f64_e32 v[68:69], v[68:69], v[72:73]
	s_delay_alu instid0(VALU_DEP_2) | instskip(NEXT) | instid1(VALU_DEP_2)
	v_fma_f64 v[70:71], -v[42:43], v[66:67], 1.0
	v_fma_f64 v[72:73], -v[44:45], v[68:69], 1.0
	s_delay_alu instid0(VALU_DEP_2) | instskip(SKIP_1) | instid1(VALU_DEP_3)
	v_fmac_f64_e32 v[66:67], v[66:67], v[70:71]
	v_div_scale_f64 v[70:71], s7, v[36:37], v[48:49], v[36:37]
	v_fmac_f64_e32 v[68:69], v[68:69], v[72:73]
	s_delay_alu instid0(VALU_DEP_3) | instskip(NEXT) | instid1(VALU_DEP_2)
	v_mul_f64_e32 v[72:73], v[74:75], v[66:67]
	v_mul_f64_e32 v[76:77], v[70:71], v[68:69]
	s_delay_alu instid0(VALU_DEP_2) | instskip(NEXT) | instid1(VALU_DEP_2)
	v_fma_f64 v[42:43], -v[42:43], v[72:73], v[74:75]
	v_fma_f64 v[44:45], -v[44:45], v[76:77], v[70:71]
	s_delay_alu instid0(VALU_DEP_2) | instskip(SKIP_1) | instid1(VALU_DEP_2)
	v_div_fmas_f64 v[42:43], v[42:43], v[66:67], v[72:73]
	s_mov_b32 vcc_lo, s7
	v_div_fmas_f64 v[44:45], v[44:45], v[68:69], v[76:77]
	s_delay_alu instid0(VALU_DEP_2) | instskip(NEXT) | instid1(VALU_DEP_2)
	v_div_fixup_f64 v[66:67], v[42:43], v[46:47], v[34:35]
	v_div_fixup_f64 v[42:43], v[44:45], v[48:49], v[36:37]
.LBB73_46:                              ;   in Loop: Header=BB73_4 Depth=1
	s_or_b32 exec_lo, exec_lo, s33
.LBB73_47:                              ;   in Loop: Header=BB73_4 Depth=1
	s_and_not1_saveexec_b32 s7, s31
	s_cbranch_execz .LBB73_49
; %bb.48:                               ;   in Loop: Header=BB73_4 Depth=1
	v_div_scale_f64 v[42:43], null, v[40:41], v[40:41], v[38:39]
	v_div_scale_f64 v[68:69], vcc_lo, v[38:39], v[40:41], v[38:39]
	s_delay_alu instid0(VALU_DEP_2) | instskip(SKIP_1) | instid1(TRANS32_DEP_1)
	v_rcp_f64_e32 v[44:45], v[42:43]
	v_nop
	v_fma_f64 v[66:67], -v[42:43], v[44:45], 1.0
	s_delay_alu instid0(VALU_DEP_1) | instskip(NEXT) | instid1(VALU_DEP_1)
	v_fmac_f64_e32 v[44:45], v[44:45], v[66:67]
	v_fma_f64 v[66:67], -v[42:43], v[44:45], 1.0
	s_delay_alu instid0(VALU_DEP_1) | instskip(NEXT) | instid1(VALU_DEP_1)
	v_fmac_f64_e32 v[44:45], v[44:45], v[66:67]
	v_mul_f64_e32 v[66:67], v[68:69], v[44:45]
	s_delay_alu instid0(VALU_DEP_1) | instskip(NEXT) | instid1(VALU_DEP_1)
	v_fma_f64 v[42:43], -v[42:43], v[66:67], v[68:69]
	v_div_fmas_f64 v[42:43], v[42:43], v[44:45], v[66:67]
	s_delay_alu instid0(VALU_DEP_1) | instskip(NEXT) | instid1(VALU_DEP_1)
	v_div_fixup_f64 v[42:43], v[42:43], v[40:41], v[38:39]
	v_fma_f64 v[44:45], v[38:39], v[42:43], v[40:41]
	s_delay_alu instid0(VALU_DEP_1) | instskip(SKIP_1) | instid1(VALU_DEP_2)
	v_div_scale_f64 v[66:67], null, v[44:45], v[44:45], 1.0
	v_div_scale_f64 v[72:73], vcc_lo, 1.0, v[44:45], 1.0
	v_rcp_f64_e32 v[68:69], v[66:67]
	v_nop
	s_delay_alu instid0(TRANS32_DEP_1) | instskip(NEXT) | instid1(VALU_DEP_1)
	v_fma_f64 v[70:71], -v[66:67], v[68:69], 1.0
	v_fmac_f64_e32 v[68:69], v[68:69], v[70:71]
	s_delay_alu instid0(VALU_DEP_1) | instskip(NEXT) | instid1(VALU_DEP_1)
	v_fma_f64 v[70:71], -v[66:67], v[68:69], 1.0
	v_fmac_f64_e32 v[68:69], v[68:69], v[70:71]
	s_delay_alu instid0(VALU_DEP_1) | instskip(NEXT) | instid1(VALU_DEP_1)
	v_mul_f64_e32 v[70:71], v[72:73], v[68:69]
	v_fma_f64 v[66:67], -v[66:67], v[70:71], v[72:73]
	s_delay_alu instid0(VALU_DEP_1) | instskip(SKIP_2) | instid1(VALU_DEP_3)
	v_div_fmas_f64 v[66:67], v[66:67], v[68:69], v[70:71]
	v_fma_f64 v[68:69], v[34:35], v[42:43], v[36:37]
	v_fma_f64 v[42:43], v[36:37], v[42:43], -v[34:35]
	v_div_fixup_f64 v[44:45], v[66:67], v[44:45], 1.0
	s_delay_alu instid0(VALU_DEP_1) | instskip(NEXT) | instid1(VALU_DEP_3)
	v_mul_f64_e32 v[66:67], v[68:69], v[44:45]
	v_mul_f64_e32 v[42:43], v[42:43], v[44:45]
.LBB73_49:                              ;   in Loop: Header=BB73_4 Depth=1
	s_or_b32 exec_lo, exec_lo, s7
	s_delay_alu instid0(VALU_DEP_1) | instskip(SKIP_2) | instid1(VALU_DEP_2)
	v_mul_f64_e32 v[44:45], s[10:11], v[42:43]
	v_mul_f64_e32 v[42:43], s[8:9], v[42:43]
	s_mov_b32 s7, 0
	v_fma_f64 v[44:45], s[8:9], v[66:67], -v[44:45]
	s_delay_alu instid0(VALU_DEP_2)
	v_fmac_f64_e32 v[42:43], s[10:11], v[66:67]
.LBB73_50:                              ;   in Loop: Header=BB73_4 Depth=1
	s_and_b32 vcc_lo, exec_lo, s7
	s_cbranch_vccz .LBB73_60
; %bb.51:                               ;   in Loop: Header=BB73_4 Depth=1
                                        ; implicit-def: $vgpr42_vgpr43
                                        ; implicit-def: $vgpr44_vgpr45
	s_and_saveexec_b32 s7, s6
	s_delay_alu instid0(SALU_CYCLE_1)
	s_xor_b32 s7, exec_lo, s7
	s_cbranch_execz .LBB73_57
; %bb.52:                               ;   in Loop: Header=BB73_4 Depth=1
	v_cmp_neq_f64_e32 vcc_lo, 0, v[38:39]
	v_cmp_neq_f64_e64 s6, 0, v[40:41]
                                        ; implicit-def: $vgpr42_vgpr43
                                        ; implicit-def: $vgpr44_vgpr45
	s_or_b32 s6, s6, vcc_lo
	s_delay_alu instid0(SALU_CYCLE_1) | instskip(NEXT) | instid1(SALU_CYCLE_1)
	s_and_saveexec_b32 s31, s6
	s_xor_b32 s6, exec_lo, s31
	s_cbranch_execz .LBB73_54
; %bb.53:                               ;   in Loop: Header=BB73_4 Depth=1
	v_div_scale_f64 v[42:43], null, v[38:39], v[38:39], v[40:41]
	v_div_scale_f64 v[48:49], vcc_lo, v[40:41], v[38:39], v[40:41]
	s_delay_alu instid0(VALU_DEP_2) | instskip(SKIP_1) | instid1(TRANS32_DEP_1)
	v_rcp_f64_e32 v[44:45], v[42:43]
	v_nop
	v_fma_f64 v[46:47], -v[42:43], v[44:45], 1.0
	s_delay_alu instid0(VALU_DEP_1) | instskip(NEXT) | instid1(VALU_DEP_1)
	v_fmac_f64_e32 v[44:45], v[44:45], v[46:47]
	v_fma_f64 v[46:47], -v[42:43], v[44:45], 1.0
	s_delay_alu instid0(VALU_DEP_1) | instskip(NEXT) | instid1(VALU_DEP_1)
	v_fmac_f64_e32 v[44:45], v[44:45], v[46:47]
	v_mul_f64_e32 v[46:47], v[48:49], v[44:45]
	s_delay_alu instid0(VALU_DEP_1) | instskip(NEXT) | instid1(VALU_DEP_1)
	v_fma_f64 v[42:43], -v[42:43], v[46:47], v[48:49]
	v_div_fmas_f64 v[42:43], v[42:43], v[44:45], v[46:47]
	s_delay_alu instid0(VALU_DEP_1) | instskip(NEXT) | instid1(VALU_DEP_1)
	v_div_fixup_f64 v[42:43], v[42:43], v[38:39], v[40:41]
	v_fmac_f64_e32 v[38:39], v[40:41], v[42:43]
	s_delay_alu instid0(VALU_DEP_1) | instskip(SKIP_1) | instid1(VALU_DEP_2)
	v_div_scale_f64 v[40:41], null, v[38:39], v[38:39], 1.0
	v_div_scale_f64 v[48:49], vcc_lo, 1.0, v[38:39], 1.0
	v_rcp_f64_e32 v[44:45], v[40:41]
	v_nop
	s_delay_alu instid0(TRANS32_DEP_1) | instskip(NEXT) | instid1(VALU_DEP_1)
	v_fma_f64 v[46:47], -v[40:41], v[44:45], 1.0
	v_fmac_f64_e32 v[44:45], v[44:45], v[46:47]
	s_delay_alu instid0(VALU_DEP_1) | instskip(NEXT) | instid1(VALU_DEP_1)
	v_fma_f64 v[46:47], -v[40:41], v[44:45], 1.0
	v_fmac_f64_e32 v[44:45], v[44:45], v[46:47]
	s_delay_alu instid0(VALU_DEP_1) | instskip(NEXT) | instid1(VALU_DEP_1)
	v_mul_f64_e32 v[46:47], v[48:49], v[44:45]
	v_fma_f64 v[40:41], -v[40:41], v[46:47], v[48:49]
                                        ; implicit-def: $vgpr48_vgpr49
	s_delay_alu instid0(VALU_DEP_1) | instskip(SKIP_2) | instid1(VALU_DEP_3)
	v_div_fmas_f64 v[40:41], v[40:41], v[44:45], v[46:47]
	v_fma_f64 v[44:45], v[36:37], v[42:43], v[34:35]
	v_fma_f64 v[34:35], -v[34:35], v[42:43], v[36:37]
                                        ; implicit-def: $vgpr46_vgpr47
	v_div_fixup_f64 v[38:39], v[40:41], v[38:39], 1.0
	s_delay_alu instid0(VALU_DEP_1) | instskip(NEXT) | instid1(VALU_DEP_3)
	v_mul_f64_e32 v[44:45], v[44:45], v[38:39]
	v_mul_f64_e32 v[42:43], v[34:35], v[38:39]
                                        ; implicit-def: $vgpr34_vgpr35
.LBB73_54:                              ;   in Loop: Header=BB73_4 Depth=1
	s_and_not1_saveexec_b32 s31, s6
	s_cbranch_execz .LBB73_56
; %bb.55:                               ;   in Loop: Header=BB73_4 Depth=1
	v_div_scale_f64 v[38:39], null, v[46:47], v[46:47], v[34:35]
	v_div_scale_f64 v[40:41], null, v[48:49], v[48:49], v[36:37]
	v_div_scale_f64 v[70:71], vcc_lo, v[34:35], v[46:47], v[34:35]
	s_delay_alu instid0(VALU_DEP_3) | instskip(NEXT) | instid1(VALU_DEP_2)
	v_rcp_f64_e32 v[42:43], v[38:39]
	v_rcp_f64_e32 v[44:45], v[40:41]
	s_delay_alu instid0(TRANS32_DEP_2) | instskip(NEXT) | instid1(TRANS32_DEP_1)
	v_fma_f64 v[66:67], -v[38:39], v[42:43], 1.0
	v_fma_f64 v[68:69], -v[40:41], v[44:45], 1.0
	s_delay_alu instid0(VALU_DEP_2) | instskip(NEXT) | instid1(VALU_DEP_2)
	v_fmac_f64_e32 v[42:43], v[42:43], v[66:67]
	v_fmac_f64_e32 v[44:45], v[44:45], v[68:69]
	s_delay_alu instid0(VALU_DEP_2) | instskip(NEXT) | instid1(VALU_DEP_2)
	v_fma_f64 v[66:67], -v[38:39], v[42:43], 1.0
	v_fma_f64 v[68:69], -v[40:41], v[44:45], 1.0
	s_delay_alu instid0(VALU_DEP_2) | instskip(SKIP_1) | instid1(VALU_DEP_3)
	v_fmac_f64_e32 v[42:43], v[42:43], v[66:67]
	v_div_scale_f64 v[66:67], s6, v[36:37], v[48:49], v[36:37]
	v_fmac_f64_e32 v[44:45], v[44:45], v[68:69]
	s_delay_alu instid0(VALU_DEP_3) | instskip(NEXT) | instid1(VALU_DEP_2)
	v_mul_f64_e32 v[68:69], v[70:71], v[42:43]
	v_mul_f64_e32 v[72:73], v[66:67], v[44:45]
	s_delay_alu instid0(VALU_DEP_2) | instskip(NEXT) | instid1(VALU_DEP_2)
	v_fma_f64 v[38:39], -v[38:39], v[68:69], v[70:71]
	v_fma_f64 v[40:41], -v[40:41], v[72:73], v[66:67]
	s_delay_alu instid0(VALU_DEP_2) | instskip(SKIP_1) | instid1(VALU_DEP_2)
	v_div_fmas_f64 v[38:39], v[38:39], v[42:43], v[68:69]
	s_mov_b32 vcc_lo, s6
	v_div_fmas_f64 v[40:41], v[40:41], v[44:45], v[72:73]
	s_delay_alu instid0(VALU_DEP_2) | instskip(NEXT) | instid1(VALU_DEP_2)
	v_div_fixup_f64 v[44:45], v[38:39], v[46:47], v[34:35]
	v_div_fixup_f64 v[42:43], v[40:41], v[48:49], v[36:37]
.LBB73_56:                              ;   in Loop: Header=BB73_4 Depth=1
	s_or_b32 exec_lo, exec_lo, s31
                                        ; implicit-def: $vgpr40_vgpr41
                                        ; implicit-def: $vgpr34_vgpr35
.LBB73_57:                              ;   in Loop: Header=BB73_4 Depth=1
	s_and_not1_saveexec_b32 s6, s7
	s_cbranch_execz .LBB73_59
; %bb.58:                               ;   in Loop: Header=BB73_4 Depth=1
	v_div_scale_f64 v[42:43], null, v[40:41], v[40:41], v[38:39]
	v_div_scale_f64 v[48:49], vcc_lo, v[38:39], v[40:41], v[38:39]
	s_delay_alu instid0(VALU_DEP_2) | instskip(SKIP_1) | instid1(TRANS32_DEP_1)
	v_rcp_f64_e32 v[44:45], v[42:43]
	v_nop
	v_fma_f64 v[46:47], -v[42:43], v[44:45], 1.0
	s_delay_alu instid0(VALU_DEP_1) | instskip(NEXT) | instid1(VALU_DEP_1)
	v_fmac_f64_e32 v[44:45], v[44:45], v[46:47]
	v_fma_f64 v[46:47], -v[42:43], v[44:45], 1.0
	s_delay_alu instid0(VALU_DEP_1) | instskip(NEXT) | instid1(VALU_DEP_1)
	v_fmac_f64_e32 v[44:45], v[44:45], v[46:47]
	v_mul_f64_e32 v[46:47], v[48:49], v[44:45]
	s_delay_alu instid0(VALU_DEP_1) | instskip(NEXT) | instid1(VALU_DEP_1)
	v_fma_f64 v[42:43], -v[42:43], v[46:47], v[48:49]
	v_div_fmas_f64 v[42:43], v[42:43], v[44:45], v[46:47]
	s_delay_alu instid0(VALU_DEP_1) | instskip(NEXT) | instid1(VALU_DEP_1)
	v_div_fixup_f64 v[42:43], v[42:43], v[40:41], v[38:39]
	v_fmac_f64_e32 v[40:41], v[38:39], v[42:43]
	s_delay_alu instid0(VALU_DEP_1) | instskip(SKIP_1) | instid1(VALU_DEP_2)
	v_div_scale_f64 v[38:39], null, v[40:41], v[40:41], 1.0
	v_div_scale_f64 v[48:49], vcc_lo, 1.0, v[40:41], 1.0
	v_rcp_f64_e32 v[44:45], v[38:39]
	v_nop
	s_delay_alu instid0(TRANS32_DEP_1) | instskip(NEXT) | instid1(VALU_DEP_1)
	v_fma_f64 v[46:47], -v[38:39], v[44:45], 1.0
	v_fmac_f64_e32 v[44:45], v[44:45], v[46:47]
	s_delay_alu instid0(VALU_DEP_1) | instskip(NEXT) | instid1(VALU_DEP_1)
	v_fma_f64 v[46:47], -v[38:39], v[44:45], 1.0
	v_fmac_f64_e32 v[44:45], v[44:45], v[46:47]
	s_delay_alu instid0(VALU_DEP_1) | instskip(NEXT) | instid1(VALU_DEP_1)
	v_mul_f64_e32 v[46:47], v[48:49], v[44:45]
	v_fma_f64 v[38:39], -v[38:39], v[46:47], v[48:49]
	s_delay_alu instid0(VALU_DEP_1) | instskip(SKIP_2) | instid1(VALU_DEP_3)
	v_div_fmas_f64 v[38:39], v[38:39], v[44:45], v[46:47]
	v_fma_f64 v[44:45], v[34:35], v[42:43], v[36:37]
	v_fma_f64 v[34:35], v[36:37], v[42:43], -v[34:35]
	v_div_fixup_f64 v[38:39], v[38:39], v[40:41], 1.0
	s_delay_alu instid0(VALU_DEP_1) | instskip(NEXT) | instid1(VALU_DEP_3)
	v_mul_f64_e32 v[44:45], v[44:45], v[38:39]
	v_mul_f64_e32 v[42:43], v[34:35], v[38:39]
.LBB73_59:                              ;   in Loop: Header=BB73_4 Depth=1
	s_or_b32 exec_lo, exec_lo, s6
.LBB73_60:                              ;   in Loop: Header=BB73_4 Depth=1
	v_cmp_gt_f64_e32 vcc_lo, 0, v[30:31]
	v_xor_b32_e32 v34, 0x80000000, v31
	v_mov_b32_e32 v38, v30
	v_xor_b32_e32 v35, 0x80000000, v33
	s_mov_b32 s7, -1
                                        ; implicit-def: $vgpr36_vgpr37
	s_delay_alu instid0(VALU_DEP_3) | instskip(SKIP_1) | instid1(VALU_DEP_3)
	v_dual_mov_b32 v40, v32 :: v_dual_cndmask_b32 v39, v31, v34
	v_cmp_gt_f64_e32 vcc_lo, 0, v[32:33]
	v_cndmask_b32_e32 v41, v33, v35, vcc_lo
	s_and_not1_b32 vcc_lo, exec_lo, s30
                                        ; implicit-def: $vgpr34_vgpr35
	s_delay_alu instid0(VALU_DEP_1)
	v_cmp_ge_f64_e64 s6, v[38:39], v[40:41]
	s_cbranch_vccnz .LBB73_70
; %bb.61:                               ;   in Loop: Header=BB73_4 Depth=1
                                        ; implicit-def: $vgpr34_vgpr35
                                        ; implicit-def: $vgpr46_vgpr47
	s_and_saveexec_b32 s7, s6
	s_delay_alu instid0(SALU_CYCLE_1)
	s_xor_b32 s31, exec_lo, s7
	s_cbranch_execz .LBB73_67
; %bb.62:                               ;   in Loop: Header=BB73_4 Depth=1
	v_cmp_neq_f64_e32 vcc_lo, 0, v[30:31]
	v_cmp_neq_f64_e64 s7, 0, v[32:33]
                                        ; implicit-def: $vgpr34_vgpr35
                                        ; implicit-def: $vgpr46_vgpr47
	s_or_b32 s7, s7, vcc_lo
	s_delay_alu instid0(SALU_CYCLE_1) | instskip(NEXT) | instid1(SALU_CYCLE_1)
	s_and_saveexec_b32 s33, s7
	s_xor_b32 s7, exec_lo, s33
	s_cbranch_execz .LBB73_64
; %bb.63:                               ;   in Loop: Header=BB73_4 Depth=1
	v_div_scale_f64 v[34:35], null, v[30:31], v[30:31], v[32:33]
	v_div_scale_f64 v[48:49], vcc_lo, v[32:33], v[30:31], v[32:33]
	s_delay_alu instid0(VALU_DEP_2) | instskip(SKIP_1) | instid1(TRANS32_DEP_1)
	v_rcp_f64_e32 v[36:37], v[34:35]
	v_nop
	v_fma_f64 v[46:47], -v[34:35], v[36:37], 1.0
	s_delay_alu instid0(VALU_DEP_1) | instskip(NEXT) | instid1(VALU_DEP_1)
	v_fmac_f64_e32 v[36:37], v[36:37], v[46:47]
	v_fma_f64 v[46:47], -v[34:35], v[36:37], 1.0
	s_delay_alu instid0(VALU_DEP_1) | instskip(NEXT) | instid1(VALU_DEP_1)
	v_fmac_f64_e32 v[36:37], v[36:37], v[46:47]
	v_mul_f64_e32 v[46:47], v[48:49], v[36:37]
	s_delay_alu instid0(VALU_DEP_1) | instskip(NEXT) | instid1(VALU_DEP_1)
	v_fma_f64 v[34:35], -v[34:35], v[46:47], v[48:49]
	v_div_fmas_f64 v[34:35], v[34:35], v[36:37], v[46:47]
	s_delay_alu instid0(VALU_DEP_1) | instskip(NEXT) | instid1(VALU_DEP_1)
	v_div_fixup_f64 v[34:35], v[34:35], v[30:31], v[32:33]
	v_fma_f64 v[36:37], v[32:33], v[34:35], v[30:31]
	s_delay_alu instid0(VALU_DEP_1) | instskip(SKIP_1) | instid1(VALU_DEP_2)
	v_div_scale_f64 v[46:47], null, v[36:37], v[36:37], 1.0
	v_div_scale_f64 v[68:69], vcc_lo, 1.0, v[36:37], 1.0
	v_rcp_f64_e32 v[48:49], v[46:47]
	v_nop
	s_delay_alu instid0(TRANS32_DEP_1) | instskip(NEXT) | instid1(VALU_DEP_1)
	v_fma_f64 v[66:67], -v[46:47], v[48:49], 1.0
	v_fmac_f64_e32 v[48:49], v[48:49], v[66:67]
	s_delay_alu instid0(VALU_DEP_1) | instskip(NEXT) | instid1(VALU_DEP_1)
	v_fma_f64 v[66:67], -v[46:47], v[48:49], 1.0
	v_fmac_f64_e32 v[48:49], v[48:49], v[66:67]
	s_delay_alu instid0(VALU_DEP_1) | instskip(NEXT) | instid1(VALU_DEP_1)
	v_mul_f64_e32 v[66:67], v[68:69], v[48:49]
	v_fma_f64 v[46:47], -v[46:47], v[66:67], v[68:69]
	s_delay_alu instid0(VALU_DEP_1) | instskip(SKIP_2) | instid1(VALU_DEP_3)
	v_div_fmas_f64 v[46:47], v[46:47], v[48:49], v[66:67]
	v_fma_f64 v[48:49], v[28:29], v[34:35], v[26:27]
	v_fma_f64 v[34:35], -v[26:27], v[34:35], v[28:29]
	v_div_fixup_f64 v[36:37], v[46:47], v[36:37], 1.0
	s_delay_alu instid0(VALU_DEP_1) | instskip(NEXT) | instid1(VALU_DEP_3)
	v_mul_f64_e32 v[46:47], v[48:49], v[36:37]
	v_mul_f64_e32 v[34:35], v[34:35], v[36:37]
.LBB73_64:                              ;   in Loop: Header=BB73_4 Depth=1
	s_and_not1_saveexec_b32 s33, s7
	s_cbranch_execz .LBB73_66
; %bb.65:                               ;   in Loop: Header=BB73_4 Depth=1
	v_div_scale_f64 v[34:35], null, v[38:39], v[38:39], v[26:27]
	v_div_scale_f64 v[36:37], null, v[40:41], v[40:41], v[28:29]
	v_div_scale_f64 v[70:71], vcc_lo, v[26:27], v[38:39], v[26:27]
	s_delay_alu instid0(VALU_DEP_3) | instskip(NEXT) | instid1(VALU_DEP_2)
	v_rcp_f64_e32 v[46:47], v[34:35]
	v_rcp_f64_e32 v[48:49], v[36:37]
	s_delay_alu instid0(TRANS32_DEP_2) | instskip(NEXT) | instid1(TRANS32_DEP_1)
	v_fma_f64 v[66:67], -v[34:35], v[46:47], 1.0
	v_fma_f64 v[68:69], -v[36:37], v[48:49], 1.0
	s_delay_alu instid0(VALU_DEP_2) | instskip(NEXT) | instid1(VALU_DEP_2)
	v_fmac_f64_e32 v[46:47], v[46:47], v[66:67]
	v_fmac_f64_e32 v[48:49], v[48:49], v[68:69]
	s_delay_alu instid0(VALU_DEP_2) | instskip(NEXT) | instid1(VALU_DEP_2)
	v_fma_f64 v[66:67], -v[34:35], v[46:47], 1.0
	v_fma_f64 v[68:69], -v[36:37], v[48:49], 1.0
	s_delay_alu instid0(VALU_DEP_2) | instskip(SKIP_1) | instid1(VALU_DEP_3)
	v_fmac_f64_e32 v[46:47], v[46:47], v[66:67]
	v_div_scale_f64 v[66:67], s7, v[28:29], v[40:41], v[28:29]
	v_fmac_f64_e32 v[48:49], v[48:49], v[68:69]
	s_delay_alu instid0(VALU_DEP_3) | instskip(NEXT) | instid1(VALU_DEP_2)
	v_mul_f64_e32 v[68:69], v[70:71], v[46:47]
	v_mul_f64_e32 v[72:73], v[66:67], v[48:49]
	s_delay_alu instid0(VALU_DEP_2) | instskip(NEXT) | instid1(VALU_DEP_2)
	v_fma_f64 v[34:35], -v[34:35], v[68:69], v[70:71]
	v_fma_f64 v[36:37], -v[36:37], v[72:73], v[66:67]
	s_delay_alu instid0(VALU_DEP_2) | instskip(SKIP_1) | instid1(VALU_DEP_2)
	v_div_fmas_f64 v[34:35], v[34:35], v[46:47], v[68:69]
	s_mov_b32 vcc_lo, s7
	v_div_fmas_f64 v[36:37], v[36:37], v[48:49], v[72:73]
	s_delay_alu instid0(VALU_DEP_2) | instskip(NEXT) | instid1(VALU_DEP_2)
	v_div_fixup_f64 v[46:47], v[34:35], v[38:39], v[26:27]
	v_div_fixup_f64 v[34:35], v[36:37], v[40:41], v[28:29]
.LBB73_66:                              ;   in Loop: Header=BB73_4 Depth=1
	s_or_b32 exec_lo, exec_lo, s33
.LBB73_67:                              ;   in Loop: Header=BB73_4 Depth=1
	s_and_not1_saveexec_b32 s7, s31
	s_cbranch_execz .LBB73_69
; %bb.68:                               ;   in Loop: Header=BB73_4 Depth=1
	v_div_scale_f64 v[34:35], null, v[32:33], v[32:33], v[30:31]
	v_div_scale_f64 v[48:49], vcc_lo, v[30:31], v[32:33], v[30:31]
	s_delay_alu instid0(VALU_DEP_2) | instskip(SKIP_1) | instid1(TRANS32_DEP_1)
	v_rcp_f64_e32 v[36:37], v[34:35]
	v_nop
	v_fma_f64 v[46:47], -v[34:35], v[36:37], 1.0
	s_delay_alu instid0(VALU_DEP_1) | instskip(NEXT) | instid1(VALU_DEP_1)
	v_fmac_f64_e32 v[36:37], v[36:37], v[46:47]
	v_fma_f64 v[46:47], -v[34:35], v[36:37], 1.0
	s_delay_alu instid0(VALU_DEP_1) | instskip(NEXT) | instid1(VALU_DEP_1)
	v_fmac_f64_e32 v[36:37], v[36:37], v[46:47]
	v_mul_f64_e32 v[46:47], v[48:49], v[36:37]
	s_delay_alu instid0(VALU_DEP_1) | instskip(NEXT) | instid1(VALU_DEP_1)
	v_fma_f64 v[34:35], -v[34:35], v[46:47], v[48:49]
	v_div_fmas_f64 v[34:35], v[34:35], v[36:37], v[46:47]
	s_delay_alu instid0(VALU_DEP_1) | instskip(NEXT) | instid1(VALU_DEP_1)
	v_div_fixup_f64 v[34:35], v[34:35], v[32:33], v[30:31]
	v_fma_f64 v[36:37], v[30:31], v[34:35], v[32:33]
	s_delay_alu instid0(VALU_DEP_1) | instskip(SKIP_1) | instid1(VALU_DEP_2)
	v_div_scale_f64 v[46:47], null, v[36:37], v[36:37], 1.0
	v_div_scale_f64 v[68:69], vcc_lo, 1.0, v[36:37], 1.0
	v_rcp_f64_e32 v[48:49], v[46:47]
	v_nop
	s_delay_alu instid0(TRANS32_DEP_1) | instskip(NEXT) | instid1(VALU_DEP_1)
	v_fma_f64 v[66:67], -v[46:47], v[48:49], 1.0
	v_fmac_f64_e32 v[48:49], v[48:49], v[66:67]
	s_delay_alu instid0(VALU_DEP_1) | instskip(NEXT) | instid1(VALU_DEP_1)
	v_fma_f64 v[66:67], -v[46:47], v[48:49], 1.0
	v_fmac_f64_e32 v[48:49], v[48:49], v[66:67]
	s_delay_alu instid0(VALU_DEP_1) | instskip(NEXT) | instid1(VALU_DEP_1)
	v_mul_f64_e32 v[66:67], v[68:69], v[48:49]
	v_fma_f64 v[46:47], -v[46:47], v[66:67], v[68:69]
	s_delay_alu instid0(VALU_DEP_1) | instskip(SKIP_2) | instid1(VALU_DEP_3)
	v_div_fmas_f64 v[46:47], v[46:47], v[48:49], v[66:67]
	v_fma_f64 v[48:49], v[26:27], v[34:35], v[28:29]
	v_fma_f64 v[34:35], v[28:29], v[34:35], -v[26:27]
	v_div_fixup_f64 v[36:37], v[46:47], v[36:37], 1.0
	s_delay_alu instid0(VALU_DEP_1) | instskip(NEXT) | instid1(VALU_DEP_3)
	v_mul_f64_e32 v[46:47], v[48:49], v[36:37]
	v_mul_f64_e32 v[34:35], v[34:35], v[36:37]
.LBB73_69:                              ;   in Loop: Header=BB73_4 Depth=1
	s_or_b32 exec_lo, exec_lo, s7
	s_delay_alu instid0(VALU_DEP_1) | instskip(SKIP_2) | instid1(VALU_DEP_2)
	v_mul_f64_e32 v[36:37], s[10:11], v[34:35]
	v_mul_f64_e32 v[34:35], s[8:9], v[34:35]
	s_mov_b32 s7, 0
	v_fma_f64 v[36:37], s[8:9], v[46:47], -v[36:37]
	s_delay_alu instid0(VALU_DEP_2)
	v_fmac_f64_e32 v[34:35], s[10:11], v[46:47]
.LBB73_70:                              ;   in Loop: Header=BB73_4 Depth=1
	s_and_b32 vcc_lo, exec_lo, s7
	s_cbranch_vccz .LBB73_80
; %bb.71:                               ;   in Loop: Header=BB73_4 Depth=1
                                        ; implicit-def: $vgpr34_vgpr35
                                        ; implicit-def: $vgpr36_vgpr37
	s_and_saveexec_b32 s7, s6
	s_delay_alu instid0(SALU_CYCLE_1)
	s_xor_b32 s7, exec_lo, s7
	s_cbranch_execz .LBB73_77
; %bb.72:                               ;   in Loop: Header=BB73_4 Depth=1
	v_cmp_neq_f64_e32 vcc_lo, 0, v[30:31]
	v_cmp_neq_f64_e64 s6, 0, v[32:33]
                                        ; implicit-def: $vgpr34_vgpr35
                                        ; implicit-def: $vgpr36_vgpr37
	s_or_b32 s6, s6, vcc_lo
	s_delay_alu instid0(SALU_CYCLE_1) | instskip(NEXT) | instid1(SALU_CYCLE_1)
	s_and_saveexec_b32 s31, s6
	s_xor_b32 s6, exec_lo, s31
	s_cbranch_execz .LBB73_74
; %bb.73:                               ;   in Loop: Header=BB73_4 Depth=1
	v_div_scale_f64 v[34:35], null, v[30:31], v[30:31], v[32:33]
	v_div_scale_f64 v[40:41], vcc_lo, v[32:33], v[30:31], v[32:33]
	s_delay_alu instid0(VALU_DEP_2) | instskip(SKIP_1) | instid1(TRANS32_DEP_1)
	v_rcp_f64_e32 v[36:37], v[34:35]
	v_nop
	v_fma_f64 v[38:39], -v[34:35], v[36:37], 1.0
	s_delay_alu instid0(VALU_DEP_1) | instskip(NEXT) | instid1(VALU_DEP_1)
	v_fmac_f64_e32 v[36:37], v[36:37], v[38:39]
	v_fma_f64 v[38:39], -v[34:35], v[36:37], 1.0
	s_delay_alu instid0(VALU_DEP_1) | instskip(NEXT) | instid1(VALU_DEP_1)
	v_fmac_f64_e32 v[36:37], v[36:37], v[38:39]
	v_mul_f64_e32 v[38:39], v[40:41], v[36:37]
	s_delay_alu instid0(VALU_DEP_1) | instskip(NEXT) | instid1(VALU_DEP_1)
	v_fma_f64 v[34:35], -v[34:35], v[38:39], v[40:41]
	v_div_fmas_f64 v[34:35], v[34:35], v[36:37], v[38:39]
	s_delay_alu instid0(VALU_DEP_1) | instskip(NEXT) | instid1(VALU_DEP_1)
	v_div_fixup_f64 v[34:35], v[34:35], v[30:31], v[32:33]
	v_fmac_f64_e32 v[30:31], v[32:33], v[34:35]
	s_delay_alu instid0(VALU_DEP_1) | instskip(SKIP_1) | instid1(VALU_DEP_2)
	v_div_scale_f64 v[32:33], null, v[30:31], v[30:31], 1.0
	v_div_scale_f64 v[40:41], vcc_lo, 1.0, v[30:31], 1.0
	v_rcp_f64_e32 v[36:37], v[32:33]
	v_nop
	s_delay_alu instid0(TRANS32_DEP_1) | instskip(NEXT) | instid1(VALU_DEP_1)
	v_fma_f64 v[38:39], -v[32:33], v[36:37], 1.0
	v_fmac_f64_e32 v[36:37], v[36:37], v[38:39]
	s_delay_alu instid0(VALU_DEP_1) | instskip(NEXT) | instid1(VALU_DEP_1)
	v_fma_f64 v[38:39], -v[32:33], v[36:37], 1.0
	v_fmac_f64_e32 v[36:37], v[36:37], v[38:39]
	s_delay_alu instid0(VALU_DEP_1) | instskip(NEXT) | instid1(VALU_DEP_1)
	v_mul_f64_e32 v[38:39], v[40:41], v[36:37]
	v_fma_f64 v[32:33], -v[32:33], v[38:39], v[40:41]
                                        ; implicit-def: $vgpr40_vgpr41
	s_delay_alu instid0(VALU_DEP_1) | instskip(SKIP_2) | instid1(VALU_DEP_3)
	v_div_fmas_f64 v[32:33], v[32:33], v[36:37], v[38:39]
	v_fma_f64 v[36:37], v[28:29], v[34:35], v[26:27]
	v_fma_f64 v[26:27], -v[26:27], v[34:35], v[28:29]
                                        ; implicit-def: $vgpr38_vgpr39
	v_div_fixup_f64 v[30:31], v[32:33], v[30:31], 1.0
	s_delay_alu instid0(VALU_DEP_1) | instskip(NEXT) | instid1(VALU_DEP_3)
	v_mul_f64_e32 v[36:37], v[36:37], v[30:31]
	v_mul_f64_e32 v[34:35], v[26:27], v[30:31]
                                        ; implicit-def: $vgpr26_vgpr27
.LBB73_74:                              ;   in Loop: Header=BB73_4 Depth=1
	s_and_not1_saveexec_b32 s31, s6
	s_cbranch_execz .LBB73_76
; %bb.75:                               ;   in Loop: Header=BB73_4 Depth=1
	v_div_scale_f64 v[30:31], null, v[38:39], v[38:39], v[26:27]
	v_div_scale_f64 v[32:33], null, v[40:41], v[40:41], v[28:29]
	v_div_scale_f64 v[66:67], vcc_lo, v[26:27], v[38:39], v[26:27]
	s_delay_alu instid0(VALU_DEP_3) | instskip(NEXT) | instid1(VALU_DEP_2)
	v_rcp_f64_e32 v[34:35], v[30:31]
	v_rcp_f64_e32 v[36:37], v[32:33]
	s_delay_alu instid0(TRANS32_DEP_2) | instskip(NEXT) | instid1(TRANS32_DEP_1)
	v_fma_f64 v[46:47], -v[30:31], v[34:35], 1.0
	v_fma_f64 v[48:49], -v[32:33], v[36:37], 1.0
	s_delay_alu instid0(VALU_DEP_2) | instskip(NEXT) | instid1(VALU_DEP_2)
	v_fmac_f64_e32 v[34:35], v[34:35], v[46:47]
	v_fmac_f64_e32 v[36:37], v[36:37], v[48:49]
	s_delay_alu instid0(VALU_DEP_2) | instskip(NEXT) | instid1(VALU_DEP_2)
	v_fma_f64 v[46:47], -v[30:31], v[34:35], 1.0
	v_fma_f64 v[48:49], -v[32:33], v[36:37], 1.0
	s_delay_alu instid0(VALU_DEP_2) | instskip(SKIP_1) | instid1(VALU_DEP_3)
	v_fmac_f64_e32 v[34:35], v[34:35], v[46:47]
	v_div_scale_f64 v[46:47], s6, v[28:29], v[40:41], v[28:29]
	v_fmac_f64_e32 v[36:37], v[36:37], v[48:49]
	s_delay_alu instid0(VALU_DEP_3) | instskip(NEXT) | instid1(VALU_DEP_2)
	v_mul_f64_e32 v[48:49], v[66:67], v[34:35]
	v_mul_f64_e32 v[68:69], v[46:47], v[36:37]
	s_delay_alu instid0(VALU_DEP_2) | instskip(NEXT) | instid1(VALU_DEP_2)
	v_fma_f64 v[30:31], -v[30:31], v[48:49], v[66:67]
	v_fma_f64 v[32:33], -v[32:33], v[68:69], v[46:47]
	s_delay_alu instid0(VALU_DEP_2) | instskip(SKIP_1) | instid1(VALU_DEP_2)
	v_div_fmas_f64 v[30:31], v[30:31], v[34:35], v[48:49]
	s_mov_b32 vcc_lo, s6
	v_div_fmas_f64 v[32:33], v[32:33], v[36:37], v[68:69]
	s_delay_alu instid0(VALU_DEP_2) | instskip(NEXT) | instid1(VALU_DEP_2)
	v_div_fixup_f64 v[36:37], v[30:31], v[38:39], v[26:27]
	v_div_fixup_f64 v[34:35], v[32:33], v[40:41], v[28:29]
.LBB73_76:                              ;   in Loop: Header=BB73_4 Depth=1
	s_or_b32 exec_lo, exec_lo, s31
                                        ; implicit-def: $vgpr32_vgpr33
                                        ; implicit-def: $vgpr26_vgpr27
.LBB73_77:                              ;   in Loop: Header=BB73_4 Depth=1
	s_and_not1_saveexec_b32 s6, s7
	s_cbranch_execz .LBB73_79
; %bb.78:                               ;   in Loop: Header=BB73_4 Depth=1
	v_div_scale_f64 v[34:35], null, v[32:33], v[32:33], v[30:31]
	v_div_scale_f64 v[40:41], vcc_lo, v[30:31], v[32:33], v[30:31]
	s_delay_alu instid0(VALU_DEP_2) | instskip(SKIP_1) | instid1(TRANS32_DEP_1)
	v_rcp_f64_e32 v[36:37], v[34:35]
	v_nop
	v_fma_f64 v[38:39], -v[34:35], v[36:37], 1.0
	s_delay_alu instid0(VALU_DEP_1) | instskip(NEXT) | instid1(VALU_DEP_1)
	v_fmac_f64_e32 v[36:37], v[36:37], v[38:39]
	v_fma_f64 v[38:39], -v[34:35], v[36:37], 1.0
	s_delay_alu instid0(VALU_DEP_1) | instskip(NEXT) | instid1(VALU_DEP_1)
	v_fmac_f64_e32 v[36:37], v[36:37], v[38:39]
	v_mul_f64_e32 v[38:39], v[40:41], v[36:37]
	s_delay_alu instid0(VALU_DEP_1) | instskip(NEXT) | instid1(VALU_DEP_1)
	v_fma_f64 v[34:35], -v[34:35], v[38:39], v[40:41]
	v_div_fmas_f64 v[34:35], v[34:35], v[36:37], v[38:39]
	s_delay_alu instid0(VALU_DEP_1) | instskip(NEXT) | instid1(VALU_DEP_1)
	v_div_fixup_f64 v[34:35], v[34:35], v[32:33], v[30:31]
	v_fmac_f64_e32 v[32:33], v[30:31], v[34:35]
	s_delay_alu instid0(VALU_DEP_1) | instskip(SKIP_1) | instid1(VALU_DEP_2)
	v_div_scale_f64 v[30:31], null, v[32:33], v[32:33], 1.0
	v_div_scale_f64 v[40:41], vcc_lo, 1.0, v[32:33], 1.0
	v_rcp_f64_e32 v[36:37], v[30:31]
	v_nop
	s_delay_alu instid0(TRANS32_DEP_1) | instskip(NEXT) | instid1(VALU_DEP_1)
	v_fma_f64 v[38:39], -v[30:31], v[36:37], 1.0
	v_fmac_f64_e32 v[36:37], v[36:37], v[38:39]
	s_delay_alu instid0(VALU_DEP_1) | instskip(NEXT) | instid1(VALU_DEP_1)
	v_fma_f64 v[38:39], -v[30:31], v[36:37], 1.0
	v_fmac_f64_e32 v[36:37], v[36:37], v[38:39]
	s_delay_alu instid0(VALU_DEP_1) | instskip(NEXT) | instid1(VALU_DEP_1)
	v_mul_f64_e32 v[38:39], v[40:41], v[36:37]
	v_fma_f64 v[30:31], -v[30:31], v[38:39], v[40:41]
	s_delay_alu instid0(VALU_DEP_1) | instskip(SKIP_2) | instid1(VALU_DEP_3)
	v_div_fmas_f64 v[30:31], v[30:31], v[36:37], v[38:39]
	v_fma_f64 v[36:37], v[26:27], v[34:35], v[28:29]
	v_fma_f64 v[26:27], v[28:29], v[34:35], -v[26:27]
	v_div_fixup_f64 v[30:31], v[30:31], v[32:33], 1.0
	s_delay_alu instid0(VALU_DEP_1) | instskip(NEXT) | instid1(VALU_DEP_3)
	v_mul_f64_e32 v[36:37], v[36:37], v[30:31]
	v_mul_f64_e32 v[34:35], v[26:27], v[30:31]
.LBB73_79:                              ;   in Loop: Header=BB73_4 Depth=1
	s_or_b32 exec_lo, exec_lo, s6
.LBB73_80:                              ;   in Loop: Header=BB73_4 Depth=1
	v_cmp_gt_f64_e32 vcc_lo, 0, v[22:23]
	v_xor_b32_e32 v27, 0x80000000, v23
	v_mov_b32_e32 v26, v22
	v_xor_b32_e32 v28, 0x80000000, v25
	s_mov_b32 s7, -1
                                        ; implicit-def: $vgpr30_vgpr31
                                        ; implicit-def: $vgpr32_vgpr33
	s_delay_alu instid0(VALU_DEP_3) | instskip(SKIP_1) | instid1(VALU_DEP_3)
	v_cndmask_b32_e32 v27, v23, v27, vcc_lo
	v_cmp_gt_f64_e32 vcc_lo, 0, v[24:25]
	v_dual_cndmask_b32 v29, v25, v28 :: v_dual_mov_b32 v28, v24
	s_and_not1_b32 vcc_lo, exec_lo, s30
	s_delay_alu instid0(VALU_DEP_1)
	v_cmp_ge_f64_e64 s6, v[26:27], v[28:29]
	s_cbranch_vccz .LBB73_86
; %bb.81:                               ;   in Loop: Header=BB73_4 Depth=1
	s_and_b32 vcc_lo, exec_lo, s7
	s_cbranch_vccnz .LBB73_95
.LBB73_82:                              ;   in Loop: Header=BB73_4 Depth=1
	s_and_saveexec_b32 s6, s2
	s_delay_alu instid0(SALU_CYCLE_1)
	s_xor_b32 s2, exec_lo, s6
	s_cbranch_execnz .LBB73_104
.LBB73_83:                              ;   in Loop: Header=BB73_4 Depth=1
	s_or_b32 exec_lo, exec_lo, s2
	s_and_saveexec_b32 s2, s3
	s_cbranch_execnz .LBB73_105
.LBB73_84:                              ;   in Loop: Header=BB73_4 Depth=1
	s_or_b32 exec_lo, exec_lo, s2
	s_and_saveexec_b32 s2, s4
	s_cbranch_execnz .LBB73_106
.LBB73_85:                              ;   in Loop: Header=BB73_4 Depth=1
	s_or_b32 exec_lo, exec_lo, s2
	s_and_saveexec_b32 s2, s5
	s_cbranch_execz .LBB73_3
	s_branch .LBB73_107
.LBB73_86:                              ;   in Loop: Header=BB73_4 Depth=1
                                        ; implicit-def: $vgpr30_vgpr31
                                        ; implicit-def: $vgpr38_vgpr39
	s_and_saveexec_b32 s7, s6
	s_delay_alu instid0(SALU_CYCLE_1)
	s_xor_b32 s31, exec_lo, s7
	s_cbranch_execz .LBB73_92
; %bb.87:                               ;   in Loop: Header=BB73_4 Depth=1
	v_cmp_neq_f64_e32 vcc_lo, 0, v[22:23]
	v_cmp_neq_f64_e64 s7, 0, v[24:25]
                                        ; implicit-def: $vgpr30_vgpr31
                                        ; implicit-def: $vgpr38_vgpr39
	s_or_b32 s7, s7, vcc_lo
	s_delay_alu instid0(SALU_CYCLE_1) | instskip(NEXT) | instid1(SALU_CYCLE_1)
	s_and_saveexec_b32 s33, s7
	s_xor_b32 s7, exec_lo, s33
	s_cbranch_execz .LBB73_89
; %bb.88:                               ;   in Loop: Header=BB73_4 Depth=1
	v_div_scale_f64 v[30:31], null, v[22:23], v[22:23], v[24:25]
	v_div_scale_f64 v[40:41], vcc_lo, v[24:25], v[22:23], v[24:25]
	s_delay_alu instid0(VALU_DEP_2) | instskip(SKIP_1) | instid1(TRANS32_DEP_1)
	v_rcp_f64_e32 v[32:33], v[30:31]
	v_nop
	v_fma_f64 v[38:39], -v[30:31], v[32:33], 1.0
	s_delay_alu instid0(VALU_DEP_1) | instskip(NEXT) | instid1(VALU_DEP_1)
	v_fmac_f64_e32 v[32:33], v[32:33], v[38:39]
	v_fma_f64 v[38:39], -v[30:31], v[32:33], 1.0
	s_delay_alu instid0(VALU_DEP_1) | instskip(NEXT) | instid1(VALU_DEP_1)
	v_fmac_f64_e32 v[32:33], v[32:33], v[38:39]
	v_mul_f64_e32 v[38:39], v[40:41], v[32:33]
	s_delay_alu instid0(VALU_DEP_1) | instskip(NEXT) | instid1(VALU_DEP_1)
	v_fma_f64 v[30:31], -v[30:31], v[38:39], v[40:41]
	v_div_fmas_f64 v[30:31], v[30:31], v[32:33], v[38:39]
	s_delay_alu instid0(VALU_DEP_1) | instskip(NEXT) | instid1(VALU_DEP_1)
	v_div_fixup_f64 v[30:31], v[30:31], v[22:23], v[24:25]
	v_fma_f64 v[32:33], v[24:25], v[30:31], v[22:23]
	s_delay_alu instid0(VALU_DEP_1) | instskip(SKIP_1) | instid1(VALU_DEP_2)
	v_div_scale_f64 v[38:39], null, v[32:33], v[32:33], 1.0
	v_div_scale_f64 v[48:49], vcc_lo, 1.0, v[32:33], 1.0
	v_rcp_f64_e32 v[40:41], v[38:39]
	v_nop
	s_delay_alu instid0(TRANS32_DEP_1) | instskip(NEXT) | instid1(VALU_DEP_1)
	v_fma_f64 v[46:47], -v[38:39], v[40:41], 1.0
	v_fmac_f64_e32 v[40:41], v[40:41], v[46:47]
	s_delay_alu instid0(VALU_DEP_1) | instskip(NEXT) | instid1(VALU_DEP_1)
	v_fma_f64 v[46:47], -v[38:39], v[40:41], 1.0
	v_fmac_f64_e32 v[40:41], v[40:41], v[46:47]
	s_delay_alu instid0(VALU_DEP_1) | instskip(NEXT) | instid1(VALU_DEP_1)
	v_mul_f64_e32 v[46:47], v[48:49], v[40:41]
	v_fma_f64 v[38:39], -v[38:39], v[46:47], v[48:49]
	s_delay_alu instid0(VALU_DEP_1) | instskip(SKIP_2) | instid1(VALU_DEP_3)
	v_div_fmas_f64 v[38:39], v[38:39], v[40:41], v[46:47]
	v_fma_f64 v[40:41], v[20:21], v[30:31], v[18:19]
	v_fma_f64 v[30:31], -v[18:19], v[30:31], v[20:21]
	v_div_fixup_f64 v[32:33], v[38:39], v[32:33], 1.0
	s_delay_alu instid0(VALU_DEP_1) | instskip(NEXT) | instid1(VALU_DEP_3)
	v_mul_f64_e32 v[38:39], v[40:41], v[32:33]
	v_mul_f64_e32 v[30:31], v[30:31], v[32:33]
.LBB73_89:                              ;   in Loop: Header=BB73_4 Depth=1
	s_and_not1_saveexec_b32 s33, s7
	s_cbranch_execz .LBB73_91
; %bb.90:                               ;   in Loop: Header=BB73_4 Depth=1
	v_div_scale_f64 v[30:31], null, v[26:27], v[26:27], v[18:19]
	v_div_scale_f64 v[32:33], null, v[28:29], v[28:29], v[20:21]
	v_div_scale_f64 v[66:67], vcc_lo, v[18:19], v[26:27], v[18:19]
	s_delay_alu instid0(VALU_DEP_3) | instskip(NEXT) | instid1(VALU_DEP_2)
	v_rcp_f64_e32 v[38:39], v[30:31]
	v_rcp_f64_e32 v[40:41], v[32:33]
	s_delay_alu instid0(TRANS32_DEP_2) | instskip(NEXT) | instid1(TRANS32_DEP_1)
	v_fma_f64 v[46:47], -v[30:31], v[38:39], 1.0
	v_fma_f64 v[48:49], -v[32:33], v[40:41], 1.0
	s_delay_alu instid0(VALU_DEP_2) | instskip(NEXT) | instid1(VALU_DEP_2)
	v_fmac_f64_e32 v[38:39], v[38:39], v[46:47]
	v_fmac_f64_e32 v[40:41], v[40:41], v[48:49]
	s_delay_alu instid0(VALU_DEP_2) | instskip(NEXT) | instid1(VALU_DEP_2)
	v_fma_f64 v[46:47], -v[30:31], v[38:39], 1.0
	v_fma_f64 v[48:49], -v[32:33], v[40:41], 1.0
	s_delay_alu instid0(VALU_DEP_2) | instskip(SKIP_1) | instid1(VALU_DEP_3)
	v_fmac_f64_e32 v[38:39], v[38:39], v[46:47]
	v_div_scale_f64 v[46:47], s7, v[20:21], v[28:29], v[20:21]
	v_fmac_f64_e32 v[40:41], v[40:41], v[48:49]
	s_delay_alu instid0(VALU_DEP_3) | instskip(NEXT) | instid1(VALU_DEP_2)
	v_mul_f64_e32 v[48:49], v[66:67], v[38:39]
	v_mul_f64_e32 v[68:69], v[46:47], v[40:41]
	s_delay_alu instid0(VALU_DEP_2) | instskip(NEXT) | instid1(VALU_DEP_2)
	v_fma_f64 v[30:31], -v[30:31], v[48:49], v[66:67]
	v_fma_f64 v[32:33], -v[32:33], v[68:69], v[46:47]
	s_delay_alu instid0(VALU_DEP_2) | instskip(SKIP_1) | instid1(VALU_DEP_2)
	v_div_fmas_f64 v[30:31], v[30:31], v[38:39], v[48:49]
	s_mov_b32 vcc_lo, s7
	v_div_fmas_f64 v[32:33], v[32:33], v[40:41], v[68:69]
	s_delay_alu instid0(VALU_DEP_2) | instskip(NEXT) | instid1(VALU_DEP_2)
	v_div_fixup_f64 v[38:39], v[30:31], v[26:27], v[18:19]
	v_div_fixup_f64 v[30:31], v[32:33], v[28:29], v[20:21]
.LBB73_91:                              ;   in Loop: Header=BB73_4 Depth=1
	s_or_b32 exec_lo, exec_lo, s33
.LBB73_92:                              ;   in Loop: Header=BB73_4 Depth=1
	s_and_not1_saveexec_b32 s7, s31
	s_cbranch_execz .LBB73_94
; %bb.93:                               ;   in Loop: Header=BB73_4 Depth=1
	v_div_scale_f64 v[30:31], null, v[24:25], v[24:25], v[22:23]
	v_div_scale_f64 v[40:41], vcc_lo, v[22:23], v[24:25], v[22:23]
	s_delay_alu instid0(VALU_DEP_2) | instskip(SKIP_1) | instid1(TRANS32_DEP_1)
	v_rcp_f64_e32 v[32:33], v[30:31]
	v_nop
	v_fma_f64 v[38:39], -v[30:31], v[32:33], 1.0
	s_delay_alu instid0(VALU_DEP_1) | instskip(NEXT) | instid1(VALU_DEP_1)
	v_fmac_f64_e32 v[32:33], v[32:33], v[38:39]
	v_fma_f64 v[38:39], -v[30:31], v[32:33], 1.0
	s_delay_alu instid0(VALU_DEP_1) | instskip(NEXT) | instid1(VALU_DEP_1)
	v_fmac_f64_e32 v[32:33], v[32:33], v[38:39]
	v_mul_f64_e32 v[38:39], v[40:41], v[32:33]
	s_delay_alu instid0(VALU_DEP_1) | instskip(NEXT) | instid1(VALU_DEP_1)
	v_fma_f64 v[30:31], -v[30:31], v[38:39], v[40:41]
	v_div_fmas_f64 v[30:31], v[30:31], v[32:33], v[38:39]
	s_delay_alu instid0(VALU_DEP_1) | instskip(NEXT) | instid1(VALU_DEP_1)
	v_div_fixup_f64 v[30:31], v[30:31], v[24:25], v[22:23]
	v_fma_f64 v[32:33], v[22:23], v[30:31], v[24:25]
	s_delay_alu instid0(VALU_DEP_1) | instskip(SKIP_1) | instid1(VALU_DEP_2)
	v_div_scale_f64 v[38:39], null, v[32:33], v[32:33], 1.0
	v_div_scale_f64 v[48:49], vcc_lo, 1.0, v[32:33], 1.0
	v_rcp_f64_e32 v[40:41], v[38:39]
	v_nop
	s_delay_alu instid0(TRANS32_DEP_1) | instskip(NEXT) | instid1(VALU_DEP_1)
	v_fma_f64 v[46:47], -v[38:39], v[40:41], 1.0
	v_fmac_f64_e32 v[40:41], v[40:41], v[46:47]
	s_delay_alu instid0(VALU_DEP_1) | instskip(NEXT) | instid1(VALU_DEP_1)
	v_fma_f64 v[46:47], -v[38:39], v[40:41], 1.0
	v_fmac_f64_e32 v[40:41], v[40:41], v[46:47]
	s_delay_alu instid0(VALU_DEP_1) | instskip(NEXT) | instid1(VALU_DEP_1)
	v_mul_f64_e32 v[46:47], v[48:49], v[40:41]
	v_fma_f64 v[38:39], -v[38:39], v[46:47], v[48:49]
	s_delay_alu instid0(VALU_DEP_1) | instskip(SKIP_2) | instid1(VALU_DEP_3)
	v_div_fmas_f64 v[38:39], v[38:39], v[40:41], v[46:47]
	v_fma_f64 v[40:41], v[18:19], v[30:31], v[20:21]
	v_fma_f64 v[30:31], v[20:21], v[30:31], -v[18:19]
	v_div_fixup_f64 v[32:33], v[38:39], v[32:33], 1.0
	s_delay_alu instid0(VALU_DEP_1) | instskip(NEXT) | instid1(VALU_DEP_3)
	v_mul_f64_e32 v[38:39], v[40:41], v[32:33]
	v_mul_f64_e32 v[30:31], v[30:31], v[32:33]
.LBB73_94:                              ;   in Loop: Header=BB73_4 Depth=1
	s_or_b32 exec_lo, exec_lo, s7
	s_delay_alu instid0(VALU_DEP_1) | instskip(SKIP_1) | instid1(VALU_DEP_2)
	v_mul_f64_e32 v[32:33], s[10:11], v[30:31]
	v_mul_f64_e32 v[30:31], s[8:9], v[30:31]
	v_fma_f64 v[32:33], s[8:9], v[38:39], -v[32:33]
	s_delay_alu instid0(VALU_DEP_2)
	v_fmac_f64_e32 v[30:31], s[10:11], v[38:39]
	s_branch .LBB73_82
.LBB73_95:                              ;   in Loop: Header=BB73_4 Depth=1
                                        ; implicit-def: $vgpr30_vgpr31
                                        ; implicit-def: $vgpr32_vgpr33
	s_and_saveexec_b32 s7, s6
	s_delay_alu instid0(SALU_CYCLE_1)
	s_xor_b32 s7, exec_lo, s7
	s_cbranch_execz .LBB73_101
; %bb.96:                               ;   in Loop: Header=BB73_4 Depth=1
	v_cmp_neq_f64_e32 vcc_lo, 0, v[22:23]
	v_cmp_neq_f64_e64 s6, 0, v[24:25]
                                        ; implicit-def: $vgpr30_vgpr31
                                        ; implicit-def: $vgpr32_vgpr33
	s_or_b32 s6, s6, vcc_lo
	s_delay_alu instid0(SALU_CYCLE_1) | instskip(NEXT) | instid1(SALU_CYCLE_1)
	s_and_saveexec_b32 s31, s6
	s_xor_b32 s6, exec_lo, s31
	s_cbranch_execz .LBB73_98
; %bb.97:                               ;   in Loop: Header=BB73_4 Depth=1
	v_div_scale_f64 v[26:27], null, v[22:23], v[22:23], v[24:25]
	v_div_scale_f64 v[32:33], vcc_lo, v[24:25], v[22:23], v[24:25]
	s_delay_alu instid0(VALU_DEP_2) | instskip(SKIP_1) | instid1(TRANS32_DEP_1)
	v_rcp_f64_e32 v[28:29], v[26:27]
	v_nop
	v_fma_f64 v[30:31], -v[26:27], v[28:29], 1.0
	s_delay_alu instid0(VALU_DEP_1) | instskip(NEXT) | instid1(VALU_DEP_1)
	v_fmac_f64_e32 v[28:29], v[28:29], v[30:31]
	v_fma_f64 v[30:31], -v[26:27], v[28:29], 1.0
	s_delay_alu instid0(VALU_DEP_1) | instskip(NEXT) | instid1(VALU_DEP_1)
	v_fmac_f64_e32 v[28:29], v[28:29], v[30:31]
	v_mul_f64_e32 v[30:31], v[32:33], v[28:29]
	s_delay_alu instid0(VALU_DEP_1) | instskip(NEXT) | instid1(VALU_DEP_1)
	v_fma_f64 v[26:27], -v[26:27], v[30:31], v[32:33]
	v_div_fmas_f64 v[26:27], v[26:27], v[28:29], v[30:31]
	s_delay_alu instid0(VALU_DEP_1) | instskip(NEXT) | instid1(VALU_DEP_1)
	v_div_fixup_f64 v[26:27], v[26:27], v[22:23], v[24:25]
	v_fmac_f64_e32 v[22:23], v[24:25], v[26:27]
	s_delay_alu instid0(VALU_DEP_1) | instskip(SKIP_1) | instid1(VALU_DEP_2)
	v_div_scale_f64 v[24:25], null, v[22:23], v[22:23], 1.0
	v_div_scale_f64 v[32:33], vcc_lo, 1.0, v[22:23], 1.0
	v_rcp_f64_e32 v[28:29], v[24:25]
	v_nop
	s_delay_alu instid0(TRANS32_DEP_1) | instskip(NEXT) | instid1(VALU_DEP_1)
	v_fma_f64 v[30:31], -v[24:25], v[28:29], 1.0
	v_fmac_f64_e32 v[28:29], v[28:29], v[30:31]
	s_delay_alu instid0(VALU_DEP_1) | instskip(NEXT) | instid1(VALU_DEP_1)
	v_fma_f64 v[30:31], -v[24:25], v[28:29], 1.0
	v_fmac_f64_e32 v[28:29], v[28:29], v[30:31]
	s_delay_alu instid0(VALU_DEP_1) | instskip(NEXT) | instid1(VALU_DEP_1)
	v_mul_f64_e32 v[30:31], v[32:33], v[28:29]
	v_fma_f64 v[24:25], -v[24:25], v[30:31], v[32:33]
	s_delay_alu instid0(VALU_DEP_1) | instskip(SKIP_2) | instid1(VALU_DEP_3)
	v_div_fmas_f64 v[24:25], v[24:25], v[28:29], v[30:31]
	v_fma_f64 v[28:29], v[20:21], v[26:27], v[18:19]
	v_fma_f64 v[18:19], -v[18:19], v[26:27], v[20:21]
                                        ; implicit-def: $vgpr26_vgpr27
	v_div_fixup_f64 v[22:23], v[24:25], v[22:23], 1.0
	s_delay_alu instid0(VALU_DEP_1) | instskip(NEXT) | instid1(VALU_DEP_3)
	v_mul_f64_e32 v[32:33], v[28:29], v[22:23]
	v_mul_f64_e32 v[30:31], v[18:19], v[22:23]
                                        ; implicit-def: $vgpr18_vgpr19
                                        ; implicit-def: $vgpr28_vgpr29
.LBB73_98:                              ;   in Loop: Header=BB73_4 Depth=1
	s_and_not1_saveexec_b32 s31, s6
	s_cbranch_execz .LBB73_100
; %bb.99:                               ;   in Loop: Header=BB73_4 Depth=1
	v_div_scale_f64 v[22:23], null, v[26:27], v[26:27], v[18:19]
	v_div_scale_f64 v[24:25], null, v[28:29], v[28:29], v[20:21]
	v_div_scale_f64 v[46:47], vcc_lo, v[18:19], v[26:27], v[18:19]
	s_delay_alu instid0(VALU_DEP_3) | instskip(NEXT) | instid1(VALU_DEP_2)
	v_rcp_f64_e32 v[30:31], v[22:23]
	v_rcp_f64_e32 v[32:33], v[24:25]
	s_delay_alu instid0(TRANS32_DEP_2) | instskip(NEXT) | instid1(TRANS32_DEP_1)
	v_fma_f64 v[38:39], -v[22:23], v[30:31], 1.0
	v_fma_f64 v[40:41], -v[24:25], v[32:33], 1.0
	s_delay_alu instid0(VALU_DEP_2) | instskip(NEXT) | instid1(VALU_DEP_2)
	v_fmac_f64_e32 v[30:31], v[30:31], v[38:39]
	v_fmac_f64_e32 v[32:33], v[32:33], v[40:41]
	s_delay_alu instid0(VALU_DEP_2) | instskip(NEXT) | instid1(VALU_DEP_2)
	v_fma_f64 v[38:39], -v[22:23], v[30:31], 1.0
	v_fma_f64 v[40:41], -v[24:25], v[32:33], 1.0
	s_delay_alu instid0(VALU_DEP_2) | instskip(SKIP_1) | instid1(VALU_DEP_3)
	v_fmac_f64_e32 v[30:31], v[30:31], v[38:39]
	v_div_scale_f64 v[38:39], s6, v[20:21], v[28:29], v[20:21]
	v_fmac_f64_e32 v[32:33], v[32:33], v[40:41]
	s_delay_alu instid0(VALU_DEP_3) | instskip(NEXT) | instid1(VALU_DEP_2)
	v_mul_f64_e32 v[40:41], v[46:47], v[30:31]
	v_mul_f64_e32 v[48:49], v[38:39], v[32:33]
	s_delay_alu instid0(VALU_DEP_2) | instskip(NEXT) | instid1(VALU_DEP_2)
	v_fma_f64 v[22:23], -v[22:23], v[40:41], v[46:47]
	v_fma_f64 v[24:25], -v[24:25], v[48:49], v[38:39]
	s_delay_alu instid0(VALU_DEP_2) | instskip(SKIP_1) | instid1(VALU_DEP_2)
	v_div_fmas_f64 v[22:23], v[22:23], v[30:31], v[40:41]
	s_mov_b32 vcc_lo, s6
	v_div_fmas_f64 v[24:25], v[24:25], v[32:33], v[48:49]
	s_delay_alu instid0(VALU_DEP_2) | instskip(NEXT) | instid1(VALU_DEP_2)
	v_div_fixup_f64 v[32:33], v[22:23], v[26:27], v[18:19]
	v_div_fixup_f64 v[30:31], v[24:25], v[28:29], v[20:21]
.LBB73_100:                             ;   in Loop: Header=BB73_4 Depth=1
	s_or_b32 exec_lo, exec_lo, s31
                                        ; implicit-def: $vgpr24_vgpr25
                                        ; implicit-def: $vgpr18_vgpr19
.LBB73_101:                             ;   in Loop: Header=BB73_4 Depth=1
	s_and_not1_saveexec_b32 s6, s7
	s_cbranch_execz .LBB73_103
; %bb.102:                              ;   in Loop: Header=BB73_4 Depth=1
	v_div_scale_f64 v[26:27], null, v[24:25], v[24:25], v[22:23]
	v_div_scale_f64 v[32:33], vcc_lo, v[22:23], v[24:25], v[22:23]
	s_delay_alu instid0(VALU_DEP_2) | instskip(SKIP_1) | instid1(TRANS32_DEP_1)
	v_rcp_f64_e32 v[28:29], v[26:27]
	v_nop
	v_fma_f64 v[30:31], -v[26:27], v[28:29], 1.0
	s_delay_alu instid0(VALU_DEP_1) | instskip(NEXT) | instid1(VALU_DEP_1)
	v_fmac_f64_e32 v[28:29], v[28:29], v[30:31]
	v_fma_f64 v[30:31], -v[26:27], v[28:29], 1.0
	s_delay_alu instid0(VALU_DEP_1) | instskip(NEXT) | instid1(VALU_DEP_1)
	v_fmac_f64_e32 v[28:29], v[28:29], v[30:31]
	v_mul_f64_e32 v[30:31], v[32:33], v[28:29]
	s_delay_alu instid0(VALU_DEP_1) | instskip(NEXT) | instid1(VALU_DEP_1)
	v_fma_f64 v[26:27], -v[26:27], v[30:31], v[32:33]
	v_div_fmas_f64 v[26:27], v[26:27], v[28:29], v[30:31]
	s_delay_alu instid0(VALU_DEP_1) | instskip(NEXT) | instid1(VALU_DEP_1)
	v_div_fixup_f64 v[26:27], v[26:27], v[24:25], v[22:23]
	v_fmac_f64_e32 v[24:25], v[22:23], v[26:27]
	s_delay_alu instid0(VALU_DEP_1) | instskip(SKIP_1) | instid1(VALU_DEP_2)
	v_div_scale_f64 v[22:23], null, v[24:25], v[24:25], 1.0
	v_div_scale_f64 v[32:33], vcc_lo, 1.0, v[24:25], 1.0
	v_rcp_f64_e32 v[28:29], v[22:23]
	v_nop
	s_delay_alu instid0(TRANS32_DEP_1) | instskip(NEXT) | instid1(VALU_DEP_1)
	v_fma_f64 v[30:31], -v[22:23], v[28:29], 1.0
	v_fmac_f64_e32 v[28:29], v[28:29], v[30:31]
	s_delay_alu instid0(VALU_DEP_1) | instskip(NEXT) | instid1(VALU_DEP_1)
	v_fma_f64 v[30:31], -v[22:23], v[28:29], 1.0
	v_fmac_f64_e32 v[28:29], v[28:29], v[30:31]
	s_delay_alu instid0(VALU_DEP_1) | instskip(NEXT) | instid1(VALU_DEP_1)
	v_mul_f64_e32 v[30:31], v[32:33], v[28:29]
	v_fma_f64 v[22:23], -v[22:23], v[30:31], v[32:33]
	s_delay_alu instid0(VALU_DEP_1) | instskip(SKIP_2) | instid1(VALU_DEP_3)
	v_div_fmas_f64 v[22:23], v[22:23], v[28:29], v[30:31]
	v_fma_f64 v[28:29], v[18:19], v[26:27], v[20:21]
	v_fma_f64 v[18:19], v[20:21], v[26:27], -v[18:19]
	v_div_fixup_f64 v[22:23], v[22:23], v[24:25], 1.0
	s_delay_alu instid0(VALU_DEP_1) | instskip(NEXT) | instid1(VALU_DEP_3)
	v_mul_f64_e32 v[32:33], v[28:29], v[22:23]
	v_mul_f64_e32 v[30:31], v[18:19], v[22:23]
.LBB73_103:                             ;   in Loop: Header=BB73_4 Depth=1
	s_or_b32 exec_lo, exec_lo, s6
	s_and_saveexec_b32 s6, s2
	s_delay_alu instid0(SALU_CYCLE_1)
	s_xor_b32 s2, exec_lo, s6
	s_cbranch_execz .LBB73_83
.LBB73_104:                             ;   in Loop: Header=BB73_4 Depth=1
	v_add_f64_e32 v[4:5], v[4:5], v[62:63]
	v_add_f64_e32 v[2:3], v[2:3], v[64:65]
	v_lshl_add_u64 v[18:19], v[54:55], 4, s[16:17]
	global_store_b128 v[18:19], v[2:5], off
	s_wait_xcnt 0x0
	s_or_b32 exec_lo, exec_lo, s2
	s_and_saveexec_b32 s2, s3
	s_cbranch_execz .LBB73_84
.LBB73_105:                             ;   in Loop: Header=BB73_4 Depth=1
	v_add_f64_e32 v[4:5], v[8:9], v[42:43]
	v_add_f64_e32 v[2:3], v[6:7], v[44:45]
	v_lshl_add_u64 v[6:7], v[56:57], 4, s[16:17]
	global_store_b128 v[6:7], v[2:5], off
	s_wait_xcnt 0x0
	s_or_b32 exec_lo, exec_lo, s2
	s_and_saveexec_b32 s2, s4
	s_cbranch_execz .LBB73_85
.LBB73_106:                             ;   in Loop: Header=BB73_4 Depth=1
	v_add_f64_e32 v[4:5], v[12:13], v[34:35]
	v_add_f64_e32 v[2:3], v[10:11], v[36:37]
	v_lshl_add_u64 v[6:7], v[58:59], 4, s[16:17]
	global_store_b128 v[6:7], v[2:5], off
	s_wait_xcnt 0x0
	s_or_b32 exec_lo, exec_lo, s2
	s_and_saveexec_b32 s2, s5
	s_cbranch_execz .LBB73_3
.LBB73_107:                             ;   in Loop: Header=BB73_4 Depth=1
	s_delay_alu instid0(VALU_DEP_1) | instskip(NEXT) | instid1(VALU_DEP_3)
	v_add_f64_e32 v[4:5], v[16:17], v[30:31]
	v_add_f64_e32 v[2:3], v[14:15], v[32:33]
	v_lshl_add_u64 v[6:7], v[60:61], 4, s[16:17]
	global_store_b128 v[6:7], v[2:5], off
	s_branch .LBB73_3
.LBB73_108:
	s_mov_b32 s2, 0
.LBB73_109:
	s_delay_alu instid0(SALU_CYCLE_1)
	s_and_not1_b32 vcc_lo, exec_lo, s2
	s_cbranch_vccnz .LBB73_193
; %bb.110:
	v_min_i64 v[50:51], 0x10000, s[18:19]
	v_dual_mov_b32 v53, 0 :: v_dual_lshlrev_b32 v52, 2, v0
	s_mov_b32 s2, exec_lo
	s_delay_alu instid0(VALU_DEP_1)
	v_cmpx_lt_i64_e64 v[52:53], v[50:51]
	s_cbranch_execz .LBB73_193
; %bb.111:
	s_wait_kmcnt 0x0
	v_cmp_neq_f64_e64 s6, s[8:9], 1.0
	v_cmp_neq_f64_e64 s7, s[10:11], 0
	s_wait_xcnt 0x0
	s_load_b32 s0, s[0:1], 0xc6c
	v_dual_mov_b32 v1, v53 :: v_dual_lshlrev_b32 v52, 6, v0
	s_mov_b32 s3, 0
	s_delay_alu instid0(SALU_CYCLE_1) | instskip(SKIP_2) | instid1(SALU_CYCLE_1)
	s_mov_b32 s5, s3
	s_wait_kmcnt 0x0
	s_and_b32 s2, s0, 0xffff
	s_lshl_b32 s4, s2, 6
	s_or_b32 s6, s6, s7
	s_mov_b32 s7, s3
	s_branch .LBB73_114
.LBB73_112:                             ;   in Loop: Header=BB73_114 Depth=1
	s_or_b32 exec_lo, exec_lo, s0
.LBB73_113:                             ;   in Loop: Header=BB73_114 Depth=1
	v_add_f64_e32 v[12:13], v[12:13], v[56:57]
	v_add_f64_e32 v[10:11], v[10:11], v[58:59]
	;; [unrolled: 1-line block ×8, first 2 shown]
	v_add_nc_u64_e32 v[0:1], s[2:3], v[0:1]
	s_add_nc_u64 s[14:15], s[14:15], s[4:5]
	s_add_nc_u64 s[16:17], s[16:17], s[4:5]
	;; [unrolled: 1-line block ×3, first 2 shown]
	s_clause 0x3
	global_store_b128 v[54:55], v[10:13], off
	global_store_b128 v[54:55], v[6:9], off offset:16
	global_store_b128 v[54:55], v[14:17], off offset:32
	;; [unrolled: 1-line block ×3, first 2 shown]
	v_lshlrev_b64_e32 v[18:19], 2, v[0:1]
	s_delay_alu instid0(VALU_DEP_1)
	v_cmp_ge_i64_e32 vcc_lo, v[18:19], v[50:51]
	s_or_b32 s7, vcc_lo, s7
	s_wait_xcnt 0x0
	s_and_not1_b32 exec_lo, exec_lo, s7
	s_cbranch_execz .LBB73_193
.LBB73_114:                             ; =>This Inner Loop Header: Depth=1
	v_add_nc_u64_e32 v[56:57], s[14:15], v[52:53]
	v_add_nc_u64_e32 v[54:55], s[16:17], v[52:53]
	;; [unrolled: 1-line block ×3, first 2 shown]
	s_wait_xcnt 0x0
	s_mov_b32 s1, -1
	s_clause 0x1
	global_load_b128 v[46:49], v[56:57], off
	global_load_b128 v[38:41], v[56:57], off offset:16
	s_clause 0x3
	global_load_b128 v[2:5], v[54:55], off offset:48
	global_load_b128 v[14:17], v[54:55], off offset:32
	;; [unrolled: 1-line block ×3, first 2 shown]
	global_load_b128 v[10:13], v[54:55], off
	s_clause 0x3
	global_load_b128 v[18:21], v[58:59], off offset:48
	global_load_b128 v[26:29], v[58:59], off offset:32
	;; [unrolled: 1-line block ×3, first 2 shown]
	global_load_b128 v[42:45], v[58:59], off
	s_clause 0x1
	global_load_b128 v[22:25], v[56:57], off offset:48
	global_load_b128 v[30:33], v[56:57], off offset:32
                                        ; implicit-def: $vgpr58_vgpr59
	s_wait_loadcnt 0xb
	v_cmp_gt_f64_e32 vcc_lo, 0, v[46:47]
	s_wait_xcnt 0x0
	v_xor_b32_e32 v56, 0x80000000, v47
	v_mov_b32_e32 v60, v46
	v_xor_b32_e32 v57, 0x80000000, v49
	s_delay_alu instid0(VALU_DEP_3) | instskip(SKIP_1) | instid1(VALU_DEP_3)
	v_dual_mov_b32 v62, v48 :: v_dual_cndmask_b32 v61, v47, v56
	v_cmp_gt_f64_e32 vcc_lo, 0, v[48:49]
	v_cndmask_b32_e32 v63, v49, v57, vcc_lo
	s_and_b32 vcc_lo, exec_lo, s6
                                        ; implicit-def: $vgpr56_vgpr57
	s_delay_alu instid0(VALU_DEP_1)
	v_cmp_ge_f64_e64 s0, v[60:61], v[62:63]
	s_cbranch_vccz .LBB73_124
; %bb.115:                              ;   in Loop: Header=BB73_114 Depth=1
                                        ; implicit-def: $vgpr56_vgpr57
                                        ; implicit-def: $vgpr64_vgpr65
	s_and_saveexec_b32 s1, s0
	s_delay_alu instid0(SALU_CYCLE_1)
	s_xor_b32 s18, exec_lo, s1
	s_cbranch_execz .LBB73_121
; %bb.116:                              ;   in Loop: Header=BB73_114 Depth=1
	v_cmp_neq_f64_e32 vcc_lo, 0, v[46:47]
	v_cmp_neq_f64_e64 s1, 0, v[48:49]
                                        ; implicit-def: $vgpr56_vgpr57
                                        ; implicit-def: $vgpr64_vgpr65
	s_or_b32 s1, vcc_lo, s1
	s_delay_alu instid0(SALU_CYCLE_1) | instskip(NEXT) | instid1(SALU_CYCLE_1)
	s_and_saveexec_b32 s19, s1
	s_xor_b32 s1, exec_lo, s19
	s_cbranch_execz .LBB73_118
; %bb.117:                              ;   in Loop: Header=BB73_114 Depth=1
	v_div_scale_f64 v[56:57], null, v[46:47], v[46:47], v[48:49]
	v_div_scale_f64 v[66:67], vcc_lo, v[48:49], v[46:47], v[48:49]
	s_delay_alu instid0(VALU_DEP_2) | instskip(SKIP_1) | instid1(TRANS32_DEP_1)
	v_rcp_f64_e32 v[58:59], v[56:57]
	v_nop
	v_fma_f64 v[64:65], -v[56:57], v[58:59], 1.0
	s_delay_alu instid0(VALU_DEP_1) | instskip(NEXT) | instid1(VALU_DEP_1)
	v_fmac_f64_e32 v[58:59], v[58:59], v[64:65]
	v_fma_f64 v[64:65], -v[56:57], v[58:59], 1.0
	s_delay_alu instid0(VALU_DEP_1) | instskip(NEXT) | instid1(VALU_DEP_1)
	v_fmac_f64_e32 v[58:59], v[58:59], v[64:65]
	v_mul_f64_e32 v[64:65], v[66:67], v[58:59]
	s_delay_alu instid0(VALU_DEP_1) | instskip(NEXT) | instid1(VALU_DEP_1)
	v_fma_f64 v[56:57], -v[56:57], v[64:65], v[66:67]
	v_div_fmas_f64 v[56:57], v[56:57], v[58:59], v[64:65]
	s_delay_alu instid0(VALU_DEP_1) | instskip(NEXT) | instid1(VALU_DEP_1)
	v_div_fixup_f64 v[56:57], v[56:57], v[46:47], v[48:49]
	v_fma_f64 v[58:59], v[48:49], v[56:57], v[46:47]
	s_delay_alu instid0(VALU_DEP_1) | instskip(SKIP_1) | instid1(VALU_DEP_2)
	v_div_scale_f64 v[64:65], null, v[58:59], v[58:59], 1.0
	v_div_scale_f64 v[70:71], vcc_lo, 1.0, v[58:59], 1.0
	v_rcp_f64_e32 v[66:67], v[64:65]
	v_nop
	s_delay_alu instid0(TRANS32_DEP_1) | instskip(NEXT) | instid1(VALU_DEP_1)
	v_fma_f64 v[68:69], -v[64:65], v[66:67], 1.0
	v_fmac_f64_e32 v[66:67], v[66:67], v[68:69]
	s_delay_alu instid0(VALU_DEP_1) | instskip(NEXT) | instid1(VALU_DEP_1)
	v_fma_f64 v[68:69], -v[64:65], v[66:67], 1.0
	v_fmac_f64_e32 v[66:67], v[66:67], v[68:69]
	s_delay_alu instid0(VALU_DEP_1) | instskip(NEXT) | instid1(VALU_DEP_1)
	v_mul_f64_e32 v[68:69], v[70:71], v[66:67]
	v_fma_f64 v[64:65], -v[64:65], v[68:69], v[70:71]
	s_delay_alu instid0(VALU_DEP_1) | instskip(SKIP_3) | instid1(VALU_DEP_3)
	v_div_fmas_f64 v[64:65], v[64:65], v[66:67], v[68:69]
	s_wait_loadcnt 0x2
	v_fma_f64 v[66:67], v[44:45], v[56:57], v[42:43]
	v_fma_f64 v[56:57], -v[42:43], v[56:57], v[44:45]
	v_div_fixup_f64 v[58:59], v[64:65], v[58:59], 1.0
	s_delay_alu instid0(VALU_DEP_1) | instskip(NEXT) | instid1(VALU_DEP_3)
	v_mul_f64_e32 v[64:65], v[66:67], v[58:59]
	v_mul_f64_e32 v[56:57], v[56:57], v[58:59]
.LBB73_118:                             ;   in Loop: Header=BB73_114 Depth=1
	s_and_not1_saveexec_b32 s19, s1
	s_cbranch_execz .LBB73_120
; %bb.119:                              ;   in Loop: Header=BB73_114 Depth=1
	s_wait_loadcnt 0x2
	v_div_scale_f64 v[56:57], null, v[60:61], v[60:61], v[42:43]
	v_div_scale_f64 v[58:59], null, v[62:63], v[62:63], v[44:45]
	v_div_scale_f64 v[72:73], vcc_lo, v[42:43], v[60:61], v[42:43]
	s_delay_alu instid0(VALU_DEP_3) | instskip(NEXT) | instid1(VALU_DEP_2)
	v_rcp_f64_e32 v[64:65], v[56:57]
	v_rcp_f64_e32 v[66:67], v[58:59]
	s_delay_alu instid0(TRANS32_DEP_2) | instskip(NEXT) | instid1(TRANS32_DEP_1)
	v_fma_f64 v[68:69], -v[56:57], v[64:65], 1.0
	v_fma_f64 v[70:71], -v[58:59], v[66:67], 1.0
	s_delay_alu instid0(VALU_DEP_2) | instskip(NEXT) | instid1(VALU_DEP_2)
	v_fmac_f64_e32 v[64:65], v[64:65], v[68:69]
	v_fmac_f64_e32 v[66:67], v[66:67], v[70:71]
	s_delay_alu instid0(VALU_DEP_2) | instskip(NEXT) | instid1(VALU_DEP_2)
	v_fma_f64 v[68:69], -v[56:57], v[64:65], 1.0
	v_fma_f64 v[70:71], -v[58:59], v[66:67], 1.0
	s_delay_alu instid0(VALU_DEP_2) | instskip(SKIP_1) | instid1(VALU_DEP_3)
	v_fmac_f64_e32 v[64:65], v[64:65], v[68:69]
	v_div_scale_f64 v[68:69], s1, v[44:45], v[62:63], v[44:45]
	v_fmac_f64_e32 v[66:67], v[66:67], v[70:71]
	s_delay_alu instid0(VALU_DEP_3) | instskip(NEXT) | instid1(VALU_DEP_2)
	v_mul_f64_e32 v[70:71], v[72:73], v[64:65]
	v_mul_f64_e32 v[74:75], v[68:69], v[66:67]
	s_delay_alu instid0(VALU_DEP_2) | instskip(NEXT) | instid1(VALU_DEP_2)
	v_fma_f64 v[56:57], -v[56:57], v[70:71], v[72:73]
	v_fma_f64 v[58:59], -v[58:59], v[74:75], v[68:69]
	s_delay_alu instid0(VALU_DEP_2) | instskip(SKIP_1) | instid1(VALU_DEP_2)
	v_div_fmas_f64 v[56:57], v[56:57], v[64:65], v[70:71]
	s_mov_b32 vcc_lo, s1
	v_div_fmas_f64 v[58:59], v[58:59], v[66:67], v[74:75]
	s_delay_alu instid0(VALU_DEP_2) | instskip(NEXT) | instid1(VALU_DEP_2)
	v_div_fixup_f64 v[64:65], v[56:57], v[60:61], v[42:43]
	v_div_fixup_f64 v[56:57], v[58:59], v[62:63], v[44:45]
.LBB73_120:                             ;   in Loop: Header=BB73_114 Depth=1
	s_or_b32 exec_lo, exec_lo, s19
.LBB73_121:                             ;   in Loop: Header=BB73_114 Depth=1
	s_and_not1_saveexec_b32 s1, s18
	s_cbranch_execz .LBB73_123
; %bb.122:                              ;   in Loop: Header=BB73_114 Depth=1
	v_div_scale_f64 v[56:57], null, v[48:49], v[48:49], v[46:47]
	v_div_scale_f64 v[66:67], vcc_lo, v[46:47], v[48:49], v[46:47]
	s_delay_alu instid0(VALU_DEP_2) | instskip(SKIP_1) | instid1(TRANS32_DEP_1)
	v_rcp_f64_e32 v[58:59], v[56:57]
	v_nop
	v_fma_f64 v[64:65], -v[56:57], v[58:59], 1.0
	s_delay_alu instid0(VALU_DEP_1) | instskip(NEXT) | instid1(VALU_DEP_1)
	v_fmac_f64_e32 v[58:59], v[58:59], v[64:65]
	v_fma_f64 v[64:65], -v[56:57], v[58:59], 1.0
	s_delay_alu instid0(VALU_DEP_1) | instskip(NEXT) | instid1(VALU_DEP_1)
	v_fmac_f64_e32 v[58:59], v[58:59], v[64:65]
	v_mul_f64_e32 v[64:65], v[66:67], v[58:59]
	s_delay_alu instid0(VALU_DEP_1) | instskip(NEXT) | instid1(VALU_DEP_1)
	v_fma_f64 v[56:57], -v[56:57], v[64:65], v[66:67]
	v_div_fmas_f64 v[56:57], v[56:57], v[58:59], v[64:65]
	s_delay_alu instid0(VALU_DEP_1) | instskip(NEXT) | instid1(VALU_DEP_1)
	v_div_fixup_f64 v[56:57], v[56:57], v[48:49], v[46:47]
	v_fma_f64 v[58:59], v[46:47], v[56:57], v[48:49]
	s_delay_alu instid0(VALU_DEP_1) | instskip(SKIP_1) | instid1(VALU_DEP_2)
	v_div_scale_f64 v[64:65], null, v[58:59], v[58:59], 1.0
	v_div_scale_f64 v[70:71], vcc_lo, 1.0, v[58:59], 1.0
	v_rcp_f64_e32 v[66:67], v[64:65]
	v_nop
	s_delay_alu instid0(TRANS32_DEP_1) | instskip(NEXT) | instid1(VALU_DEP_1)
	v_fma_f64 v[68:69], -v[64:65], v[66:67], 1.0
	v_fmac_f64_e32 v[66:67], v[66:67], v[68:69]
	s_delay_alu instid0(VALU_DEP_1) | instskip(NEXT) | instid1(VALU_DEP_1)
	v_fma_f64 v[68:69], -v[64:65], v[66:67], 1.0
	v_fmac_f64_e32 v[66:67], v[66:67], v[68:69]
	s_delay_alu instid0(VALU_DEP_1) | instskip(NEXT) | instid1(VALU_DEP_1)
	v_mul_f64_e32 v[68:69], v[70:71], v[66:67]
	v_fma_f64 v[64:65], -v[64:65], v[68:69], v[70:71]
	s_delay_alu instid0(VALU_DEP_1) | instskip(SKIP_3) | instid1(VALU_DEP_3)
	v_div_fmas_f64 v[64:65], v[64:65], v[66:67], v[68:69]
	s_wait_loadcnt 0x2
	v_fma_f64 v[66:67], v[42:43], v[56:57], v[44:45]
	v_fma_f64 v[56:57], v[44:45], v[56:57], -v[42:43]
	v_div_fixup_f64 v[58:59], v[64:65], v[58:59], 1.0
	s_delay_alu instid0(VALU_DEP_1) | instskip(NEXT) | instid1(VALU_DEP_3)
	v_mul_f64_e32 v[64:65], v[66:67], v[58:59]
	v_mul_f64_e32 v[56:57], v[56:57], v[58:59]
.LBB73_123:                             ;   in Loop: Header=BB73_114 Depth=1
	s_or_b32 exec_lo, exec_lo, s1
	s_delay_alu instid0(VALU_DEP_1) | instskip(SKIP_2) | instid1(VALU_DEP_2)
	v_mul_f64_e32 v[58:59], s[10:11], v[56:57]
	v_mul_f64_e32 v[56:57], s[8:9], v[56:57]
	s_mov_b32 s1, 0
	v_fma_f64 v[58:59], s[8:9], v[64:65], -v[58:59]
	s_delay_alu instid0(VALU_DEP_2)
	v_fmac_f64_e32 v[56:57], s[10:11], v[64:65]
.LBB73_124:                             ;   in Loop: Header=BB73_114 Depth=1
	s_and_b32 vcc_lo, exec_lo, s1
	s_cbranch_vccz .LBB73_134
; %bb.125:                              ;   in Loop: Header=BB73_114 Depth=1
                                        ; implicit-def: $vgpr56_vgpr57
                                        ; implicit-def: $vgpr58_vgpr59
	s_and_saveexec_b32 s1, s0
	s_delay_alu instid0(SALU_CYCLE_1)
	s_xor_b32 s1, exec_lo, s1
	s_cbranch_execz .LBB73_131
; %bb.126:                              ;   in Loop: Header=BB73_114 Depth=1
	v_cmp_neq_f64_e32 vcc_lo, 0, v[46:47]
	v_cmp_neq_f64_e64 s0, 0, v[48:49]
                                        ; implicit-def: $vgpr56_vgpr57
                                        ; implicit-def: $vgpr58_vgpr59
	s_or_b32 s0, vcc_lo, s0
	s_delay_alu instid0(SALU_CYCLE_1) | instskip(NEXT) | instid1(SALU_CYCLE_1)
	s_and_saveexec_b32 s18, s0
	s_xor_b32 s0, exec_lo, s18
	s_cbranch_execz .LBB73_128
; %bb.127:                              ;   in Loop: Header=BB73_114 Depth=1
	v_div_scale_f64 v[56:57], null, v[46:47], v[46:47], v[48:49]
	v_div_scale_f64 v[62:63], vcc_lo, v[48:49], v[46:47], v[48:49]
	s_delay_alu instid0(VALU_DEP_2) | instskip(SKIP_1) | instid1(TRANS32_DEP_1)
	v_rcp_f64_e32 v[58:59], v[56:57]
	v_nop
	v_fma_f64 v[60:61], -v[56:57], v[58:59], 1.0
	s_delay_alu instid0(VALU_DEP_1) | instskip(NEXT) | instid1(VALU_DEP_1)
	v_fmac_f64_e32 v[58:59], v[58:59], v[60:61]
	v_fma_f64 v[60:61], -v[56:57], v[58:59], 1.0
	s_delay_alu instid0(VALU_DEP_1) | instskip(NEXT) | instid1(VALU_DEP_1)
	v_fmac_f64_e32 v[58:59], v[58:59], v[60:61]
	v_mul_f64_e32 v[60:61], v[62:63], v[58:59]
	s_delay_alu instid0(VALU_DEP_1) | instskip(NEXT) | instid1(VALU_DEP_1)
	v_fma_f64 v[56:57], -v[56:57], v[60:61], v[62:63]
	v_div_fmas_f64 v[56:57], v[56:57], v[58:59], v[60:61]
	s_delay_alu instid0(VALU_DEP_1) | instskip(NEXT) | instid1(VALU_DEP_1)
	v_div_fixup_f64 v[56:57], v[56:57], v[46:47], v[48:49]
	v_fmac_f64_e32 v[46:47], v[48:49], v[56:57]
	s_delay_alu instid0(VALU_DEP_1) | instskip(SKIP_1) | instid1(VALU_DEP_2)
	v_div_scale_f64 v[48:49], null, v[46:47], v[46:47], 1.0
	v_div_scale_f64 v[62:63], vcc_lo, 1.0, v[46:47], 1.0
	v_rcp_f64_e32 v[58:59], v[48:49]
	v_nop
	s_delay_alu instid0(TRANS32_DEP_1) | instskip(NEXT) | instid1(VALU_DEP_1)
	v_fma_f64 v[60:61], -v[48:49], v[58:59], 1.0
	v_fmac_f64_e32 v[58:59], v[58:59], v[60:61]
	s_delay_alu instid0(VALU_DEP_1) | instskip(NEXT) | instid1(VALU_DEP_1)
	v_fma_f64 v[60:61], -v[48:49], v[58:59], 1.0
	v_fmac_f64_e32 v[58:59], v[58:59], v[60:61]
	s_delay_alu instid0(VALU_DEP_1) | instskip(NEXT) | instid1(VALU_DEP_1)
	v_mul_f64_e32 v[60:61], v[62:63], v[58:59]
	v_fma_f64 v[48:49], -v[48:49], v[60:61], v[62:63]
                                        ; implicit-def: $vgpr62_vgpr63
	s_delay_alu instid0(VALU_DEP_1) | instskip(SKIP_3) | instid1(VALU_DEP_3)
	v_div_fmas_f64 v[48:49], v[48:49], v[58:59], v[60:61]
	s_wait_loadcnt 0x2
	v_fma_f64 v[58:59], v[44:45], v[56:57], v[42:43]
	v_fma_f64 v[42:43], -v[42:43], v[56:57], v[44:45]
                                        ; implicit-def: $vgpr60_vgpr61
	v_div_fixup_f64 v[46:47], v[48:49], v[46:47], 1.0
	s_delay_alu instid0(VALU_DEP_1) | instskip(NEXT) | instid1(VALU_DEP_3)
	v_mul_f64_e32 v[58:59], v[58:59], v[46:47]
	v_mul_f64_e32 v[56:57], v[42:43], v[46:47]
                                        ; implicit-def: $vgpr42_vgpr43
.LBB73_128:                             ;   in Loop: Header=BB73_114 Depth=1
	s_and_not1_saveexec_b32 s18, s0
	s_cbranch_execz .LBB73_130
; %bb.129:                              ;   in Loop: Header=BB73_114 Depth=1
	s_wait_loadcnt 0x2
	v_div_scale_f64 v[46:47], null, v[60:61], v[60:61], v[42:43]
	v_div_scale_f64 v[48:49], null, v[62:63], v[62:63], v[44:45]
	v_div_scale_f64 v[68:69], vcc_lo, v[42:43], v[60:61], v[42:43]
	s_delay_alu instid0(VALU_DEP_3) | instskip(NEXT) | instid1(VALU_DEP_2)
	v_rcp_f64_e32 v[56:57], v[46:47]
	v_rcp_f64_e32 v[58:59], v[48:49]
	s_delay_alu instid0(TRANS32_DEP_2) | instskip(NEXT) | instid1(TRANS32_DEP_1)
	v_fma_f64 v[64:65], -v[46:47], v[56:57], 1.0
	v_fma_f64 v[66:67], -v[48:49], v[58:59], 1.0
	s_delay_alu instid0(VALU_DEP_2) | instskip(NEXT) | instid1(VALU_DEP_2)
	v_fmac_f64_e32 v[56:57], v[56:57], v[64:65]
	v_fmac_f64_e32 v[58:59], v[58:59], v[66:67]
	s_delay_alu instid0(VALU_DEP_2) | instskip(NEXT) | instid1(VALU_DEP_2)
	v_fma_f64 v[64:65], -v[46:47], v[56:57], 1.0
	v_fma_f64 v[66:67], -v[48:49], v[58:59], 1.0
	s_delay_alu instid0(VALU_DEP_2) | instskip(SKIP_1) | instid1(VALU_DEP_3)
	v_fmac_f64_e32 v[56:57], v[56:57], v[64:65]
	v_div_scale_f64 v[64:65], s0, v[44:45], v[62:63], v[44:45]
	v_fmac_f64_e32 v[58:59], v[58:59], v[66:67]
	s_delay_alu instid0(VALU_DEP_3) | instskip(NEXT) | instid1(VALU_DEP_2)
	v_mul_f64_e32 v[66:67], v[68:69], v[56:57]
	v_mul_f64_e32 v[70:71], v[64:65], v[58:59]
	s_delay_alu instid0(VALU_DEP_2) | instskip(NEXT) | instid1(VALU_DEP_2)
	v_fma_f64 v[46:47], -v[46:47], v[66:67], v[68:69]
	v_fma_f64 v[48:49], -v[48:49], v[70:71], v[64:65]
	s_delay_alu instid0(VALU_DEP_2) | instskip(SKIP_1) | instid1(VALU_DEP_2)
	v_div_fmas_f64 v[46:47], v[46:47], v[56:57], v[66:67]
	s_mov_b32 vcc_lo, s0
	v_div_fmas_f64 v[48:49], v[48:49], v[58:59], v[70:71]
	s_delay_alu instid0(VALU_DEP_2) | instskip(NEXT) | instid1(VALU_DEP_2)
	v_div_fixup_f64 v[58:59], v[46:47], v[60:61], v[42:43]
	v_div_fixup_f64 v[56:57], v[48:49], v[62:63], v[44:45]
.LBB73_130:                             ;   in Loop: Header=BB73_114 Depth=1
	s_or_b32 exec_lo, exec_lo, s18
                                        ; implicit-def: $vgpr48_vgpr49
                                        ; implicit-def: $vgpr42_vgpr43
.LBB73_131:                             ;   in Loop: Header=BB73_114 Depth=1
	s_and_not1_saveexec_b32 s0, s1
	s_cbranch_execz .LBB73_133
; %bb.132:                              ;   in Loop: Header=BB73_114 Depth=1
	v_div_scale_f64 v[56:57], null, v[48:49], v[48:49], v[46:47]
	v_div_scale_f64 v[62:63], vcc_lo, v[46:47], v[48:49], v[46:47]
	s_delay_alu instid0(VALU_DEP_2) | instskip(SKIP_1) | instid1(TRANS32_DEP_1)
	v_rcp_f64_e32 v[58:59], v[56:57]
	v_nop
	v_fma_f64 v[60:61], -v[56:57], v[58:59], 1.0
	s_delay_alu instid0(VALU_DEP_1) | instskip(NEXT) | instid1(VALU_DEP_1)
	v_fmac_f64_e32 v[58:59], v[58:59], v[60:61]
	v_fma_f64 v[60:61], -v[56:57], v[58:59], 1.0
	s_delay_alu instid0(VALU_DEP_1) | instskip(NEXT) | instid1(VALU_DEP_1)
	v_fmac_f64_e32 v[58:59], v[58:59], v[60:61]
	v_mul_f64_e32 v[60:61], v[62:63], v[58:59]
	s_delay_alu instid0(VALU_DEP_1) | instskip(NEXT) | instid1(VALU_DEP_1)
	v_fma_f64 v[56:57], -v[56:57], v[60:61], v[62:63]
	v_div_fmas_f64 v[56:57], v[56:57], v[58:59], v[60:61]
	s_delay_alu instid0(VALU_DEP_1) | instskip(NEXT) | instid1(VALU_DEP_1)
	v_div_fixup_f64 v[56:57], v[56:57], v[48:49], v[46:47]
	v_fmac_f64_e32 v[48:49], v[46:47], v[56:57]
	s_delay_alu instid0(VALU_DEP_1) | instskip(SKIP_1) | instid1(VALU_DEP_2)
	v_div_scale_f64 v[46:47], null, v[48:49], v[48:49], 1.0
	v_div_scale_f64 v[62:63], vcc_lo, 1.0, v[48:49], 1.0
	v_rcp_f64_e32 v[58:59], v[46:47]
	v_nop
	s_delay_alu instid0(TRANS32_DEP_1) | instskip(NEXT) | instid1(VALU_DEP_1)
	v_fma_f64 v[60:61], -v[46:47], v[58:59], 1.0
	v_fmac_f64_e32 v[58:59], v[58:59], v[60:61]
	s_delay_alu instid0(VALU_DEP_1) | instskip(NEXT) | instid1(VALU_DEP_1)
	v_fma_f64 v[60:61], -v[46:47], v[58:59], 1.0
	v_fmac_f64_e32 v[58:59], v[58:59], v[60:61]
	s_delay_alu instid0(VALU_DEP_1) | instskip(NEXT) | instid1(VALU_DEP_1)
	v_mul_f64_e32 v[60:61], v[62:63], v[58:59]
	v_fma_f64 v[46:47], -v[46:47], v[60:61], v[62:63]
	s_delay_alu instid0(VALU_DEP_1) | instskip(SKIP_3) | instid1(VALU_DEP_3)
	v_div_fmas_f64 v[46:47], v[46:47], v[58:59], v[60:61]
	s_wait_loadcnt 0x2
	v_fma_f64 v[58:59], v[42:43], v[56:57], v[44:45]
	v_fma_f64 v[42:43], v[44:45], v[56:57], -v[42:43]
	v_div_fixup_f64 v[46:47], v[46:47], v[48:49], 1.0
	s_delay_alu instid0(VALU_DEP_1) | instskip(NEXT) | instid1(VALU_DEP_3)
	v_mul_f64_e32 v[58:59], v[58:59], v[46:47]
	v_mul_f64_e32 v[56:57], v[42:43], v[46:47]
.LBB73_133:                             ;   in Loop: Header=BB73_114 Depth=1
	s_or_b32 exec_lo, exec_lo, s0
.LBB73_134:                             ;   in Loop: Header=BB73_114 Depth=1
	s_wait_loadcnt 0xa
	v_cmp_gt_f64_e32 vcc_lo, 0, v[38:39]
	s_wait_loadcnt 0x2
	v_xor_b32_e32 v42, 0x80000000, v39
	v_mov_b32_e32 v46, v38
	v_xor_b32_e32 v43, 0x80000000, v41
	s_mov_b32 s1, -1
                                        ; implicit-def: $vgpr44_vgpr45
	s_delay_alu instid0(VALU_DEP_3) | instskip(SKIP_1) | instid1(VALU_DEP_3)
	v_dual_mov_b32 v48, v40 :: v_dual_cndmask_b32 v47, v39, v42
	v_cmp_gt_f64_e32 vcc_lo, 0, v[40:41]
	v_cndmask_b32_e32 v49, v41, v43, vcc_lo
	s_and_not1_b32 vcc_lo, exec_lo, s6
                                        ; implicit-def: $vgpr42_vgpr43
	s_delay_alu instid0(VALU_DEP_1)
	v_cmp_ge_f64_e64 s0, v[46:47], v[48:49]
	s_cbranch_vccnz .LBB73_144
; %bb.135:                              ;   in Loop: Header=BB73_114 Depth=1
                                        ; implicit-def: $vgpr42_vgpr43
                                        ; implicit-def: $vgpr60_vgpr61
	s_and_saveexec_b32 s1, s0
	s_delay_alu instid0(SALU_CYCLE_1)
	s_xor_b32 s18, exec_lo, s1
	s_cbranch_execz .LBB73_141
; %bb.136:                              ;   in Loop: Header=BB73_114 Depth=1
	v_cmp_neq_f64_e32 vcc_lo, 0, v[38:39]
	v_cmp_neq_f64_e64 s1, 0, v[40:41]
                                        ; implicit-def: $vgpr42_vgpr43
                                        ; implicit-def: $vgpr60_vgpr61
	s_or_b32 s1, vcc_lo, s1
	s_delay_alu instid0(SALU_CYCLE_1) | instskip(NEXT) | instid1(SALU_CYCLE_1)
	s_and_saveexec_b32 s19, s1
	s_xor_b32 s1, exec_lo, s19
	s_cbranch_execz .LBB73_138
; %bb.137:                              ;   in Loop: Header=BB73_114 Depth=1
	v_div_scale_f64 v[42:43], null, v[38:39], v[38:39], v[40:41]
	v_div_scale_f64 v[62:63], vcc_lo, v[40:41], v[38:39], v[40:41]
	s_delay_alu instid0(VALU_DEP_2) | instskip(SKIP_1) | instid1(TRANS32_DEP_1)
	v_rcp_f64_e32 v[44:45], v[42:43]
	v_nop
	v_fma_f64 v[60:61], -v[42:43], v[44:45], 1.0
	s_delay_alu instid0(VALU_DEP_1) | instskip(NEXT) | instid1(VALU_DEP_1)
	v_fmac_f64_e32 v[44:45], v[44:45], v[60:61]
	v_fma_f64 v[60:61], -v[42:43], v[44:45], 1.0
	s_delay_alu instid0(VALU_DEP_1) | instskip(NEXT) | instid1(VALU_DEP_1)
	v_fmac_f64_e32 v[44:45], v[44:45], v[60:61]
	v_mul_f64_e32 v[60:61], v[62:63], v[44:45]
	s_delay_alu instid0(VALU_DEP_1) | instskip(NEXT) | instid1(VALU_DEP_1)
	v_fma_f64 v[42:43], -v[42:43], v[60:61], v[62:63]
	v_div_fmas_f64 v[42:43], v[42:43], v[44:45], v[60:61]
	s_delay_alu instid0(VALU_DEP_1) | instskip(NEXT) | instid1(VALU_DEP_1)
	v_div_fixup_f64 v[42:43], v[42:43], v[38:39], v[40:41]
	v_fma_f64 v[44:45], v[40:41], v[42:43], v[38:39]
	s_delay_alu instid0(VALU_DEP_1) | instskip(SKIP_1) | instid1(VALU_DEP_2)
	v_div_scale_f64 v[60:61], null, v[44:45], v[44:45], 1.0
	v_div_scale_f64 v[66:67], vcc_lo, 1.0, v[44:45], 1.0
	v_rcp_f64_e32 v[62:63], v[60:61]
	v_nop
	s_delay_alu instid0(TRANS32_DEP_1) | instskip(NEXT) | instid1(VALU_DEP_1)
	v_fma_f64 v[64:65], -v[60:61], v[62:63], 1.0
	v_fmac_f64_e32 v[62:63], v[62:63], v[64:65]
	s_delay_alu instid0(VALU_DEP_1) | instskip(NEXT) | instid1(VALU_DEP_1)
	v_fma_f64 v[64:65], -v[60:61], v[62:63], 1.0
	v_fmac_f64_e32 v[62:63], v[62:63], v[64:65]
	s_delay_alu instid0(VALU_DEP_1) | instskip(NEXT) | instid1(VALU_DEP_1)
	v_mul_f64_e32 v[64:65], v[66:67], v[62:63]
	v_fma_f64 v[60:61], -v[60:61], v[64:65], v[66:67]
	s_delay_alu instid0(VALU_DEP_1) | instskip(SKIP_2) | instid1(VALU_DEP_3)
	v_div_fmas_f64 v[60:61], v[60:61], v[62:63], v[64:65]
	v_fma_f64 v[62:63], v[36:37], v[42:43], v[34:35]
	v_fma_f64 v[42:43], -v[34:35], v[42:43], v[36:37]
	v_div_fixup_f64 v[44:45], v[60:61], v[44:45], 1.0
	s_delay_alu instid0(VALU_DEP_1) | instskip(NEXT) | instid1(VALU_DEP_3)
	v_mul_f64_e32 v[60:61], v[62:63], v[44:45]
	v_mul_f64_e32 v[42:43], v[42:43], v[44:45]
.LBB73_138:                             ;   in Loop: Header=BB73_114 Depth=1
	s_and_not1_saveexec_b32 s19, s1
	s_cbranch_execz .LBB73_140
; %bb.139:                              ;   in Loop: Header=BB73_114 Depth=1
	v_div_scale_f64 v[42:43], null, v[46:47], v[46:47], v[34:35]
	v_div_scale_f64 v[44:45], null, v[48:49], v[48:49], v[36:37]
	v_div_scale_f64 v[68:69], vcc_lo, v[34:35], v[46:47], v[34:35]
	s_delay_alu instid0(VALU_DEP_3) | instskip(NEXT) | instid1(VALU_DEP_2)
	v_rcp_f64_e32 v[60:61], v[42:43]
	v_rcp_f64_e32 v[62:63], v[44:45]
	s_delay_alu instid0(TRANS32_DEP_2) | instskip(NEXT) | instid1(TRANS32_DEP_1)
	v_fma_f64 v[64:65], -v[42:43], v[60:61], 1.0
	v_fma_f64 v[66:67], -v[44:45], v[62:63], 1.0
	s_delay_alu instid0(VALU_DEP_2) | instskip(NEXT) | instid1(VALU_DEP_2)
	v_fmac_f64_e32 v[60:61], v[60:61], v[64:65]
	v_fmac_f64_e32 v[62:63], v[62:63], v[66:67]
	s_delay_alu instid0(VALU_DEP_2) | instskip(NEXT) | instid1(VALU_DEP_2)
	v_fma_f64 v[64:65], -v[42:43], v[60:61], 1.0
	v_fma_f64 v[66:67], -v[44:45], v[62:63], 1.0
	s_delay_alu instid0(VALU_DEP_2) | instskip(SKIP_1) | instid1(VALU_DEP_3)
	v_fmac_f64_e32 v[60:61], v[60:61], v[64:65]
	v_div_scale_f64 v[64:65], s1, v[36:37], v[48:49], v[36:37]
	v_fmac_f64_e32 v[62:63], v[62:63], v[66:67]
	s_delay_alu instid0(VALU_DEP_3) | instskip(NEXT) | instid1(VALU_DEP_2)
	v_mul_f64_e32 v[66:67], v[68:69], v[60:61]
	v_mul_f64_e32 v[70:71], v[64:65], v[62:63]
	s_delay_alu instid0(VALU_DEP_2) | instskip(NEXT) | instid1(VALU_DEP_2)
	v_fma_f64 v[42:43], -v[42:43], v[66:67], v[68:69]
	v_fma_f64 v[44:45], -v[44:45], v[70:71], v[64:65]
	s_delay_alu instid0(VALU_DEP_2) | instskip(SKIP_1) | instid1(VALU_DEP_2)
	v_div_fmas_f64 v[42:43], v[42:43], v[60:61], v[66:67]
	s_mov_b32 vcc_lo, s1
	v_div_fmas_f64 v[44:45], v[44:45], v[62:63], v[70:71]
	s_delay_alu instid0(VALU_DEP_2) | instskip(NEXT) | instid1(VALU_DEP_2)
	v_div_fixup_f64 v[60:61], v[42:43], v[46:47], v[34:35]
	v_div_fixup_f64 v[42:43], v[44:45], v[48:49], v[36:37]
.LBB73_140:                             ;   in Loop: Header=BB73_114 Depth=1
	s_or_b32 exec_lo, exec_lo, s19
.LBB73_141:                             ;   in Loop: Header=BB73_114 Depth=1
	s_and_not1_saveexec_b32 s1, s18
	s_cbranch_execz .LBB73_143
; %bb.142:                              ;   in Loop: Header=BB73_114 Depth=1
	v_div_scale_f64 v[42:43], null, v[40:41], v[40:41], v[38:39]
	v_div_scale_f64 v[62:63], vcc_lo, v[38:39], v[40:41], v[38:39]
	s_delay_alu instid0(VALU_DEP_2) | instskip(SKIP_1) | instid1(TRANS32_DEP_1)
	v_rcp_f64_e32 v[44:45], v[42:43]
	v_nop
	v_fma_f64 v[60:61], -v[42:43], v[44:45], 1.0
	s_delay_alu instid0(VALU_DEP_1) | instskip(NEXT) | instid1(VALU_DEP_1)
	v_fmac_f64_e32 v[44:45], v[44:45], v[60:61]
	v_fma_f64 v[60:61], -v[42:43], v[44:45], 1.0
	s_delay_alu instid0(VALU_DEP_1) | instskip(NEXT) | instid1(VALU_DEP_1)
	v_fmac_f64_e32 v[44:45], v[44:45], v[60:61]
	v_mul_f64_e32 v[60:61], v[62:63], v[44:45]
	s_delay_alu instid0(VALU_DEP_1) | instskip(NEXT) | instid1(VALU_DEP_1)
	v_fma_f64 v[42:43], -v[42:43], v[60:61], v[62:63]
	v_div_fmas_f64 v[42:43], v[42:43], v[44:45], v[60:61]
	s_delay_alu instid0(VALU_DEP_1) | instskip(NEXT) | instid1(VALU_DEP_1)
	v_div_fixup_f64 v[42:43], v[42:43], v[40:41], v[38:39]
	v_fma_f64 v[44:45], v[38:39], v[42:43], v[40:41]
	s_delay_alu instid0(VALU_DEP_1) | instskip(SKIP_1) | instid1(VALU_DEP_2)
	v_div_scale_f64 v[60:61], null, v[44:45], v[44:45], 1.0
	v_div_scale_f64 v[66:67], vcc_lo, 1.0, v[44:45], 1.0
	v_rcp_f64_e32 v[62:63], v[60:61]
	v_nop
	s_delay_alu instid0(TRANS32_DEP_1) | instskip(NEXT) | instid1(VALU_DEP_1)
	v_fma_f64 v[64:65], -v[60:61], v[62:63], 1.0
	v_fmac_f64_e32 v[62:63], v[62:63], v[64:65]
	s_delay_alu instid0(VALU_DEP_1) | instskip(NEXT) | instid1(VALU_DEP_1)
	v_fma_f64 v[64:65], -v[60:61], v[62:63], 1.0
	v_fmac_f64_e32 v[62:63], v[62:63], v[64:65]
	s_delay_alu instid0(VALU_DEP_1) | instskip(NEXT) | instid1(VALU_DEP_1)
	v_mul_f64_e32 v[64:65], v[66:67], v[62:63]
	v_fma_f64 v[60:61], -v[60:61], v[64:65], v[66:67]
	s_delay_alu instid0(VALU_DEP_1) | instskip(SKIP_2) | instid1(VALU_DEP_3)
	v_div_fmas_f64 v[60:61], v[60:61], v[62:63], v[64:65]
	v_fma_f64 v[62:63], v[34:35], v[42:43], v[36:37]
	v_fma_f64 v[42:43], v[36:37], v[42:43], -v[34:35]
	v_div_fixup_f64 v[44:45], v[60:61], v[44:45], 1.0
	s_delay_alu instid0(VALU_DEP_1) | instskip(NEXT) | instid1(VALU_DEP_3)
	v_mul_f64_e32 v[60:61], v[62:63], v[44:45]
	v_mul_f64_e32 v[42:43], v[42:43], v[44:45]
.LBB73_143:                             ;   in Loop: Header=BB73_114 Depth=1
	s_or_b32 exec_lo, exec_lo, s1
	s_delay_alu instid0(VALU_DEP_1) | instskip(SKIP_2) | instid1(VALU_DEP_2)
	v_mul_f64_e32 v[62:63], s[10:11], v[42:43]
	v_mul_f64_e32 v[44:45], s[8:9], v[42:43]
	s_mov_b32 s1, 0
	v_fma_f64 v[42:43], s[8:9], v[60:61], -v[62:63]
	s_delay_alu instid0(VALU_DEP_2)
	v_fmac_f64_e32 v[44:45], s[10:11], v[60:61]
.LBB73_144:                             ;   in Loop: Header=BB73_114 Depth=1
	s_and_b32 vcc_lo, exec_lo, s1
	s_cbranch_vccz .LBB73_154
; %bb.145:                              ;   in Loop: Header=BB73_114 Depth=1
                                        ; implicit-def: $vgpr44_vgpr45
                                        ; implicit-def: $vgpr42_vgpr43
	s_and_saveexec_b32 s1, s0
	s_delay_alu instid0(SALU_CYCLE_1)
	s_xor_b32 s1, exec_lo, s1
	s_cbranch_execz .LBB73_151
; %bb.146:                              ;   in Loop: Header=BB73_114 Depth=1
	v_cmp_neq_f64_e32 vcc_lo, 0, v[38:39]
	v_cmp_neq_f64_e64 s0, 0, v[40:41]
                                        ; implicit-def: $vgpr44_vgpr45
                                        ; implicit-def: $vgpr42_vgpr43
	s_or_b32 s0, vcc_lo, s0
	s_delay_alu instid0(SALU_CYCLE_1) | instskip(NEXT) | instid1(SALU_CYCLE_1)
	s_and_saveexec_b32 s18, s0
	s_xor_b32 s0, exec_lo, s18
	s_cbranch_execz .LBB73_148
; %bb.147:                              ;   in Loop: Header=BB73_114 Depth=1
	v_div_scale_f64 v[42:43], null, v[38:39], v[38:39], v[40:41]
	v_div_scale_f64 v[48:49], vcc_lo, v[40:41], v[38:39], v[40:41]
	s_delay_alu instid0(VALU_DEP_2) | instskip(SKIP_1) | instid1(TRANS32_DEP_1)
	v_rcp_f64_e32 v[44:45], v[42:43]
	v_nop
	v_fma_f64 v[46:47], -v[42:43], v[44:45], 1.0
	s_delay_alu instid0(VALU_DEP_1) | instskip(NEXT) | instid1(VALU_DEP_1)
	v_fmac_f64_e32 v[44:45], v[44:45], v[46:47]
	v_fma_f64 v[46:47], -v[42:43], v[44:45], 1.0
	s_delay_alu instid0(VALU_DEP_1) | instskip(NEXT) | instid1(VALU_DEP_1)
	v_fmac_f64_e32 v[44:45], v[44:45], v[46:47]
	v_mul_f64_e32 v[46:47], v[48:49], v[44:45]
	s_delay_alu instid0(VALU_DEP_1) | instskip(NEXT) | instid1(VALU_DEP_1)
	v_fma_f64 v[42:43], -v[42:43], v[46:47], v[48:49]
	v_div_fmas_f64 v[42:43], v[42:43], v[44:45], v[46:47]
	s_delay_alu instid0(VALU_DEP_1) | instskip(NEXT) | instid1(VALU_DEP_1)
	v_div_fixup_f64 v[42:43], v[42:43], v[38:39], v[40:41]
	v_fmac_f64_e32 v[38:39], v[40:41], v[42:43]
	s_delay_alu instid0(VALU_DEP_1) | instskip(SKIP_1) | instid1(VALU_DEP_2)
	v_div_scale_f64 v[40:41], null, v[38:39], v[38:39], 1.0
	v_div_scale_f64 v[48:49], vcc_lo, 1.0, v[38:39], 1.0
	v_rcp_f64_e32 v[44:45], v[40:41]
	v_nop
	s_delay_alu instid0(TRANS32_DEP_1) | instskip(NEXT) | instid1(VALU_DEP_1)
	v_fma_f64 v[46:47], -v[40:41], v[44:45], 1.0
	v_fmac_f64_e32 v[44:45], v[44:45], v[46:47]
	s_delay_alu instid0(VALU_DEP_1) | instskip(NEXT) | instid1(VALU_DEP_1)
	v_fma_f64 v[46:47], -v[40:41], v[44:45], 1.0
	v_fmac_f64_e32 v[44:45], v[44:45], v[46:47]
	s_delay_alu instid0(VALU_DEP_1) | instskip(NEXT) | instid1(VALU_DEP_1)
	v_mul_f64_e32 v[46:47], v[48:49], v[44:45]
	v_fma_f64 v[40:41], -v[40:41], v[46:47], v[48:49]
                                        ; implicit-def: $vgpr48_vgpr49
	s_delay_alu instid0(VALU_DEP_1) | instskip(SKIP_2) | instid1(VALU_DEP_3)
	v_div_fmas_f64 v[40:41], v[40:41], v[44:45], v[46:47]
	v_fma_f64 v[44:45], v[36:37], v[42:43], v[34:35]
	v_fma_f64 v[34:35], -v[34:35], v[42:43], v[36:37]
                                        ; implicit-def: $vgpr46_vgpr47
	v_div_fixup_f64 v[38:39], v[40:41], v[38:39], 1.0
	s_delay_alu instid0(VALU_DEP_1) | instskip(NEXT) | instid1(VALU_DEP_3)
	v_mul_f64_e32 v[42:43], v[44:45], v[38:39]
	v_mul_f64_e32 v[44:45], v[34:35], v[38:39]
                                        ; implicit-def: $vgpr34_vgpr35
.LBB73_148:                             ;   in Loop: Header=BB73_114 Depth=1
	s_and_not1_saveexec_b32 s18, s0
	s_cbranch_execz .LBB73_150
; %bb.149:                              ;   in Loop: Header=BB73_114 Depth=1
	v_div_scale_f64 v[38:39], null, v[46:47], v[46:47], v[34:35]
	v_div_scale_f64 v[40:41], null, v[48:49], v[48:49], v[36:37]
	v_div_scale_f64 v[64:65], vcc_lo, v[34:35], v[46:47], v[34:35]
	s_delay_alu instid0(VALU_DEP_3) | instskip(NEXT) | instid1(VALU_DEP_2)
	v_rcp_f64_e32 v[42:43], v[38:39]
	v_rcp_f64_e32 v[44:45], v[40:41]
	s_delay_alu instid0(TRANS32_DEP_2) | instskip(NEXT) | instid1(TRANS32_DEP_1)
	v_fma_f64 v[60:61], -v[38:39], v[42:43], 1.0
	v_fma_f64 v[62:63], -v[40:41], v[44:45], 1.0
	s_delay_alu instid0(VALU_DEP_2) | instskip(NEXT) | instid1(VALU_DEP_2)
	v_fmac_f64_e32 v[42:43], v[42:43], v[60:61]
	v_fmac_f64_e32 v[44:45], v[44:45], v[62:63]
	s_delay_alu instid0(VALU_DEP_2) | instskip(NEXT) | instid1(VALU_DEP_2)
	v_fma_f64 v[60:61], -v[38:39], v[42:43], 1.0
	v_fma_f64 v[62:63], -v[40:41], v[44:45], 1.0
	s_delay_alu instid0(VALU_DEP_2) | instskip(SKIP_1) | instid1(VALU_DEP_3)
	v_fmac_f64_e32 v[42:43], v[42:43], v[60:61]
	v_div_scale_f64 v[60:61], s0, v[36:37], v[48:49], v[36:37]
	v_fmac_f64_e32 v[44:45], v[44:45], v[62:63]
	s_delay_alu instid0(VALU_DEP_3) | instskip(NEXT) | instid1(VALU_DEP_2)
	v_mul_f64_e32 v[62:63], v[64:65], v[42:43]
	v_mul_f64_e32 v[66:67], v[60:61], v[44:45]
	s_delay_alu instid0(VALU_DEP_2) | instskip(NEXT) | instid1(VALU_DEP_2)
	v_fma_f64 v[38:39], -v[38:39], v[62:63], v[64:65]
	v_fma_f64 v[40:41], -v[40:41], v[66:67], v[60:61]
	s_delay_alu instid0(VALU_DEP_2) | instskip(SKIP_1) | instid1(VALU_DEP_2)
	v_div_fmas_f64 v[38:39], v[38:39], v[42:43], v[62:63]
	s_mov_b32 vcc_lo, s0
	v_div_fmas_f64 v[40:41], v[40:41], v[44:45], v[66:67]
	s_delay_alu instid0(VALU_DEP_2) | instskip(NEXT) | instid1(VALU_DEP_2)
	v_div_fixup_f64 v[42:43], v[38:39], v[46:47], v[34:35]
	v_div_fixup_f64 v[44:45], v[40:41], v[48:49], v[36:37]
.LBB73_150:                             ;   in Loop: Header=BB73_114 Depth=1
	s_or_b32 exec_lo, exec_lo, s18
                                        ; implicit-def: $vgpr40_vgpr41
                                        ; implicit-def: $vgpr34_vgpr35
.LBB73_151:                             ;   in Loop: Header=BB73_114 Depth=1
	s_and_not1_saveexec_b32 s0, s1
	s_cbranch_execz .LBB73_153
; %bb.152:                              ;   in Loop: Header=BB73_114 Depth=1
	v_div_scale_f64 v[42:43], null, v[40:41], v[40:41], v[38:39]
	v_div_scale_f64 v[48:49], vcc_lo, v[38:39], v[40:41], v[38:39]
	s_delay_alu instid0(VALU_DEP_2) | instskip(SKIP_1) | instid1(TRANS32_DEP_1)
	v_rcp_f64_e32 v[44:45], v[42:43]
	v_nop
	v_fma_f64 v[46:47], -v[42:43], v[44:45], 1.0
	s_delay_alu instid0(VALU_DEP_1) | instskip(NEXT) | instid1(VALU_DEP_1)
	v_fmac_f64_e32 v[44:45], v[44:45], v[46:47]
	v_fma_f64 v[46:47], -v[42:43], v[44:45], 1.0
	s_delay_alu instid0(VALU_DEP_1) | instskip(NEXT) | instid1(VALU_DEP_1)
	v_fmac_f64_e32 v[44:45], v[44:45], v[46:47]
	v_mul_f64_e32 v[46:47], v[48:49], v[44:45]
	s_delay_alu instid0(VALU_DEP_1) | instskip(NEXT) | instid1(VALU_DEP_1)
	v_fma_f64 v[42:43], -v[42:43], v[46:47], v[48:49]
	v_div_fmas_f64 v[42:43], v[42:43], v[44:45], v[46:47]
	s_delay_alu instid0(VALU_DEP_1) | instskip(NEXT) | instid1(VALU_DEP_1)
	v_div_fixup_f64 v[42:43], v[42:43], v[40:41], v[38:39]
	v_fmac_f64_e32 v[40:41], v[38:39], v[42:43]
	s_delay_alu instid0(VALU_DEP_1) | instskip(SKIP_1) | instid1(VALU_DEP_2)
	v_div_scale_f64 v[38:39], null, v[40:41], v[40:41], 1.0
	v_div_scale_f64 v[48:49], vcc_lo, 1.0, v[40:41], 1.0
	v_rcp_f64_e32 v[44:45], v[38:39]
	v_nop
	s_delay_alu instid0(TRANS32_DEP_1) | instskip(NEXT) | instid1(VALU_DEP_1)
	v_fma_f64 v[46:47], -v[38:39], v[44:45], 1.0
	v_fmac_f64_e32 v[44:45], v[44:45], v[46:47]
	s_delay_alu instid0(VALU_DEP_1) | instskip(NEXT) | instid1(VALU_DEP_1)
	v_fma_f64 v[46:47], -v[38:39], v[44:45], 1.0
	v_fmac_f64_e32 v[44:45], v[44:45], v[46:47]
	s_delay_alu instid0(VALU_DEP_1) | instskip(NEXT) | instid1(VALU_DEP_1)
	v_mul_f64_e32 v[46:47], v[48:49], v[44:45]
	v_fma_f64 v[38:39], -v[38:39], v[46:47], v[48:49]
	s_delay_alu instid0(VALU_DEP_1) | instskip(SKIP_2) | instid1(VALU_DEP_3)
	v_div_fmas_f64 v[38:39], v[38:39], v[44:45], v[46:47]
	v_fma_f64 v[44:45], v[34:35], v[42:43], v[36:37]
	v_fma_f64 v[34:35], v[36:37], v[42:43], -v[34:35]
	v_div_fixup_f64 v[38:39], v[38:39], v[40:41], 1.0
	s_delay_alu instid0(VALU_DEP_1) | instskip(NEXT) | instid1(VALU_DEP_3)
	v_mul_f64_e32 v[42:43], v[44:45], v[38:39]
	v_mul_f64_e32 v[44:45], v[34:35], v[38:39]
.LBB73_153:                             ;   in Loop: Header=BB73_114 Depth=1
	s_or_b32 exec_lo, exec_lo, s0
.LBB73_154:                             ;   in Loop: Header=BB73_114 Depth=1
	s_wait_loadcnt 0x0
	v_cmp_gt_f64_e32 vcc_lo, 0, v[30:31]
	v_xor_b32_e32 v34, 0x80000000, v31
	v_mov_b32_e32 v38, v30
	v_xor_b32_e32 v35, 0x80000000, v33
	s_mov_b32 s1, -1
                                        ; implicit-def: $vgpr36_vgpr37
	s_delay_alu instid0(VALU_DEP_3) | instskip(SKIP_1) | instid1(VALU_DEP_3)
	v_dual_mov_b32 v40, v32 :: v_dual_cndmask_b32 v39, v31, v34
	v_cmp_gt_f64_e32 vcc_lo, 0, v[32:33]
	v_cndmask_b32_e32 v41, v33, v35, vcc_lo
	s_and_not1_b32 vcc_lo, exec_lo, s6
                                        ; implicit-def: $vgpr34_vgpr35
	s_delay_alu instid0(VALU_DEP_1)
	v_cmp_ge_f64_e64 s0, v[38:39], v[40:41]
	s_cbranch_vccnz .LBB73_164
; %bb.155:                              ;   in Loop: Header=BB73_114 Depth=1
                                        ; implicit-def: $vgpr34_vgpr35
                                        ; implicit-def: $vgpr46_vgpr47
	s_and_saveexec_b32 s1, s0
	s_delay_alu instid0(SALU_CYCLE_1)
	s_xor_b32 s18, exec_lo, s1
	s_cbranch_execz .LBB73_161
; %bb.156:                              ;   in Loop: Header=BB73_114 Depth=1
	v_cmp_neq_f64_e32 vcc_lo, 0, v[30:31]
	v_cmp_neq_f64_e64 s1, 0, v[32:33]
                                        ; implicit-def: $vgpr34_vgpr35
                                        ; implicit-def: $vgpr46_vgpr47
	s_or_b32 s1, vcc_lo, s1
	s_delay_alu instid0(SALU_CYCLE_1) | instskip(NEXT) | instid1(SALU_CYCLE_1)
	s_and_saveexec_b32 s19, s1
	s_xor_b32 s1, exec_lo, s19
	s_cbranch_execz .LBB73_158
; %bb.157:                              ;   in Loop: Header=BB73_114 Depth=1
	v_div_scale_f64 v[34:35], null, v[30:31], v[30:31], v[32:33]
	v_div_scale_f64 v[48:49], vcc_lo, v[32:33], v[30:31], v[32:33]
	s_delay_alu instid0(VALU_DEP_2) | instskip(SKIP_1) | instid1(TRANS32_DEP_1)
	v_rcp_f64_e32 v[36:37], v[34:35]
	v_nop
	v_fma_f64 v[46:47], -v[34:35], v[36:37], 1.0
	s_delay_alu instid0(VALU_DEP_1) | instskip(NEXT) | instid1(VALU_DEP_1)
	v_fmac_f64_e32 v[36:37], v[36:37], v[46:47]
	v_fma_f64 v[46:47], -v[34:35], v[36:37], 1.0
	s_delay_alu instid0(VALU_DEP_1) | instskip(NEXT) | instid1(VALU_DEP_1)
	v_fmac_f64_e32 v[36:37], v[36:37], v[46:47]
	v_mul_f64_e32 v[46:47], v[48:49], v[36:37]
	s_delay_alu instid0(VALU_DEP_1) | instskip(NEXT) | instid1(VALU_DEP_1)
	v_fma_f64 v[34:35], -v[34:35], v[46:47], v[48:49]
	v_div_fmas_f64 v[34:35], v[34:35], v[36:37], v[46:47]
	s_delay_alu instid0(VALU_DEP_1) | instskip(NEXT) | instid1(VALU_DEP_1)
	v_div_fixup_f64 v[34:35], v[34:35], v[30:31], v[32:33]
	v_fma_f64 v[36:37], v[32:33], v[34:35], v[30:31]
	s_delay_alu instid0(VALU_DEP_1) | instskip(SKIP_1) | instid1(VALU_DEP_2)
	v_div_scale_f64 v[46:47], null, v[36:37], v[36:37], 1.0
	v_div_scale_f64 v[62:63], vcc_lo, 1.0, v[36:37], 1.0
	v_rcp_f64_e32 v[48:49], v[46:47]
	v_nop
	s_delay_alu instid0(TRANS32_DEP_1) | instskip(NEXT) | instid1(VALU_DEP_1)
	v_fma_f64 v[60:61], -v[46:47], v[48:49], 1.0
	v_fmac_f64_e32 v[48:49], v[48:49], v[60:61]
	s_delay_alu instid0(VALU_DEP_1) | instskip(NEXT) | instid1(VALU_DEP_1)
	v_fma_f64 v[60:61], -v[46:47], v[48:49], 1.0
	v_fmac_f64_e32 v[48:49], v[48:49], v[60:61]
	s_delay_alu instid0(VALU_DEP_1) | instskip(NEXT) | instid1(VALU_DEP_1)
	v_mul_f64_e32 v[60:61], v[62:63], v[48:49]
	v_fma_f64 v[46:47], -v[46:47], v[60:61], v[62:63]
	s_delay_alu instid0(VALU_DEP_1) | instskip(SKIP_2) | instid1(VALU_DEP_3)
	v_div_fmas_f64 v[46:47], v[46:47], v[48:49], v[60:61]
	v_fma_f64 v[48:49], v[28:29], v[34:35], v[26:27]
	v_fma_f64 v[34:35], -v[26:27], v[34:35], v[28:29]
	v_div_fixup_f64 v[36:37], v[46:47], v[36:37], 1.0
	s_delay_alu instid0(VALU_DEP_1) | instskip(NEXT) | instid1(VALU_DEP_3)
	v_mul_f64_e32 v[46:47], v[48:49], v[36:37]
	v_mul_f64_e32 v[34:35], v[34:35], v[36:37]
.LBB73_158:                             ;   in Loop: Header=BB73_114 Depth=1
	s_and_not1_saveexec_b32 s19, s1
	s_cbranch_execz .LBB73_160
; %bb.159:                              ;   in Loop: Header=BB73_114 Depth=1
	v_div_scale_f64 v[34:35], null, v[38:39], v[38:39], v[26:27]
	v_div_scale_f64 v[36:37], null, v[40:41], v[40:41], v[28:29]
	v_div_scale_f64 v[64:65], vcc_lo, v[26:27], v[38:39], v[26:27]
	s_delay_alu instid0(VALU_DEP_3) | instskip(NEXT) | instid1(VALU_DEP_2)
	v_rcp_f64_e32 v[46:47], v[34:35]
	v_rcp_f64_e32 v[48:49], v[36:37]
	s_delay_alu instid0(TRANS32_DEP_2) | instskip(NEXT) | instid1(TRANS32_DEP_1)
	v_fma_f64 v[60:61], -v[34:35], v[46:47], 1.0
	v_fma_f64 v[62:63], -v[36:37], v[48:49], 1.0
	s_delay_alu instid0(VALU_DEP_2) | instskip(NEXT) | instid1(VALU_DEP_2)
	v_fmac_f64_e32 v[46:47], v[46:47], v[60:61]
	v_fmac_f64_e32 v[48:49], v[48:49], v[62:63]
	s_delay_alu instid0(VALU_DEP_2) | instskip(NEXT) | instid1(VALU_DEP_2)
	v_fma_f64 v[60:61], -v[34:35], v[46:47], 1.0
	v_fma_f64 v[62:63], -v[36:37], v[48:49], 1.0
	s_delay_alu instid0(VALU_DEP_2) | instskip(SKIP_1) | instid1(VALU_DEP_3)
	v_fmac_f64_e32 v[46:47], v[46:47], v[60:61]
	v_div_scale_f64 v[60:61], s1, v[28:29], v[40:41], v[28:29]
	v_fmac_f64_e32 v[48:49], v[48:49], v[62:63]
	s_delay_alu instid0(VALU_DEP_3) | instskip(NEXT) | instid1(VALU_DEP_2)
	v_mul_f64_e32 v[62:63], v[64:65], v[46:47]
	v_mul_f64_e32 v[66:67], v[60:61], v[48:49]
	s_delay_alu instid0(VALU_DEP_2) | instskip(NEXT) | instid1(VALU_DEP_2)
	v_fma_f64 v[34:35], -v[34:35], v[62:63], v[64:65]
	v_fma_f64 v[36:37], -v[36:37], v[66:67], v[60:61]
	s_delay_alu instid0(VALU_DEP_2) | instskip(SKIP_1) | instid1(VALU_DEP_2)
	v_div_fmas_f64 v[34:35], v[34:35], v[46:47], v[62:63]
	s_mov_b32 vcc_lo, s1
	v_div_fmas_f64 v[36:37], v[36:37], v[48:49], v[66:67]
	s_delay_alu instid0(VALU_DEP_2) | instskip(NEXT) | instid1(VALU_DEP_2)
	v_div_fixup_f64 v[46:47], v[34:35], v[38:39], v[26:27]
	v_div_fixup_f64 v[34:35], v[36:37], v[40:41], v[28:29]
.LBB73_160:                             ;   in Loop: Header=BB73_114 Depth=1
	s_or_b32 exec_lo, exec_lo, s19
.LBB73_161:                             ;   in Loop: Header=BB73_114 Depth=1
	s_and_not1_saveexec_b32 s1, s18
	s_cbranch_execz .LBB73_163
; %bb.162:                              ;   in Loop: Header=BB73_114 Depth=1
	v_div_scale_f64 v[34:35], null, v[32:33], v[32:33], v[30:31]
	v_div_scale_f64 v[48:49], vcc_lo, v[30:31], v[32:33], v[30:31]
	s_delay_alu instid0(VALU_DEP_2) | instskip(SKIP_1) | instid1(TRANS32_DEP_1)
	v_rcp_f64_e32 v[36:37], v[34:35]
	v_nop
	v_fma_f64 v[46:47], -v[34:35], v[36:37], 1.0
	s_delay_alu instid0(VALU_DEP_1) | instskip(NEXT) | instid1(VALU_DEP_1)
	v_fmac_f64_e32 v[36:37], v[36:37], v[46:47]
	v_fma_f64 v[46:47], -v[34:35], v[36:37], 1.0
	s_delay_alu instid0(VALU_DEP_1) | instskip(NEXT) | instid1(VALU_DEP_1)
	v_fmac_f64_e32 v[36:37], v[36:37], v[46:47]
	v_mul_f64_e32 v[46:47], v[48:49], v[36:37]
	s_delay_alu instid0(VALU_DEP_1) | instskip(NEXT) | instid1(VALU_DEP_1)
	v_fma_f64 v[34:35], -v[34:35], v[46:47], v[48:49]
	v_div_fmas_f64 v[34:35], v[34:35], v[36:37], v[46:47]
	s_delay_alu instid0(VALU_DEP_1) | instskip(NEXT) | instid1(VALU_DEP_1)
	v_div_fixup_f64 v[34:35], v[34:35], v[32:33], v[30:31]
	v_fma_f64 v[36:37], v[30:31], v[34:35], v[32:33]
	s_delay_alu instid0(VALU_DEP_1) | instskip(SKIP_1) | instid1(VALU_DEP_2)
	v_div_scale_f64 v[46:47], null, v[36:37], v[36:37], 1.0
	v_div_scale_f64 v[62:63], vcc_lo, 1.0, v[36:37], 1.0
	v_rcp_f64_e32 v[48:49], v[46:47]
	v_nop
	s_delay_alu instid0(TRANS32_DEP_1) | instskip(NEXT) | instid1(VALU_DEP_1)
	v_fma_f64 v[60:61], -v[46:47], v[48:49], 1.0
	v_fmac_f64_e32 v[48:49], v[48:49], v[60:61]
	s_delay_alu instid0(VALU_DEP_1) | instskip(NEXT) | instid1(VALU_DEP_1)
	v_fma_f64 v[60:61], -v[46:47], v[48:49], 1.0
	v_fmac_f64_e32 v[48:49], v[48:49], v[60:61]
	s_delay_alu instid0(VALU_DEP_1) | instskip(NEXT) | instid1(VALU_DEP_1)
	v_mul_f64_e32 v[60:61], v[62:63], v[48:49]
	v_fma_f64 v[46:47], -v[46:47], v[60:61], v[62:63]
	s_delay_alu instid0(VALU_DEP_1) | instskip(SKIP_2) | instid1(VALU_DEP_3)
	v_div_fmas_f64 v[46:47], v[46:47], v[48:49], v[60:61]
	v_fma_f64 v[48:49], v[26:27], v[34:35], v[28:29]
	v_fma_f64 v[34:35], v[28:29], v[34:35], -v[26:27]
	v_div_fixup_f64 v[36:37], v[46:47], v[36:37], 1.0
	s_delay_alu instid0(VALU_DEP_1) | instskip(NEXT) | instid1(VALU_DEP_3)
	v_mul_f64_e32 v[46:47], v[48:49], v[36:37]
	v_mul_f64_e32 v[34:35], v[34:35], v[36:37]
.LBB73_163:                             ;   in Loop: Header=BB73_114 Depth=1
	s_or_b32 exec_lo, exec_lo, s1
	s_delay_alu instid0(VALU_DEP_1) | instskip(SKIP_2) | instid1(VALU_DEP_2)
	v_mul_f64_e32 v[36:37], s[10:11], v[34:35]
	v_mul_f64_e32 v[34:35], s[8:9], v[34:35]
	s_mov_b32 s1, 0
	v_fma_f64 v[36:37], s[8:9], v[46:47], -v[36:37]
	s_delay_alu instid0(VALU_DEP_2)
	v_fmac_f64_e32 v[34:35], s[10:11], v[46:47]
.LBB73_164:                             ;   in Loop: Header=BB73_114 Depth=1
	s_and_b32 vcc_lo, exec_lo, s1
	s_cbranch_vccz .LBB73_174
; %bb.165:                              ;   in Loop: Header=BB73_114 Depth=1
                                        ; implicit-def: $vgpr34_vgpr35
                                        ; implicit-def: $vgpr36_vgpr37
	s_and_saveexec_b32 s1, s0
	s_delay_alu instid0(SALU_CYCLE_1)
	s_xor_b32 s1, exec_lo, s1
	s_cbranch_execz .LBB73_171
; %bb.166:                              ;   in Loop: Header=BB73_114 Depth=1
	v_cmp_neq_f64_e32 vcc_lo, 0, v[30:31]
	v_cmp_neq_f64_e64 s0, 0, v[32:33]
                                        ; implicit-def: $vgpr34_vgpr35
                                        ; implicit-def: $vgpr36_vgpr37
	s_or_b32 s0, vcc_lo, s0
	s_delay_alu instid0(SALU_CYCLE_1) | instskip(NEXT) | instid1(SALU_CYCLE_1)
	s_and_saveexec_b32 s18, s0
	s_xor_b32 s0, exec_lo, s18
	s_cbranch_execz .LBB73_168
; %bb.167:                              ;   in Loop: Header=BB73_114 Depth=1
	v_div_scale_f64 v[34:35], null, v[30:31], v[30:31], v[32:33]
	v_div_scale_f64 v[40:41], vcc_lo, v[32:33], v[30:31], v[32:33]
	s_delay_alu instid0(VALU_DEP_2) | instskip(SKIP_1) | instid1(TRANS32_DEP_1)
	v_rcp_f64_e32 v[36:37], v[34:35]
	v_nop
	v_fma_f64 v[38:39], -v[34:35], v[36:37], 1.0
	s_delay_alu instid0(VALU_DEP_1) | instskip(NEXT) | instid1(VALU_DEP_1)
	v_fmac_f64_e32 v[36:37], v[36:37], v[38:39]
	v_fma_f64 v[38:39], -v[34:35], v[36:37], 1.0
	s_delay_alu instid0(VALU_DEP_1) | instskip(NEXT) | instid1(VALU_DEP_1)
	v_fmac_f64_e32 v[36:37], v[36:37], v[38:39]
	v_mul_f64_e32 v[38:39], v[40:41], v[36:37]
	s_delay_alu instid0(VALU_DEP_1) | instskip(NEXT) | instid1(VALU_DEP_1)
	v_fma_f64 v[34:35], -v[34:35], v[38:39], v[40:41]
	v_div_fmas_f64 v[34:35], v[34:35], v[36:37], v[38:39]
	s_delay_alu instid0(VALU_DEP_1) | instskip(NEXT) | instid1(VALU_DEP_1)
	v_div_fixup_f64 v[34:35], v[34:35], v[30:31], v[32:33]
	v_fmac_f64_e32 v[30:31], v[32:33], v[34:35]
	s_delay_alu instid0(VALU_DEP_1) | instskip(SKIP_1) | instid1(VALU_DEP_2)
	v_div_scale_f64 v[32:33], null, v[30:31], v[30:31], 1.0
	v_div_scale_f64 v[40:41], vcc_lo, 1.0, v[30:31], 1.0
	v_rcp_f64_e32 v[36:37], v[32:33]
	v_nop
	s_delay_alu instid0(TRANS32_DEP_1) | instskip(NEXT) | instid1(VALU_DEP_1)
	v_fma_f64 v[38:39], -v[32:33], v[36:37], 1.0
	v_fmac_f64_e32 v[36:37], v[36:37], v[38:39]
	s_delay_alu instid0(VALU_DEP_1) | instskip(NEXT) | instid1(VALU_DEP_1)
	v_fma_f64 v[38:39], -v[32:33], v[36:37], 1.0
	v_fmac_f64_e32 v[36:37], v[36:37], v[38:39]
	s_delay_alu instid0(VALU_DEP_1) | instskip(NEXT) | instid1(VALU_DEP_1)
	v_mul_f64_e32 v[38:39], v[40:41], v[36:37]
	v_fma_f64 v[32:33], -v[32:33], v[38:39], v[40:41]
                                        ; implicit-def: $vgpr40_vgpr41
	s_delay_alu instid0(VALU_DEP_1) | instskip(SKIP_2) | instid1(VALU_DEP_3)
	v_div_fmas_f64 v[32:33], v[32:33], v[36:37], v[38:39]
	v_fma_f64 v[36:37], v[28:29], v[34:35], v[26:27]
	v_fma_f64 v[26:27], -v[26:27], v[34:35], v[28:29]
                                        ; implicit-def: $vgpr38_vgpr39
	v_div_fixup_f64 v[30:31], v[32:33], v[30:31], 1.0
	s_delay_alu instid0(VALU_DEP_1) | instskip(NEXT) | instid1(VALU_DEP_3)
	v_mul_f64_e32 v[36:37], v[36:37], v[30:31]
	v_mul_f64_e32 v[34:35], v[26:27], v[30:31]
                                        ; implicit-def: $vgpr26_vgpr27
.LBB73_168:                             ;   in Loop: Header=BB73_114 Depth=1
	s_and_not1_saveexec_b32 s18, s0
	s_cbranch_execz .LBB73_170
; %bb.169:                              ;   in Loop: Header=BB73_114 Depth=1
	v_div_scale_f64 v[30:31], null, v[38:39], v[38:39], v[26:27]
	v_div_scale_f64 v[32:33], null, v[40:41], v[40:41], v[28:29]
	v_div_scale_f64 v[60:61], vcc_lo, v[26:27], v[38:39], v[26:27]
	s_delay_alu instid0(VALU_DEP_3) | instskip(NEXT) | instid1(VALU_DEP_2)
	v_rcp_f64_e32 v[34:35], v[30:31]
	v_rcp_f64_e32 v[36:37], v[32:33]
	s_delay_alu instid0(TRANS32_DEP_2) | instskip(NEXT) | instid1(TRANS32_DEP_1)
	v_fma_f64 v[46:47], -v[30:31], v[34:35], 1.0
	v_fma_f64 v[48:49], -v[32:33], v[36:37], 1.0
	s_delay_alu instid0(VALU_DEP_2) | instskip(NEXT) | instid1(VALU_DEP_2)
	v_fmac_f64_e32 v[34:35], v[34:35], v[46:47]
	v_fmac_f64_e32 v[36:37], v[36:37], v[48:49]
	s_delay_alu instid0(VALU_DEP_2) | instskip(NEXT) | instid1(VALU_DEP_2)
	v_fma_f64 v[46:47], -v[30:31], v[34:35], 1.0
	v_fma_f64 v[48:49], -v[32:33], v[36:37], 1.0
	s_delay_alu instid0(VALU_DEP_2) | instskip(SKIP_1) | instid1(VALU_DEP_3)
	v_fmac_f64_e32 v[34:35], v[34:35], v[46:47]
	v_div_scale_f64 v[46:47], s0, v[28:29], v[40:41], v[28:29]
	v_fmac_f64_e32 v[36:37], v[36:37], v[48:49]
	s_delay_alu instid0(VALU_DEP_3) | instskip(NEXT) | instid1(VALU_DEP_2)
	v_mul_f64_e32 v[48:49], v[60:61], v[34:35]
	v_mul_f64_e32 v[62:63], v[46:47], v[36:37]
	s_delay_alu instid0(VALU_DEP_2) | instskip(NEXT) | instid1(VALU_DEP_2)
	v_fma_f64 v[30:31], -v[30:31], v[48:49], v[60:61]
	v_fma_f64 v[32:33], -v[32:33], v[62:63], v[46:47]
	s_delay_alu instid0(VALU_DEP_2) | instskip(SKIP_1) | instid1(VALU_DEP_2)
	v_div_fmas_f64 v[30:31], v[30:31], v[34:35], v[48:49]
	s_mov_b32 vcc_lo, s0
	v_div_fmas_f64 v[32:33], v[32:33], v[36:37], v[62:63]
	s_delay_alu instid0(VALU_DEP_2) | instskip(NEXT) | instid1(VALU_DEP_2)
	v_div_fixup_f64 v[36:37], v[30:31], v[38:39], v[26:27]
	v_div_fixup_f64 v[34:35], v[32:33], v[40:41], v[28:29]
.LBB73_170:                             ;   in Loop: Header=BB73_114 Depth=1
	s_or_b32 exec_lo, exec_lo, s18
                                        ; implicit-def: $vgpr32_vgpr33
                                        ; implicit-def: $vgpr26_vgpr27
.LBB73_171:                             ;   in Loop: Header=BB73_114 Depth=1
	s_and_not1_saveexec_b32 s0, s1
	s_cbranch_execz .LBB73_173
; %bb.172:                              ;   in Loop: Header=BB73_114 Depth=1
	v_div_scale_f64 v[34:35], null, v[32:33], v[32:33], v[30:31]
	v_div_scale_f64 v[40:41], vcc_lo, v[30:31], v[32:33], v[30:31]
	s_delay_alu instid0(VALU_DEP_2) | instskip(SKIP_1) | instid1(TRANS32_DEP_1)
	v_rcp_f64_e32 v[36:37], v[34:35]
	v_nop
	v_fma_f64 v[38:39], -v[34:35], v[36:37], 1.0
	s_delay_alu instid0(VALU_DEP_1) | instskip(NEXT) | instid1(VALU_DEP_1)
	v_fmac_f64_e32 v[36:37], v[36:37], v[38:39]
	v_fma_f64 v[38:39], -v[34:35], v[36:37], 1.0
	s_delay_alu instid0(VALU_DEP_1) | instskip(NEXT) | instid1(VALU_DEP_1)
	v_fmac_f64_e32 v[36:37], v[36:37], v[38:39]
	v_mul_f64_e32 v[38:39], v[40:41], v[36:37]
	s_delay_alu instid0(VALU_DEP_1) | instskip(NEXT) | instid1(VALU_DEP_1)
	v_fma_f64 v[34:35], -v[34:35], v[38:39], v[40:41]
	v_div_fmas_f64 v[34:35], v[34:35], v[36:37], v[38:39]
	s_delay_alu instid0(VALU_DEP_1) | instskip(NEXT) | instid1(VALU_DEP_1)
	v_div_fixup_f64 v[34:35], v[34:35], v[32:33], v[30:31]
	v_fmac_f64_e32 v[32:33], v[30:31], v[34:35]
	s_delay_alu instid0(VALU_DEP_1) | instskip(SKIP_1) | instid1(VALU_DEP_2)
	v_div_scale_f64 v[30:31], null, v[32:33], v[32:33], 1.0
	v_div_scale_f64 v[40:41], vcc_lo, 1.0, v[32:33], 1.0
	v_rcp_f64_e32 v[36:37], v[30:31]
	v_nop
	s_delay_alu instid0(TRANS32_DEP_1) | instskip(NEXT) | instid1(VALU_DEP_1)
	v_fma_f64 v[38:39], -v[30:31], v[36:37], 1.0
	v_fmac_f64_e32 v[36:37], v[36:37], v[38:39]
	s_delay_alu instid0(VALU_DEP_1) | instskip(NEXT) | instid1(VALU_DEP_1)
	v_fma_f64 v[38:39], -v[30:31], v[36:37], 1.0
	v_fmac_f64_e32 v[36:37], v[36:37], v[38:39]
	s_delay_alu instid0(VALU_DEP_1) | instskip(NEXT) | instid1(VALU_DEP_1)
	v_mul_f64_e32 v[38:39], v[40:41], v[36:37]
	v_fma_f64 v[30:31], -v[30:31], v[38:39], v[40:41]
	s_delay_alu instid0(VALU_DEP_1) | instskip(SKIP_2) | instid1(VALU_DEP_3)
	v_div_fmas_f64 v[30:31], v[30:31], v[36:37], v[38:39]
	v_fma_f64 v[36:37], v[26:27], v[34:35], v[28:29]
	v_fma_f64 v[26:27], v[28:29], v[34:35], -v[26:27]
	v_div_fixup_f64 v[30:31], v[30:31], v[32:33], 1.0
	s_delay_alu instid0(VALU_DEP_1) | instskip(NEXT) | instid1(VALU_DEP_3)
	v_mul_f64_e32 v[36:37], v[36:37], v[30:31]
	v_mul_f64_e32 v[34:35], v[26:27], v[30:31]
.LBB73_173:                             ;   in Loop: Header=BB73_114 Depth=1
	s_or_b32 exec_lo, exec_lo, s0
.LBB73_174:                             ;   in Loop: Header=BB73_114 Depth=1
	v_cmp_gt_f64_e32 vcc_lo, 0, v[22:23]
	v_xor_b32_e32 v27, 0x80000000, v23
	v_mov_b32_e32 v26, v22
	v_xor_b32_e32 v28, 0x80000000, v25
	s_mov_b32 s1, -1
                                        ; implicit-def: $vgpr30_vgpr31
                                        ; implicit-def: $vgpr32_vgpr33
	s_delay_alu instid0(VALU_DEP_3) | instskip(SKIP_1) | instid1(VALU_DEP_3)
	v_cndmask_b32_e32 v27, v23, v27, vcc_lo
	v_cmp_gt_f64_e32 vcc_lo, 0, v[24:25]
	v_dual_cndmask_b32 v29, v25, v28 :: v_dual_mov_b32 v28, v24
	s_and_not1_b32 vcc_lo, exec_lo, s6
	s_delay_alu instid0(VALU_DEP_1)
	v_cmp_ge_f64_e64 s0, v[26:27], v[28:29]
	s_cbranch_vccnz .LBB73_184
; %bb.175:                              ;   in Loop: Header=BB73_114 Depth=1
                                        ; implicit-def: $vgpr30_vgpr31
                                        ; implicit-def: $vgpr38_vgpr39
	s_and_saveexec_b32 s1, s0
	s_delay_alu instid0(SALU_CYCLE_1)
	s_xor_b32 s18, exec_lo, s1
	s_cbranch_execz .LBB73_181
; %bb.176:                              ;   in Loop: Header=BB73_114 Depth=1
	v_cmp_neq_f64_e32 vcc_lo, 0, v[22:23]
	v_cmp_neq_f64_e64 s1, 0, v[24:25]
                                        ; implicit-def: $vgpr30_vgpr31
                                        ; implicit-def: $vgpr38_vgpr39
	s_or_b32 s1, vcc_lo, s1
	s_delay_alu instid0(SALU_CYCLE_1) | instskip(NEXT) | instid1(SALU_CYCLE_1)
	s_and_saveexec_b32 s19, s1
	s_xor_b32 s1, exec_lo, s19
	s_cbranch_execz .LBB73_178
; %bb.177:                              ;   in Loop: Header=BB73_114 Depth=1
	v_div_scale_f64 v[30:31], null, v[22:23], v[22:23], v[24:25]
	v_div_scale_f64 v[40:41], vcc_lo, v[24:25], v[22:23], v[24:25]
	s_delay_alu instid0(VALU_DEP_2) | instskip(SKIP_1) | instid1(TRANS32_DEP_1)
	v_rcp_f64_e32 v[32:33], v[30:31]
	v_nop
	v_fma_f64 v[38:39], -v[30:31], v[32:33], 1.0
	s_delay_alu instid0(VALU_DEP_1) | instskip(NEXT) | instid1(VALU_DEP_1)
	v_fmac_f64_e32 v[32:33], v[32:33], v[38:39]
	v_fma_f64 v[38:39], -v[30:31], v[32:33], 1.0
	s_delay_alu instid0(VALU_DEP_1) | instskip(NEXT) | instid1(VALU_DEP_1)
	v_fmac_f64_e32 v[32:33], v[32:33], v[38:39]
	v_mul_f64_e32 v[38:39], v[40:41], v[32:33]
	s_delay_alu instid0(VALU_DEP_1) | instskip(NEXT) | instid1(VALU_DEP_1)
	v_fma_f64 v[30:31], -v[30:31], v[38:39], v[40:41]
	v_div_fmas_f64 v[30:31], v[30:31], v[32:33], v[38:39]
	s_delay_alu instid0(VALU_DEP_1) | instskip(NEXT) | instid1(VALU_DEP_1)
	v_div_fixup_f64 v[30:31], v[30:31], v[22:23], v[24:25]
	v_fma_f64 v[32:33], v[24:25], v[30:31], v[22:23]
	s_delay_alu instid0(VALU_DEP_1) | instskip(SKIP_1) | instid1(VALU_DEP_2)
	v_div_scale_f64 v[38:39], null, v[32:33], v[32:33], 1.0
	v_div_scale_f64 v[48:49], vcc_lo, 1.0, v[32:33], 1.0
	v_rcp_f64_e32 v[40:41], v[38:39]
	v_nop
	s_delay_alu instid0(TRANS32_DEP_1) | instskip(NEXT) | instid1(VALU_DEP_1)
	v_fma_f64 v[46:47], -v[38:39], v[40:41], 1.0
	v_fmac_f64_e32 v[40:41], v[40:41], v[46:47]
	s_delay_alu instid0(VALU_DEP_1) | instskip(NEXT) | instid1(VALU_DEP_1)
	v_fma_f64 v[46:47], -v[38:39], v[40:41], 1.0
	v_fmac_f64_e32 v[40:41], v[40:41], v[46:47]
	s_delay_alu instid0(VALU_DEP_1) | instskip(NEXT) | instid1(VALU_DEP_1)
	v_mul_f64_e32 v[46:47], v[48:49], v[40:41]
	v_fma_f64 v[38:39], -v[38:39], v[46:47], v[48:49]
	s_delay_alu instid0(VALU_DEP_1) | instskip(SKIP_2) | instid1(VALU_DEP_3)
	v_div_fmas_f64 v[38:39], v[38:39], v[40:41], v[46:47]
	v_fma_f64 v[40:41], v[20:21], v[30:31], v[18:19]
	v_fma_f64 v[30:31], -v[18:19], v[30:31], v[20:21]
	v_div_fixup_f64 v[32:33], v[38:39], v[32:33], 1.0
	s_delay_alu instid0(VALU_DEP_1) | instskip(NEXT) | instid1(VALU_DEP_3)
	v_mul_f64_e32 v[38:39], v[40:41], v[32:33]
	v_mul_f64_e32 v[30:31], v[30:31], v[32:33]
.LBB73_178:                             ;   in Loop: Header=BB73_114 Depth=1
	s_and_not1_saveexec_b32 s19, s1
	s_cbranch_execz .LBB73_180
; %bb.179:                              ;   in Loop: Header=BB73_114 Depth=1
	v_div_scale_f64 v[30:31], null, v[26:27], v[26:27], v[18:19]
	v_div_scale_f64 v[32:33], null, v[28:29], v[28:29], v[20:21]
	v_div_scale_f64 v[60:61], vcc_lo, v[18:19], v[26:27], v[18:19]
	s_delay_alu instid0(VALU_DEP_3) | instskip(NEXT) | instid1(VALU_DEP_2)
	v_rcp_f64_e32 v[38:39], v[30:31]
	v_rcp_f64_e32 v[40:41], v[32:33]
	s_delay_alu instid0(TRANS32_DEP_2) | instskip(NEXT) | instid1(TRANS32_DEP_1)
	v_fma_f64 v[46:47], -v[30:31], v[38:39], 1.0
	v_fma_f64 v[48:49], -v[32:33], v[40:41], 1.0
	s_delay_alu instid0(VALU_DEP_2) | instskip(NEXT) | instid1(VALU_DEP_2)
	v_fmac_f64_e32 v[38:39], v[38:39], v[46:47]
	v_fmac_f64_e32 v[40:41], v[40:41], v[48:49]
	s_delay_alu instid0(VALU_DEP_2) | instskip(NEXT) | instid1(VALU_DEP_2)
	v_fma_f64 v[46:47], -v[30:31], v[38:39], 1.0
	v_fma_f64 v[48:49], -v[32:33], v[40:41], 1.0
	s_delay_alu instid0(VALU_DEP_2) | instskip(SKIP_1) | instid1(VALU_DEP_3)
	v_fmac_f64_e32 v[38:39], v[38:39], v[46:47]
	v_div_scale_f64 v[46:47], s1, v[20:21], v[28:29], v[20:21]
	v_fmac_f64_e32 v[40:41], v[40:41], v[48:49]
	s_delay_alu instid0(VALU_DEP_3) | instskip(NEXT) | instid1(VALU_DEP_2)
	v_mul_f64_e32 v[48:49], v[60:61], v[38:39]
	v_mul_f64_e32 v[62:63], v[46:47], v[40:41]
	s_delay_alu instid0(VALU_DEP_2) | instskip(NEXT) | instid1(VALU_DEP_2)
	v_fma_f64 v[30:31], -v[30:31], v[48:49], v[60:61]
	v_fma_f64 v[32:33], -v[32:33], v[62:63], v[46:47]
	s_delay_alu instid0(VALU_DEP_2) | instskip(SKIP_1) | instid1(VALU_DEP_2)
	v_div_fmas_f64 v[30:31], v[30:31], v[38:39], v[48:49]
	s_mov_b32 vcc_lo, s1
	v_div_fmas_f64 v[32:33], v[32:33], v[40:41], v[62:63]
	s_delay_alu instid0(VALU_DEP_2) | instskip(NEXT) | instid1(VALU_DEP_2)
	v_div_fixup_f64 v[38:39], v[30:31], v[26:27], v[18:19]
	v_div_fixup_f64 v[30:31], v[32:33], v[28:29], v[20:21]
.LBB73_180:                             ;   in Loop: Header=BB73_114 Depth=1
	s_or_b32 exec_lo, exec_lo, s19
.LBB73_181:                             ;   in Loop: Header=BB73_114 Depth=1
	s_and_not1_saveexec_b32 s1, s18
	s_cbranch_execz .LBB73_183
; %bb.182:                              ;   in Loop: Header=BB73_114 Depth=1
	v_div_scale_f64 v[30:31], null, v[24:25], v[24:25], v[22:23]
	v_div_scale_f64 v[40:41], vcc_lo, v[22:23], v[24:25], v[22:23]
	s_delay_alu instid0(VALU_DEP_2) | instskip(SKIP_1) | instid1(TRANS32_DEP_1)
	v_rcp_f64_e32 v[32:33], v[30:31]
	v_nop
	v_fma_f64 v[38:39], -v[30:31], v[32:33], 1.0
	s_delay_alu instid0(VALU_DEP_1) | instskip(NEXT) | instid1(VALU_DEP_1)
	v_fmac_f64_e32 v[32:33], v[32:33], v[38:39]
	v_fma_f64 v[38:39], -v[30:31], v[32:33], 1.0
	s_delay_alu instid0(VALU_DEP_1) | instskip(NEXT) | instid1(VALU_DEP_1)
	v_fmac_f64_e32 v[32:33], v[32:33], v[38:39]
	v_mul_f64_e32 v[38:39], v[40:41], v[32:33]
	s_delay_alu instid0(VALU_DEP_1) | instskip(NEXT) | instid1(VALU_DEP_1)
	v_fma_f64 v[30:31], -v[30:31], v[38:39], v[40:41]
	v_div_fmas_f64 v[30:31], v[30:31], v[32:33], v[38:39]
	s_delay_alu instid0(VALU_DEP_1) | instskip(NEXT) | instid1(VALU_DEP_1)
	v_div_fixup_f64 v[30:31], v[30:31], v[24:25], v[22:23]
	v_fma_f64 v[32:33], v[22:23], v[30:31], v[24:25]
	s_delay_alu instid0(VALU_DEP_1) | instskip(SKIP_1) | instid1(VALU_DEP_2)
	v_div_scale_f64 v[38:39], null, v[32:33], v[32:33], 1.0
	v_div_scale_f64 v[48:49], vcc_lo, 1.0, v[32:33], 1.0
	v_rcp_f64_e32 v[40:41], v[38:39]
	v_nop
	s_delay_alu instid0(TRANS32_DEP_1) | instskip(NEXT) | instid1(VALU_DEP_1)
	v_fma_f64 v[46:47], -v[38:39], v[40:41], 1.0
	v_fmac_f64_e32 v[40:41], v[40:41], v[46:47]
	s_delay_alu instid0(VALU_DEP_1) | instskip(NEXT) | instid1(VALU_DEP_1)
	v_fma_f64 v[46:47], -v[38:39], v[40:41], 1.0
	v_fmac_f64_e32 v[40:41], v[40:41], v[46:47]
	s_delay_alu instid0(VALU_DEP_1) | instskip(NEXT) | instid1(VALU_DEP_1)
	v_mul_f64_e32 v[46:47], v[48:49], v[40:41]
	v_fma_f64 v[38:39], -v[38:39], v[46:47], v[48:49]
	s_delay_alu instid0(VALU_DEP_1) | instskip(SKIP_2) | instid1(VALU_DEP_3)
	v_div_fmas_f64 v[38:39], v[38:39], v[40:41], v[46:47]
	v_fma_f64 v[40:41], v[18:19], v[30:31], v[20:21]
	v_fma_f64 v[30:31], v[20:21], v[30:31], -v[18:19]
	v_div_fixup_f64 v[32:33], v[38:39], v[32:33], 1.0
	s_delay_alu instid0(VALU_DEP_1) | instskip(NEXT) | instid1(VALU_DEP_3)
	v_mul_f64_e32 v[38:39], v[40:41], v[32:33]
	v_mul_f64_e32 v[30:31], v[30:31], v[32:33]
.LBB73_183:                             ;   in Loop: Header=BB73_114 Depth=1
	s_or_b32 exec_lo, exec_lo, s1
	s_delay_alu instid0(VALU_DEP_1) | instskip(SKIP_2) | instid1(VALU_DEP_2)
	v_mul_f64_e32 v[32:33], s[10:11], v[30:31]
	v_mul_f64_e32 v[30:31], s[8:9], v[30:31]
	s_mov_b32 s1, 0
	v_fma_f64 v[32:33], s[8:9], v[38:39], -v[32:33]
	s_delay_alu instid0(VALU_DEP_2)
	v_fmac_f64_e32 v[30:31], s[10:11], v[38:39]
.LBB73_184:                             ;   in Loop: Header=BB73_114 Depth=1
	s_and_b32 vcc_lo, exec_lo, s1
	s_cbranch_vccz .LBB73_113
; %bb.185:                              ;   in Loop: Header=BB73_114 Depth=1
                                        ; implicit-def: $vgpr30_vgpr31
                                        ; implicit-def: $vgpr32_vgpr33
	s_and_saveexec_b32 s1, s0
	s_delay_alu instid0(SALU_CYCLE_1)
	s_xor_b32 s1, exec_lo, s1
	s_cbranch_execz .LBB73_191
; %bb.186:                              ;   in Loop: Header=BB73_114 Depth=1
	v_cmp_neq_f64_e32 vcc_lo, 0, v[22:23]
	v_cmp_neq_f64_e64 s0, 0, v[24:25]
                                        ; implicit-def: $vgpr30_vgpr31
                                        ; implicit-def: $vgpr32_vgpr33
	s_or_b32 s0, vcc_lo, s0
	s_delay_alu instid0(SALU_CYCLE_1) | instskip(NEXT) | instid1(SALU_CYCLE_1)
	s_and_saveexec_b32 s18, s0
	s_xor_b32 s0, exec_lo, s18
	s_cbranch_execz .LBB73_188
; %bb.187:                              ;   in Loop: Header=BB73_114 Depth=1
	v_div_scale_f64 v[26:27], null, v[22:23], v[22:23], v[24:25]
	v_div_scale_f64 v[32:33], vcc_lo, v[24:25], v[22:23], v[24:25]
	s_delay_alu instid0(VALU_DEP_2) | instskip(SKIP_1) | instid1(TRANS32_DEP_1)
	v_rcp_f64_e32 v[28:29], v[26:27]
	v_nop
	v_fma_f64 v[30:31], -v[26:27], v[28:29], 1.0
	s_delay_alu instid0(VALU_DEP_1) | instskip(NEXT) | instid1(VALU_DEP_1)
	v_fmac_f64_e32 v[28:29], v[28:29], v[30:31]
	v_fma_f64 v[30:31], -v[26:27], v[28:29], 1.0
	s_delay_alu instid0(VALU_DEP_1) | instskip(NEXT) | instid1(VALU_DEP_1)
	v_fmac_f64_e32 v[28:29], v[28:29], v[30:31]
	v_mul_f64_e32 v[30:31], v[32:33], v[28:29]
	s_delay_alu instid0(VALU_DEP_1) | instskip(NEXT) | instid1(VALU_DEP_1)
	v_fma_f64 v[26:27], -v[26:27], v[30:31], v[32:33]
	v_div_fmas_f64 v[26:27], v[26:27], v[28:29], v[30:31]
	s_delay_alu instid0(VALU_DEP_1) | instskip(NEXT) | instid1(VALU_DEP_1)
	v_div_fixup_f64 v[26:27], v[26:27], v[22:23], v[24:25]
	v_fmac_f64_e32 v[22:23], v[24:25], v[26:27]
	s_delay_alu instid0(VALU_DEP_1) | instskip(SKIP_1) | instid1(VALU_DEP_2)
	v_div_scale_f64 v[24:25], null, v[22:23], v[22:23], 1.0
	v_div_scale_f64 v[32:33], vcc_lo, 1.0, v[22:23], 1.0
	v_rcp_f64_e32 v[28:29], v[24:25]
	v_nop
	s_delay_alu instid0(TRANS32_DEP_1) | instskip(NEXT) | instid1(VALU_DEP_1)
	v_fma_f64 v[30:31], -v[24:25], v[28:29], 1.0
	v_fmac_f64_e32 v[28:29], v[28:29], v[30:31]
	s_delay_alu instid0(VALU_DEP_1) | instskip(NEXT) | instid1(VALU_DEP_1)
	v_fma_f64 v[30:31], -v[24:25], v[28:29], 1.0
	v_fmac_f64_e32 v[28:29], v[28:29], v[30:31]
	s_delay_alu instid0(VALU_DEP_1) | instskip(NEXT) | instid1(VALU_DEP_1)
	v_mul_f64_e32 v[30:31], v[32:33], v[28:29]
	v_fma_f64 v[24:25], -v[24:25], v[30:31], v[32:33]
	s_delay_alu instid0(VALU_DEP_1) | instskip(SKIP_2) | instid1(VALU_DEP_3)
	v_div_fmas_f64 v[24:25], v[24:25], v[28:29], v[30:31]
	v_fma_f64 v[28:29], v[20:21], v[26:27], v[18:19]
	v_fma_f64 v[18:19], -v[18:19], v[26:27], v[20:21]
                                        ; implicit-def: $vgpr26_vgpr27
	v_div_fixup_f64 v[22:23], v[24:25], v[22:23], 1.0
	s_delay_alu instid0(VALU_DEP_1) | instskip(NEXT) | instid1(VALU_DEP_3)
	v_mul_f64_e32 v[32:33], v[28:29], v[22:23]
	v_mul_f64_e32 v[30:31], v[18:19], v[22:23]
                                        ; implicit-def: $vgpr18_vgpr19
                                        ; implicit-def: $vgpr28_vgpr29
.LBB73_188:                             ;   in Loop: Header=BB73_114 Depth=1
	s_and_not1_saveexec_b32 s18, s0
	s_cbranch_execz .LBB73_190
; %bb.189:                              ;   in Loop: Header=BB73_114 Depth=1
	v_div_scale_f64 v[22:23], null, v[26:27], v[26:27], v[18:19]
	v_div_scale_f64 v[24:25], null, v[28:29], v[28:29], v[20:21]
	v_div_scale_f64 v[46:47], vcc_lo, v[18:19], v[26:27], v[18:19]
	s_delay_alu instid0(VALU_DEP_3) | instskip(NEXT) | instid1(VALU_DEP_2)
	v_rcp_f64_e32 v[30:31], v[22:23]
	v_rcp_f64_e32 v[32:33], v[24:25]
	s_delay_alu instid0(TRANS32_DEP_2) | instskip(NEXT) | instid1(TRANS32_DEP_1)
	v_fma_f64 v[38:39], -v[22:23], v[30:31], 1.0
	v_fma_f64 v[40:41], -v[24:25], v[32:33], 1.0
	s_delay_alu instid0(VALU_DEP_2) | instskip(NEXT) | instid1(VALU_DEP_2)
	v_fmac_f64_e32 v[30:31], v[30:31], v[38:39]
	v_fmac_f64_e32 v[32:33], v[32:33], v[40:41]
	s_delay_alu instid0(VALU_DEP_2) | instskip(NEXT) | instid1(VALU_DEP_2)
	v_fma_f64 v[38:39], -v[22:23], v[30:31], 1.0
	v_fma_f64 v[40:41], -v[24:25], v[32:33], 1.0
	s_delay_alu instid0(VALU_DEP_2) | instskip(SKIP_1) | instid1(VALU_DEP_3)
	v_fmac_f64_e32 v[30:31], v[30:31], v[38:39]
	v_div_scale_f64 v[38:39], s0, v[20:21], v[28:29], v[20:21]
	v_fmac_f64_e32 v[32:33], v[32:33], v[40:41]
	s_delay_alu instid0(VALU_DEP_3) | instskip(NEXT) | instid1(VALU_DEP_2)
	v_mul_f64_e32 v[40:41], v[46:47], v[30:31]
	v_mul_f64_e32 v[48:49], v[38:39], v[32:33]
	s_delay_alu instid0(VALU_DEP_2) | instskip(NEXT) | instid1(VALU_DEP_2)
	v_fma_f64 v[22:23], -v[22:23], v[40:41], v[46:47]
	v_fma_f64 v[24:25], -v[24:25], v[48:49], v[38:39]
	s_delay_alu instid0(VALU_DEP_2) | instskip(SKIP_1) | instid1(VALU_DEP_2)
	v_div_fmas_f64 v[22:23], v[22:23], v[30:31], v[40:41]
	s_mov_b32 vcc_lo, s0
	v_div_fmas_f64 v[24:25], v[24:25], v[32:33], v[48:49]
	s_delay_alu instid0(VALU_DEP_2) | instskip(NEXT) | instid1(VALU_DEP_2)
	v_div_fixup_f64 v[32:33], v[22:23], v[26:27], v[18:19]
	v_div_fixup_f64 v[30:31], v[24:25], v[28:29], v[20:21]
.LBB73_190:                             ;   in Loop: Header=BB73_114 Depth=1
	s_or_b32 exec_lo, exec_lo, s18
                                        ; implicit-def: $vgpr24_vgpr25
                                        ; implicit-def: $vgpr18_vgpr19
.LBB73_191:                             ;   in Loop: Header=BB73_114 Depth=1
	s_and_not1_saveexec_b32 s0, s1
	s_cbranch_execz .LBB73_112
; %bb.192:                              ;   in Loop: Header=BB73_114 Depth=1
	v_div_scale_f64 v[26:27], null, v[24:25], v[24:25], v[22:23]
	v_div_scale_f64 v[32:33], vcc_lo, v[22:23], v[24:25], v[22:23]
	s_delay_alu instid0(VALU_DEP_2) | instskip(SKIP_1) | instid1(TRANS32_DEP_1)
	v_rcp_f64_e32 v[28:29], v[26:27]
	v_nop
	v_fma_f64 v[30:31], -v[26:27], v[28:29], 1.0
	s_delay_alu instid0(VALU_DEP_1) | instskip(NEXT) | instid1(VALU_DEP_1)
	v_fmac_f64_e32 v[28:29], v[28:29], v[30:31]
	v_fma_f64 v[30:31], -v[26:27], v[28:29], 1.0
	s_delay_alu instid0(VALU_DEP_1) | instskip(NEXT) | instid1(VALU_DEP_1)
	v_fmac_f64_e32 v[28:29], v[28:29], v[30:31]
	v_mul_f64_e32 v[30:31], v[32:33], v[28:29]
	s_delay_alu instid0(VALU_DEP_1) | instskip(NEXT) | instid1(VALU_DEP_1)
	v_fma_f64 v[26:27], -v[26:27], v[30:31], v[32:33]
	v_div_fmas_f64 v[26:27], v[26:27], v[28:29], v[30:31]
	s_delay_alu instid0(VALU_DEP_1) | instskip(NEXT) | instid1(VALU_DEP_1)
	v_div_fixup_f64 v[26:27], v[26:27], v[24:25], v[22:23]
	v_fmac_f64_e32 v[24:25], v[22:23], v[26:27]
	s_delay_alu instid0(VALU_DEP_1) | instskip(SKIP_1) | instid1(VALU_DEP_2)
	v_div_scale_f64 v[22:23], null, v[24:25], v[24:25], 1.0
	v_div_scale_f64 v[32:33], vcc_lo, 1.0, v[24:25], 1.0
	v_rcp_f64_e32 v[28:29], v[22:23]
	v_nop
	s_delay_alu instid0(TRANS32_DEP_1) | instskip(NEXT) | instid1(VALU_DEP_1)
	v_fma_f64 v[30:31], -v[22:23], v[28:29], 1.0
	v_fmac_f64_e32 v[28:29], v[28:29], v[30:31]
	s_delay_alu instid0(VALU_DEP_1) | instskip(NEXT) | instid1(VALU_DEP_1)
	v_fma_f64 v[30:31], -v[22:23], v[28:29], 1.0
	v_fmac_f64_e32 v[28:29], v[28:29], v[30:31]
	s_delay_alu instid0(VALU_DEP_1) | instskip(NEXT) | instid1(VALU_DEP_1)
	v_mul_f64_e32 v[30:31], v[32:33], v[28:29]
	v_fma_f64 v[22:23], -v[22:23], v[30:31], v[32:33]
	s_delay_alu instid0(VALU_DEP_1) | instskip(SKIP_2) | instid1(VALU_DEP_3)
	v_div_fmas_f64 v[22:23], v[22:23], v[28:29], v[30:31]
	v_fma_f64 v[28:29], v[18:19], v[26:27], v[20:21]
	v_fma_f64 v[18:19], v[20:21], v[26:27], -v[18:19]
	v_div_fixup_f64 v[22:23], v[22:23], v[24:25], 1.0
	s_delay_alu instid0(VALU_DEP_1) | instskip(NEXT) | instid1(VALU_DEP_3)
	v_mul_f64_e32 v[32:33], v[28:29], v[22:23]
	v_mul_f64_e32 v[30:31], v[18:19], v[22:23]
	s_branch .LBB73_112
.LBB73_193:
	s_sendmsg sendmsg(MSG_DEALLOC_VGPRS)
	s_endpgm
	.section	.rodata,"a",@progbits
	.p2align	6, 0x0
	.amdhsa_kernel _ZN2at6native12_GLOBAL__N_125multi_tensor_apply_kernelINS1_18TensorListMetadataILi3EEENS1_24PointwiseOpScalarFunctorIN3c107complexIdEELi3ELi3ELi0EEEJSt7dividesIS8_ES8_EEEvT_T0_DpT1_
		.amdhsa_group_segment_fixed_size 0
		.amdhsa_private_segment_fixed_size 0
		.amdhsa_kernarg_size 3424
		.amdhsa_user_sgpr_count 2
		.amdhsa_user_sgpr_dispatch_ptr 0
		.amdhsa_user_sgpr_queue_ptr 0
		.amdhsa_user_sgpr_kernarg_segment_ptr 1
		.amdhsa_user_sgpr_dispatch_id 0
		.amdhsa_user_sgpr_kernarg_preload_length 0
		.amdhsa_user_sgpr_kernarg_preload_offset 0
		.amdhsa_user_sgpr_private_segment_size 0
		.amdhsa_wavefront_size32 1
		.amdhsa_uses_dynamic_stack 0
		.amdhsa_enable_private_segment 0
		.amdhsa_system_sgpr_workgroup_id_x 1
		.amdhsa_system_sgpr_workgroup_id_y 0
		.amdhsa_system_sgpr_workgroup_id_z 0
		.amdhsa_system_sgpr_workgroup_info 0
		.amdhsa_system_vgpr_workitem_id 0
		.amdhsa_next_free_vgpr 82
		.amdhsa_next_free_sgpr 34
		.amdhsa_named_barrier_count 0
		.amdhsa_reserve_vcc 1
		.amdhsa_float_round_mode_32 0
		.amdhsa_float_round_mode_16_64 0
		.amdhsa_float_denorm_mode_32 3
		.amdhsa_float_denorm_mode_16_64 3
		.amdhsa_fp16_overflow 0
		.amdhsa_memory_ordered 1
		.amdhsa_forward_progress 1
		.amdhsa_inst_pref_size 108
		.amdhsa_round_robin_scheduling 0
		.amdhsa_exception_fp_ieee_invalid_op 0
		.amdhsa_exception_fp_denorm_src 0
		.amdhsa_exception_fp_ieee_div_zero 0
		.amdhsa_exception_fp_ieee_overflow 0
		.amdhsa_exception_fp_ieee_underflow 0
		.amdhsa_exception_fp_ieee_inexact 0
		.amdhsa_exception_int_div_zero 0
	.end_amdhsa_kernel
	.section	.text._ZN2at6native12_GLOBAL__N_125multi_tensor_apply_kernelINS1_18TensorListMetadataILi3EEENS1_24PointwiseOpScalarFunctorIN3c107complexIdEELi3ELi3ELi0EEEJSt7dividesIS8_ES8_EEEvT_T0_DpT1_,"axG",@progbits,_ZN2at6native12_GLOBAL__N_125multi_tensor_apply_kernelINS1_18TensorListMetadataILi3EEENS1_24PointwiseOpScalarFunctorIN3c107complexIdEELi3ELi3ELi0EEEJSt7dividesIS8_ES8_EEEvT_T0_DpT1_,comdat
.Lfunc_end73:
	.size	_ZN2at6native12_GLOBAL__N_125multi_tensor_apply_kernelINS1_18TensorListMetadataILi3EEENS1_24PointwiseOpScalarFunctorIN3c107complexIdEELi3ELi3ELi0EEEJSt7dividesIS8_ES8_EEEvT_T0_DpT1_, .Lfunc_end73-_ZN2at6native12_GLOBAL__N_125multi_tensor_apply_kernelINS1_18TensorListMetadataILi3EEENS1_24PointwiseOpScalarFunctorIN3c107complexIdEELi3ELi3ELi0EEEJSt7dividesIS8_ES8_EEEvT_T0_DpT1_
                                        ; -- End function
	.set _ZN2at6native12_GLOBAL__N_125multi_tensor_apply_kernelINS1_18TensorListMetadataILi3EEENS1_24PointwiseOpScalarFunctorIN3c107complexIdEELi3ELi3ELi0EEEJSt7dividesIS8_ES8_EEEvT_T0_DpT1_.num_vgpr, 82
	.set _ZN2at6native12_GLOBAL__N_125multi_tensor_apply_kernelINS1_18TensorListMetadataILi3EEENS1_24PointwiseOpScalarFunctorIN3c107complexIdEELi3ELi3ELi0EEEJSt7dividesIS8_ES8_EEEvT_T0_DpT1_.num_agpr, 0
	.set _ZN2at6native12_GLOBAL__N_125multi_tensor_apply_kernelINS1_18TensorListMetadataILi3EEENS1_24PointwiseOpScalarFunctorIN3c107complexIdEELi3ELi3ELi0EEEJSt7dividesIS8_ES8_EEEvT_T0_DpT1_.numbered_sgpr, 34
	.set _ZN2at6native12_GLOBAL__N_125multi_tensor_apply_kernelINS1_18TensorListMetadataILi3EEENS1_24PointwiseOpScalarFunctorIN3c107complexIdEELi3ELi3ELi0EEEJSt7dividesIS8_ES8_EEEvT_T0_DpT1_.num_named_barrier, 0
	.set _ZN2at6native12_GLOBAL__N_125multi_tensor_apply_kernelINS1_18TensorListMetadataILi3EEENS1_24PointwiseOpScalarFunctorIN3c107complexIdEELi3ELi3ELi0EEEJSt7dividesIS8_ES8_EEEvT_T0_DpT1_.private_seg_size, 0
	.set _ZN2at6native12_GLOBAL__N_125multi_tensor_apply_kernelINS1_18TensorListMetadataILi3EEENS1_24PointwiseOpScalarFunctorIN3c107complexIdEELi3ELi3ELi0EEEJSt7dividesIS8_ES8_EEEvT_T0_DpT1_.uses_vcc, 1
	.set _ZN2at6native12_GLOBAL__N_125multi_tensor_apply_kernelINS1_18TensorListMetadataILi3EEENS1_24PointwiseOpScalarFunctorIN3c107complexIdEELi3ELi3ELi0EEEJSt7dividesIS8_ES8_EEEvT_T0_DpT1_.uses_flat_scratch, 0
	.set _ZN2at6native12_GLOBAL__N_125multi_tensor_apply_kernelINS1_18TensorListMetadataILi3EEENS1_24PointwiseOpScalarFunctorIN3c107complexIdEELi3ELi3ELi0EEEJSt7dividesIS8_ES8_EEEvT_T0_DpT1_.has_dyn_sized_stack, 0
	.set _ZN2at6native12_GLOBAL__N_125multi_tensor_apply_kernelINS1_18TensorListMetadataILi3EEENS1_24PointwiseOpScalarFunctorIN3c107complexIdEELi3ELi3ELi0EEEJSt7dividesIS8_ES8_EEEvT_T0_DpT1_.has_recursion, 0
	.set _ZN2at6native12_GLOBAL__N_125multi_tensor_apply_kernelINS1_18TensorListMetadataILi3EEENS1_24PointwiseOpScalarFunctorIN3c107complexIdEELi3ELi3ELi0EEEJSt7dividesIS8_ES8_EEEvT_T0_DpT1_.has_indirect_call, 0
	.section	.AMDGPU.csdata,"",@progbits
; Kernel info:
; codeLenInByte = 13824
; TotalNumSgprs: 36
; NumVgprs: 82
; ScratchSize: 0
; MemoryBound: 1
; FloatMode: 240
; IeeeMode: 1
; LDSByteSize: 0 bytes/workgroup (compile time only)
; SGPRBlocks: 0
; VGPRBlocks: 5
; NumSGPRsForWavesPerEU: 36
; NumVGPRsForWavesPerEU: 82
; NamedBarCnt: 0
; Occupancy: 10
; WaveLimiterHint : 0
; COMPUTE_PGM_RSRC2:SCRATCH_EN: 0
; COMPUTE_PGM_RSRC2:USER_SGPR: 2
; COMPUTE_PGM_RSRC2:TRAP_HANDLER: 0
; COMPUTE_PGM_RSRC2:TGID_X_EN: 1
; COMPUTE_PGM_RSRC2:TGID_Y_EN: 0
; COMPUTE_PGM_RSRC2:TGID_Z_EN: 0
; COMPUTE_PGM_RSRC2:TIDIG_COMP_CNT: 0
	.section	.text._ZN2at6native12_GLOBAL__N_125multi_tensor_apply_kernelINS1_18TensorListMetadataILi3EEENS1_24PointwiseOpScalarFunctorIN3c107complexIfEELi3ELi3ELi0EEEJSt7dividesIS8_ES8_EEEvT_T0_DpT1_,"axG",@progbits,_ZN2at6native12_GLOBAL__N_125multi_tensor_apply_kernelINS1_18TensorListMetadataILi3EEENS1_24PointwiseOpScalarFunctorIN3c107complexIfEELi3ELi3ELi0EEEJSt7dividesIS8_ES8_EEEvT_T0_DpT1_,comdat
	.globl	_ZN2at6native12_GLOBAL__N_125multi_tensor_apply_kernelINS1_18TensorListMetadataILi3EEENS1_24PointwiseOpScalarFunctorIN3c107complexIfEELi3ELi3ELi0EEEJSt7dividesIS8_ES8_EEEvT_T0_DpT1_ ; -- Begin function _ZN2at6native12_GLOBAL__N_125multi_tensor_apply_kernelINS1_18TensorListMetadataILi3EEENS1_24PointwiseOpScalarFunctorIN3c107complexIfEELi3ELi3ELi0EEEJSt7dividesIS8_ES8_EEEvT_T0_DpT1_
	.p2align	8
	.type	_ZN2at6native12_GLOBAL__N_125multi_tensor_apply_kernelINS1_18TensorListMetadataILi3EEENS1_24PointwiseOpScalarFunctorIN3c107complexIfEELi3ELi3ELi0EEEJSt7dividesIS8_ES8_EEEvT_T0_DpT1_,@function
_ZN2at6native12_GLOBAL__N_125multi_tensor_apply_kernelINS1_18TensorListMetadataILi3EEENS1_24PointwiseOpScalarFunctorIN3c107complexIfEELi3ELi3ELi0EEEJSt7dividesIS8_ES8_EEEvT_T0_DpT1_: ; @_ZN2at6native12_GLOBAL__N_125multi_tensor_apply_kernelINS1_18TensorListMetadataILi3EEENS1_24PointwiseOpScalarFunctorIN3c107complexIfEELi3ELi3ELi0EEEJSt7dividesIS8_ES8_EEEvT_T0_DpT1_
; %bb.0:
	s_bfe_u32 s2, ttmp6, 0x4000c
	s_and_b32 s3, ttmp6, 15
	s_add_co_i32 s2, s2, 1
	s_getreg_b32 s4, hwreg(HW_REG_IB_STS2, 6, 4)
	s_mul_i32 s2, ttmp9, s2
	s_mov_b32 s19, 0
	s_add_co_i32 s3, s3, s2
	s_cmp_eq_u32 s4, 0
	s_load_b64 s[12:13], s[0:1], 0xc50
	s_cselect_b32 s18, ttmp9, s3
	s_delay_alu instid0(SALU_CYCLE_1) | instskip(SKIP_1) | instid1(SALU_CYCLE_1)
	s_add_nc_u64 s[2:3], s[0:1], s[18:19]
	s_mul_u64 s[4:5], s[18:19], 3
	s_add_nc_u64 s[2:3], s[2:3], s[4:5]
	s_clause 0x1
	s_load_b32 s20, s[2:3], 0x740
	s_load_u8 s8, s[0:1], s18 offset:0x600
	s_wait_kmcnt 0x0
	s_clause 0x3
	s_load_b64 s[2:3], s[0:1], s8 offset:0x180 scale_offset
	s_load_b64 s[4:5], s[0:1], s8 offset:0x300 scale_offset
	;; [unrolled: 1-line block ×4, first 2 shown]
	s_ashr_i32 s21, s20, 31
	s_delay_alu instid0(SALU_CYCLE_1)
	s_lshl_b64 s[16:17], s[20:21], 19
	s_wait_kmcnt 0x0
	s_add_nc_u64 s[8:9], s[2:3], s[16:17]
	s_add_nc_u64 s[10:11], s[4:5], s[16:17]
	;; [unrolled: 1-line block ×3, first 2 shown]
	s_or_b32 s18, s10, s8
	s_and_b64 s[24:25], s[14:15], 31
	s_and_b32 s18, s18, 31
	s_delay_alu instid0(SALU_CYCLE_1) | instskip(SKIP_4) | instid1(SALU_CYCLE_1)
	s_cmp_eq_u32 s18, 0
	s_cselect_b32 s26, -1, 0
	s_and_b32 s18, s22, 3
	s_lshl_b64 s[20:21], s[20:21], 16
	s_or_b64 s[18:19], s[24:25], s[18:19]
	s_cmp_eq_u64 s[18:19], 0
	s_cselect_b32 s18, -1, 0
	s_delay_alu instid0(SALU_CYCLE_1)
	s_and_b32 s24, s26, s18
	s_sub_nc_u64 s[18:19], s[22:23], s[20:21]
	s_and_b32 vcc_lo, exec_lo, s24
	s_mov_b32 s20, -1
	s_cbranch_vccnz .LBB74_109
; %bb.1:
	v_cmp_lt_i64_e64 s20, s[18:19], 1
	s_and_b32 vcc_lo, exec_lo, s20
	s_cbranch_vccnz .LBB74_108
; %bb.2:
	s_load_b32 s20, s[0:1], 0xc64
	v_min_i64 v[2:3], 0x10000, s[18:19]
	v_min_u64 v[4:5], 0x10000, s[18:19]
	v_dual_mov_b32 v1, 0 :: v_dual_lshlrev_b32 v18, 3, v0
	s_and_b32 s28, s13, 0x7fffffff
	s_mov_b32 s25, 0
	s_delay_alu instid0(VALU_DEP_1) | instskip(SKIP_3) | instid1(VALU_DEP_1)
	v_dual_mov_b32 v19, v1 :: v_dual_mov_b32 v35, v1
	s_mov_b32 s23, s25
	s_mov_b32 s29, s25
	;; [unrolled: 1-line block ×3, first 2 shown]
	v_add_nc_u64_e32 v[6:7], s[6:7], v[18:19]
	v_add_nc_u64_e32 v[8:9], s[2:3], v[18:19]
	;; [unrolled: 1-line block ×3, first 2 shown]
	s_mov_b32 s21, s25
	s_wait_kmcnt 0x0
	s_and_b32 s24, s20, 0xffff
	s_delay_alu instid0(SALU_CYCLE_1)
	s_lshl_b32 s22, s24, 1
	s_cmp_lg_u32 s28, 0
	v_add_nc_u64_e32 v[12:13], s[24:25], v[0:1]
	s_cselect_b32 s30, -1, 0
	s_cmp_neq_f32 s12, 1.0
	v_mad_nc_u64_u32 v[22:23], s24, 24, v[18:19]
	v_add_nc_u64_e32 v[16:17], s[22:23], v[0:1]
	s_mul_i32 s26, s24, 3
	s_cselect_b32 s22, -1, 0
	s_lshl_b32 s28, s24, 4
	v_lshlrev_b32_e32 v34, 3, v12
	v_add_nc_u64_e32 v[30:31], s[28:29], v[18:19]
	v_add_nc_u64_e32 v[14:15], s[26:27], v[0:1]
	s_lshl_b32 s20, s24, 2
	s_or_b32 s28, s22, s30
	v_add_nc_u64_e32 v[24:25], s[6:7], v[34:35]
	v_add_nc_u64_e32 v[18:19], s[6:7], v[22:23]
	;; [unrolled: 1-line block ×9, first 2 shown]
	s_mov_b32 s22, s13
	s_mov_b32 s23, s12
	s_lshl_b32 s24, s24, 5
	s_mov_b64 s[26:27], 0
	s_branch .LBB74_4
.LBB74_3:                               ;   in Loop: Header=BB74_4 Depth=1
	s_wait_xcnt 0x0
	s_or_b32 exec_lo, exec_lo, s2
	s_add_nc_u64 s[26:27], s[26:27], s[20:21]
	v_add_nc_u64_e32 v[6:7], s[24:25], v[6:7]
	v_cmp_ge_i64_e32 vcc_lo, s[26:27], v[2:3]
	v_add_nc_u64_e32 v[8:9], s[24:25], v[8:9]
	v_add_nc_u64_e32 v[10:11], s[24:25], v[10:11]
	;; [unrolled: 1-line block ×11, first 2 shown]
	s_cbranch_vccnz .LBB74_108
.LBB74_4:                               ; =>This Inner Loop Header: Depth=1
	v_add_nc_u64_e32 v[38:39], s[26:27], v[0:1]
	v_dual_mov_b32 v37, 0 :: v_dual_mov_b32 v36, 0
	v_dual_mov_b32 v54, 0 :: v_dual_mov_b32 v55, 0
	s_delay_alu instid0(VALU_DEP_3)
	v_cmp_lt_u64_e64 s2, v[38:39], v[4:5]
	s_and_saveexec_b32 s3, s2
	s_cbranch_execz .LBB74_6
; %bb.5:                                ;   in Loop: Header=BB74_4 Depth=1
	v_add_nc_u64_e32 v[38:39], s[16:17], v[8:9]
	v_add_nc_u64_e32 v[40:41], s[16:17], v[6:7]
	global_load_b64 v[42:43], v[38:39], off
	global_load_b64 v[36:37], v[40:41], off
	s_wait_loadcnt 0x1
	v_dual_mov_b32 v54, v43 :: v_dual_mov_b32 v55, v42
.LBB74_6:                               ;   in Loop: Header=BB74_4 Depth=1
	s_wait_xcnt 0x0
	s_or_b32 exec_lo, exec_lo, s3
	v_dual_mov_b32 v39, 0 :: v_dual_mov_b32 v61, 0
	v_mov_b32_e32 v60, 0
	s_and_saveexec_b32 s3, s2
	s_cbranch_execz .LBB74_8
; %bb.7:                                ;   in Loop: Header=BB74_4 Depth=1
	v_add_nc_u64_e32 v[40:41], s[16:17], v[10:11]
	global_load_b64 v[60:61], v[40:41], off
.LBB74_8:                               ;   in Loop: Header=BB74_4 Depth=1
	s_wait_xcnt 0x0
	s_or_b32 exec_lo, exec_lo, s3
	v_add_nc_u64_e32 v[40:41], s[26:27], v[12:13]
	v_dual_mov_b32 v38, 0 :: v_dual_mov_b32 v56, 0
	v_mov_b32_e32 v57, 0
	s_delay_alu instid0(VALU_DEP_3)
	v_cmp_lt_u64_e64 s3, v[40:41], v[4:5]
	s_and_saveexec_b32 s4, s3
	s_cbranch_execz .LBB74_10
; %bb.9:                                ;   in Loop: Header=BB74_4 Depth=1
	v_add_nc_u64_e32 v[40:41], s[16:17], v[32:33]
	v_add_nc_u64_e32 v[42:43], s[16:17], v[24:25]
	global_load_b64 v[44:45], v[40:41], off
	global_load_b64 v[38:39], v[42:43], off
	s_wait_loadcnt 0x1
	v_dual_mov_b32 v56, v45 :: v_dual_mov_b32 v57, v44
.LBB74_10:                              ;   in Loop: Header=BB74_4 Depth=1
	s_wait_xcnt 0x0
	s_or_b32 exec_lo, exec_lo, s4
	v_dual_mov_b32 v41, 0 :: v_dual_mov_b32 v59, 0
	v_mov_b32_e32 v58, 0
	s_and_saveexec_b32 s4, s3
	s_cbranch_execz .LBB74_12
; %bb.11:                               ;   in Loop: Header=BB74_4 Depth=1
	v_add_nc_u64_e32 v[42:43], s[16:17], v[34:35]
	global_load_b64 v[58:59], v[42:43], off
.LBB74_12:                              ;   in Loop: Header=BB74_4 Depth=1
	s_wait_xcnt 0x0
	s_or_b32 exec_lo, exec_lo, s4
	v_add_nc_u64_e32 v[42:43], s[26:27], v[16:17]
	v_dual_mov_b32 v40, 0 :: v_dual_mov_b32 v50, 0
	v_mov_b32_e32 v51, 0
	s_delay_alu instid0(VALU_DEP_3)
	v_cmp_lt_u64_e64 s4, v[42:43], v[4:5]
	s_and_saveexec_b32 s5, s4
	s_cbranch_execz .LBB74_14
; %bb.13:                               ;   in Loop: Header=BB74_4 Depth=1
	v_add_nc_u64_e32 v[42:43], s[16:17], v[28:29]
	v_add_nc_u64_e32 v[44:45], s[16:17], v[26:27]
	global_load_b64 v[46:47], v[42:43], off
	global_load_b64 v[40:41], v[44:45], off
	s_wait_loadcnt 0x1
	v_dual_mov_b32 v50, v47 :: v_dual_mov_b32 v51, v46
.LBB74_14:                              ;   in Loop: Header=BB74_4 Depth=1
	s_wait_xcnt 0x0
	s_or_b32 exec_lo, exec_lo, s5
	v_dual_mov_b32 v43, 0 :: v_dual_mov_b32 v53, 0
	v_mov_b32_e32 v52, 0
	s_and_saveexec_b32 s5, s4
	s_cbranch_execz .LBB74_16
; %bb.15:                               ;   in Loop: Header=BB74_4 Depth=1
	v_add_nc_u64_e32 v[44:45], s[16:17], v[30:31]
	global_load_b64 v[52:53], v[44:45], off
.LBB74_16:                              ;   in Loop: Header=BB74_4 Depth=1
	s_wait_xcnt 0x0
	s_or_b32 exec_lo, exec_lo, s5
	v_add_nc_u64_e32 v[44:45], s[26:27], v[14:15]
	v_mov_b32_e32 v42, 0
	s_delay_alu instid0(VALU_DEP_2)
	v_cmp_lt_u64_e64 s5, v[44:45], v[4:5]
	v_dual_mov_b32 v44, 0 :: v_dual_mov_b32 v45, 0
	s_and_saveexec_b32 s6, s5
	s_cbranch_execz .LBB74_18
; %bb.17:                               ;   in Loop: Header=BB74_4 Depth=1
	v_add_nc_u64_e32 v[44:45], s[16:17], v[20:21]
	v_add_nc_u64_e32 v[46:47], s[16:17], v[18:19]
	global_load_b64 v[48:49], v[44:45], off
	global_load_b64 v[42:43], v[46:47], off
	s_wait_loadcnt 0x1
	s_wait_xcnt 0x1
	v_dual_mov_b32 v44, v49 :: v_dual_mov_b32 v45, v48
.LBB74_18:                              ;   in Loop: Header=BB74_4 Depth=1
	s_wait_xcnt 0x0
	s_or_b32 exec_lo, exec_lo, s6
	v_dual_mov_b32 v47, 0 :: v_dual_mov_b32 v46, 0
	s_and_saveexec_b32 s6, s5
	s_cbranch_execz .LBB74_20
; %bb.19:                               ;   in Loop: Header=BB74_4 Depth=1
	v_add_nc_u64_e32 v[46:47], s[16:17], v[22:23]
	global_load_b64 v[46:47], v[46:47], off
.LBB74_20:                              ;   in Loop: Header=BB74_4 Depth=1
	s_wait_xcnt 0x0
	s_or_b32 exec_lo, exec_lo, s6
	s_wait_loadcnt 0x0
	v_cmp_gt_f32_e32 vcc_lo, 0, v60
	s_mov_b32 s7, -1
                                        ; implicit-def: $vgpr49
	v_cndmask_b32_e64 v63, v60, -v60, vcc_lo
	v_cmp_gt_f32_e32 vcc_lo, 0, v61
	v_cndmask_b32_e64 v64, v61, -v61, vcc_lo
	s_and_b32 vcc_lo, exec_lo, s28
	s_delay_alu instid0(VALU_DEP_1)
	v_cmp_ge_f32_e64 s6, v63, v64
	s_cbranch_vccz .LBB74_30
; %bb.21:                               ;   in Loop: Header=BB74_4 Depth=1
                                        ; implicit-def: $vgpr62
                                        ; implicit-def: $vgpr48
	s_and_saveexec_b32 s7, s6
	s_delay_alu instid0(SALU_CYCLE_1)
	s_xor_b32 s29, exec_lo, s7
	s_cbranch_execz .LBB74_27
; %bb.22:                               ;   in Loop: Header=BB74_4 Depth=1
	v_cmp_neq_f32_e32 vcc_lo, 0, v60
	v_cmp_neq_f32_e64 s7, 0, v61
                                        ; implicit-def: $vgpr62
                                        ; implicit-def: $vgpr48
	s_or_b32 s7, s7, vcc_lo
	s_delay_alu instid0(SALU_CYCLE_1) | instskip(NEXT) | instid1(SALU_CYCLE_1)
	s_and_saveexec_b32 s30, s7
	s_xor_b32 s7, exec_lo, s30
	s_cbranch_execz .LBB74_24
; %bb.23:                               ;   in Loop: Header=BB74_4 Depth=1
	v_div_scale_f32 v48, null, v60, v60, v61
	v_div_scale_f32 v65, vcc_lo, v61, v60, v61
	s_delay_alu instid0(VALU_DEP_2) | instskip(SKIP_1) | instid1(TRANS32_DEP_1)
	v_rcp_f32_e32 v49, v48
	v_nop
	v_fma_f32 v62, -v48, v49, 1.0
	s_delay_alu instid0(VALU_DEP_1) | instskip(NEXT) | instid1(VALU_DEP_1)
	v_fmac_f32_e32 v49, v62, v49
	v_mul_f32_e32 v62, v65, v49
	s_delay_alu instid0(VALU_DEP_1) | instskip(NEXT) | instid1(VALU_DEP_1)
	v_fma_f32 v66, -v48, v62, v65
	v_fmac_f32_e32 v62, v66, v49
	s_delay_alu instid0(VALU_DEP_1) | instskip(NEXT) | instid1(VALU_DEP_1)
	v_fma_f32 v48, -v48, v62, v65
	v_div_fmas_f32 v48, v48, v49, v62
	s_delay_alu instid0(VALU_DEP_1) | instskip(NEXT) | instid1(VALU_DEP_1)
	v_div_fixup_f32 v48, v48, v60, v61
	v_fma_f32 v49, v61, v48, v60
	s_delay_alu instid0(VALU_DEP_1) | instskip(SKIP_1) | instid1(VALU_DEP_2)
	v_div_scale_f32 v62, null, v49, v49, 1.0
	v_div_scale_f32 v67, vcc_lo, 1.0, v49, 1.0
	v_rcp_f32_e32 v65, v62
	v_nop
	s_delay_alu instid0(TRANS32_DEP_1) | instskip(NEXT) | instid1(VALU_DEP_1)
	v_fma_f32 v66, -v62, v65, 1.0
	v_fmac_f32_e32 v65, v66, v65
	s_delay_alu instid0(VALU_DEP_1) | instskip(NEXT) | instid1(VALU_DEP_1)
	v_mul_f32_e32 v66, v67, v65
	v_fma_f32 v68, -v62, v66, v67
	s_delay_alu instid0(VALU_DEP_1) | instskip(NEXT) | instid1(VALU_DEP_1)
	v_fmac_f32_e32 v66, v68, v65
	v_fma_f32 v62, -v62, v66, v67
	s_delay_alu instid0(VALU_DEP_1) | instskip(SKIP_1) | instid1(VALU_DEP_2)
	v_div_fmas_f32 v62, v62, v65, v66
	v_fma_f32 v65, v54, v48, v55
	v_div_fixup_f32 v49, v62, v49, 1.0
	s_delay_alu instid0(VALU_DEP_1) | instskip(NEXT) | instid1(VALU_DEP_1)
	v_dual_fma_f32 v62, -v55, v48, v54 :: v_dual_mul_f32 v48, v65, v49
	v_mul_f32_e32 v62, v62, v49
.LBB74_24:                              ;   in Loop: Header=BB74_4 Depth=1
	s_and_not1_saveexec_b32 s30, s7
	s_cbranch_execz .LBB74_26
; %bb.25:                               ;   in Loop: Header=BB74_4 Depth=1
	v_div_scale_f32 v48, null, v63, v63, v55
	v_div_scale_f32 v49, null, v64, v64, v54
	v_div_scale_f32 v68, vcc_lo, v55, v63, v55
	s_delay_alu instid0(VALU_DEP_3) | instskip(NEXT) | instid1(VALU_DEP_2)
	v_rcp_f32_e32 v62, v48
	v_rcp_f32_e32 v65, v49
	s_delay_alu instid0(TRANS32_DEP_2) | instskip(NEXT) | instid1(TRANS32_DEP_1)
	v_fma_f32 v66, -v48, v62, 1.0
	v_fma_f32 v67, -v49, v65, 1.0
	s_delay_alu instid0(VALU_DEP_1) | instskip(SKIP_1) | instid1(VALU_DEP_1)
	v_dual_fmac_f32 v62, v66, v62 :: v_dual_fmac_f32 v65, v67, v65
	v_div_scale_f32 v66, s7, v54, v64, v54
	v_dual_mul_f32 v67, v68, v62 :: v_dual_mul_f32 v69, v66, v65
	s_delay_alu instid0(VALU_DEP_1) | instskip(NEXT) | instid1(VALU_DEP_1)
	v_dual_fma_f32 v70, -v48, v67, v68 :: v_dual_fma_f32 v71, -v49, v69, v66
	v_dual_fmac_f32 v67, v70, v62 :: v_dual_fmac_f32 v69, v71, v65
	s_delay_alu instid0(VALU_DEP_1) | instskip(NEXT) | instid1(VALU_DEP_1)
	v_dual_fma_f32 v48, -v48, v67, v68 :: v_dual_fma_f32 v49, -v49, v69, v66
	v_div_fmas_f32 v48, v48, v62, v67
	s_mov_b32 vcc_lo, s7
	s_delay_alu instid0(VALU_DEP_2) | instskip(NEXT) | instid1(VALU_DEP_2)
	v_div_fmas_f32 v49, v49, v65, v69
	v_div_fixup_f32 v48, v48, v63, v55
	s_delay_alu instid0(VALU_DEP_2)
	v_div_fixup_f32 v62, v49, v64, v54
.LBB74_26:                              ;   in Loop: Header=BB74_4 Depth=1
	s_or_b32 exec_lo, exec_lo, s30
.LBB74_27:                              ;   in Loop: Header=BB74_4 Depth=1
	s_and_not1_saveexec_b32 s7, s29
	s_cbranch_execz .LBB74_29
; %bb.28:                               ;   in Loop: Header=BB74_4 Depth=1
	v_div_scale_f32 v48, null, v61, v61, v60
	v_div_scale_f32 v65, vcc_lo, v60, v61, v60
	s_delay_alu instid0(VALU_DEP_2) | instskip(SKIP_1) | instid1(TRANS32_DEP_1)
	v_rcp_f32_e32 v49, v48
	v_nop
	v_fma_f32 v62, -v48, v49, 1.0
	s_delay_alu instid0(VALU_DEP_1) | instskip(NEXT) | instid1(VALU_DEP_1)
	v_fmac_f32_e32 v49, v62, v49
	v_mul_f32_e32 v62, v65, v49
	s_delay_alu instid0(VALU_DEP_1) | instskip(NEXT) | instid1(VALU_DEP_1)
	v_fma_f32 v66, -v48, v62, v65
	v_fmac_f32_e32 v62, v66, v49
	s_delay_alu instid0(VALU_DEP_1) | instskip(NEXT) | instid1(VALU_DEP_1)
	v_fma_f32 v48, -v48, v62, v65
	v_div_fmas_f32 v48, v48, v49, v62
	s_delay_alu instid0(VALU_DEP_1) | instskip(NEXT) | instid1(VALU_DEP_1)
	v_div_fixup_f32 v48, v48, v61, v60
	v_fma_f32 v49, v60, v48, v61
	s_delay_alu instid0(VALU_DEP_1) | instskip(SKIP_1) | instid1(VALU_DEP_2)
	v_div_scale_f32 v62, null, v49, v49, 1.0
	v_div_scale_f32 v67, vcc_lo, 1.0, v49, 1.0
	v_rcp_f32_e32 v65, v62
	v_nop
	s_delay_alu instid0(TRANS32_DEP_1) | instskip(NEXT) | instid1(VALU_DEP_1)
	v_fma_f32 v66, -v62, v65, 1.0
	v_fmac_f32_e32 v65, v66, v65
	s_delay_alu instid0(VALU_DEP_1) | instskip(NEXT) | instid1(VALU_DEP_1)
	v_mul_f32_e32 v66, v67, v65
	v_fma_f32 v68, -v62, v66, v67
	s_delay_alu instid0(VALU_DEP_1) | instskip(NEXT) | instid1(VALU_DEP_1)
	v_fmac_f32_e32 v66, v68, v65
	v_fma_f32 v62, -v62, v66, v67
	s_delay_alu instid0(VALU_DEP_1) | instskip(SKIP_1) | instid1(VALU_DEP_2)
	v_div_fmas_f32 v62, v62, v65, v66
	v_fma_f32 v65, v55, v48, v54
	v_div_fixup_f32 v49, v62, v49, 1.0
	s_delay_alu instid0(VALU_DEP_1) | instskip(NEXT) | instid1(VALU_DEP_1)
	v_dual_fma_f32 v62, v54, v48, -v55 :: v_dual_mul_f32 v48, v65, v49
	v_mul_f32_e32 v62, v62, v49
.LBB74_29:                              ;   in Loop: Header=BB74_4 Depth=1
	s_or_b32 exec_lo, exec_lo, s7
	v_mov_b64_e32 v[66:67], s[12:13]
	v_mov_b64_e32 v[68:69], s[22:23]
	s_mov_b32 s7, 0
	s_delay_alu instid0(VALU_DEP_2) | instskip(NEXT) | instid1(VALU_DEP_2)
	v_pk_mul_f32 v[66:67], v[62:63], v[66:67] op_sel_hi:[0,1]
	v_pk_mul_f32 v[70:71], v[48:49], v[68:69] op_sel_hi:[0,1]
	s_delay_alu instid0(VALU_DEP_2) | instskip(NEXT) | instid1(VALU_DEP_2)
	v_pk_fma_f32 v[48:49], v[48:49], v[68:69], v[66:67] op_sel_hi:[0,1,1] neg_lo:[0,0,1] neg_hi:[0,0,1]
	v_add_f32_e32 v48, v70, v66
.LBB74_30:                              ;   in Loop: Header=BB74_4 Depth=1
	s_and_b32 vcc_lo, exec_lo, s7
	s_cbranch_vccz .LBB74_40
; %bb.31:                               ;   in Loop: Header=BB74_4 Depth=1
                                        ; implicit-def: $vgpr49
	s_and_saveexec_b32 s7, s6
	s_delay_alu instid0(SALU_CYCLE_1)
	s_xor_b32 s7, exec_lo, s7
	s_cbranch_execz .LBB74_37
; %bb.32:                               ;   in Loop: Header=BB74_4 Depth=1
	v_cmp_neq_f32_e32 vcc_lo, 0, v60
	v_cmp_neq_f32_e64 s6, 0, v61
                                        ; implicit-def: $vgpr49
	s_or_b32 s6, s6, vcc_lo
	s_delay_alu instid0(SALU_CYCLE_1) | instskip(NEXT) | instid1(SALU_CYCLE_1)
	s_and_saveexec_b32 s29, s6
	s_xor_b32 s6, exec_lo, s29
	s_cbranch_execz .LBB74_34
; %bb.33:                               ;   in Loop: Header=BB74_4 Depth=1
	v_div_scale_f32 v48, null, v60, v60, v61
	v_div_scale_f32 v63, vcc_lo, v61, v60, v61
	s_delay_alu instid0(VALU_DEP_2) | instskip(SKIP_1) | instid1(TRANS32_DEP_1)
	v_rcp_f32_e32 v49, v48
	v_nop
	v_fma_f32 v62, -v48, v49, 1.0
	s_delay_alu instid0(VALU_DEP_1) | instskip(NEXT) | instid1(VALU_DEP_1)
	v_fmac_f32_e32 v49, v62, v49
	v_mul_f32_e32 v62, v63, v49
	s_delay_alu instid0(VALU_DEP_1) | instskip(NEXT) | instid1(VALU_DEP_1)
	v_fma_f32 v64, -v48, v62, v63
	v_fmac_f32_e32 v62, v64, v49
	s_delay_alu instid0(VALU_DEP_1) | instskip(NEXT) | instid1(VALU_DEP_1)
	v_fma_f32 v48, -v48, v62, v63
	v_div_fmas_f32 v48, v48, v49, v62
	s_delay_alu instid0(VALU_DEP_1) | instskip(NEXT) | instid1(VALU_DEP_1)
	v_div_fixup_f32 v48, v48, v60, v61
	v_fmac_f32_e32 v60, v61, v48
	s_delay_alu instid0(VALU_DEP_1) | instskip(SKIP_1) | instid1(VALU_DEP_2)
	v_div_scale_f32 v49, null, v60, v60, 1.0
	v_div_scale_f32 v63, vcc_lo, 1.0, v60, 1.0
	v_rcp_f32_e32 v61, v49
	v_nop
	s_delay_alu instid0(TRANS32_DEP_1) | instskip(NEXT) | instid1(VALU_DEP_1)
	v_fma_f32 v62, -v49, v61, 1.0
	v_fmac_f32_e32 v61, v62, v61
	s_delay_alu instid0(VALU_DEP_1) | instskip(NEXT) | instid1(VALU_DEP_1)
	v_mul_f32_e32 v62, v63, v61
	v_fma_f32 v64, -v49, v62, v63
	s_delay_alu instid0(VALU_DEP_1) | instskip(NEXT) | instid1(VALU_DEP_1)
	v_fmac_f32_e32 v62, v64, v61
                                        ; implicit-def: $vgpr64
	v_fma_f32 v49, -v49, v62, v63
	s_delay_alu instid0(VALU_DEP_1) | instskip(SKIP_2) | instid1(VALU_DEP_3)
	v_div_fmas_f32 v61, v49, v61, v62
	v_pk_fma_f32 v[62:63], v[54:55], v[48:49], v[54:55] op_sel:[1,0,0] op_sel_hi:[0,0,1]
	v_pk_fma_f32 v[48:49], v[54:55], v[48:49], v[54:55] op_sel:[1,0,0] op_sel_hi:[0,1,1] neg_lo:[1,0,0] neg_hi:[1,0,0]
	v_div_fixup_f32 v54, v61, v60, 1.0
	s_delay_alu instid0(VALU_DEP_3) | instskip(NEXT) | instid1(VALU_DEP_1)
	v_mov_b32_e32 v49, v63
                                        ; implicit-def: $vgpr63
	v_pk_mul_f32 v[48:49], v[48:49], v[54:55] op_sel_hi:[1,0]
                                        ; implicit-def: $vgpr54_vgpr55
.LBB74_34:                              ;   in Loop: Header=BB74_4 Depth=1
	s_and_not1_saveexec_b32 s29, s6
	s_cbranch_execz .LBB74_36
; %bb.35:                               ;   in Loop: Header=BB74_4 Depth=1
	v_div_scale_f32 v48, null, v64, v64, v54
	v_div_scale_f32 v49, null, v63, v63, v55
	v_div_scale_f32 v66, vcc_lo, v54, v64, v54
	s_delay_alu instid0(VALU_DEP_3) | instskip(NEXT) | instid1(VALU_DEP_2)
	v_rcp_f32_e32 v60, v48
	v_rcp_f32_e32 v61, v49
	s_delay_alu instid0(TRANS32_DEP_2) | instskip(NEXT) | instid1(TRANS32_DEP_1)
	v_fma_f32 v62, -v48, v60, 1.0
	v_fma_f32 v65, -v49, v61, 1.0
	s_delay_alu instid0(VALU_DEP_1) | instskip(SKIP_1) | instid1(VALU_DEP_1)
	v_dual_fmac_f32 v60, v62, v60 :: v_dual_fmac_f32 v61, v65, v61
	v_div_scale_f32 v62, s6, v55, v63, v55
	v_mul_f32_e32 v67, v62, v61
	s_delay_alu instid0(VALU_DEP_1) | instskip(NEXT) | instid1(VALU_DEP_1)
	v_dual_mul_f32 v65, v66, v60 :: v_dual_fma_f32 v69, -v49, v67, v62
	v_fma_f32 v68, -v48, v65, v66
	s_delay_alu instid0(VALU_DEP_1) | instskip(NEXT) | instid1(VALU_DEP_1)
	v_dual_fmac_f32 v65, v68, v60 :: v_dual_fmac_f32 v67, v69, v61
	v_fma_f32 v48, -v48, v65, v66
	s_delay_alu instid0(VALU_DEP_2) | instskip(NEXT) | instid1(VALU_DEP_2)
	v_fma_f32 v49, -v49, v67, v62
	v_div_fmas_f32 v48, v48, v60, v65
	s_mov_b32 vcc_lo, s6
	s_delay_alu instid0(VALU_DEP_2) | instskip(NEXT) | instid1(VALU_DEP_2)
	v_div_fmas_f32 v49, v49, v61, v67
	v_div_fixup_f32 v48, v48, v64, v54
	s_delay_alu instid0(VALU_DEP_2)
	v_div_fixup_f32 v49, v49, v63, v55
.LBB74_36:                              ;   in Loop: Header=BB74_4 Depth=1
	s_or_b32 exec_lo, exec_lo, s29
                                        ; implicit-def: $vgpr61
                                        ; implicit-def: $vgpr54_vgpr55
.LBB74_37:                              ;   in Loop: Header=BB74_4 Depth=1
	s_and_not1_saveexec_b32 s6, s7
	s_cbranch_execz .LBB74_39
; %bb.38:                               ;   in Loop: Header=BB74_4 Depth=1
	v_div_scale_f32 v48, null, v61, v61, v60
	v_div_scale_f32 v63, vcc_lo, v60, v61, v60
	s_delay_alu instid0(VALU_DEP_2) | instskip(SKIP_1) | instid1(TRANS32_DEP_1)
	v_rcp_f32_e32 v49, v48
	v_nop
	v_fma_f32 v62, -v48, v49, 1.0
	s_delay_alu instid0(VALU_DEP_1) | instskip(NEXT) | instid1(VALU_DEP_1)
	v_fmac_f32_e32 v49, v62, v49
	v_mul_f32_e32 v62, v63, v49
	s_delay_alu instid0(VALU_DEP_1) | instskip(NEXT) | instid1(VALU_DEP_1)
	v_fma_f32 v64, -v48, v62, v63
	v_fmac_f32_e32 v62, v64, v49
	s_delay_alu instid0(VALU_DEP_1) | instskip(NEXT) | instid1(VALU_DEP_1)
	v_fma_f32 v48, -v48, v62, v63
	v_div_fmas_f32 v48, v48, v49, v62
	s_delay_alu instid0(VALU_DEP_1) | instskip(NEXT) | instid1(VALU_DEP_1)
	v_div_fixup_f32 v48, v48, v61, v60
	v_fmac_f32_e32 v61, v60, v48
	s_delay_alu instid0(VALU_DEP_1) | instskip(SKIP_1) | instid1(VALU_DEP_2)
	v_div_scale_f32 v49, null, v61, v61, 1.0
	v_div_scale_f32 v63, vcc_lo, 1.0, v61, 1.0
	v_rcp_f32_e32 v60, v49
	v_nop
	s_delay_alu instid0(TRANS32_DEP_1) | instskip(NEXT) | instid1(VALU_DEP_1)
	v_fma_f32 v62, -v49, v60, 1.0
	v_fmac_f32_e32 v60, v62, v60
	s_delay_alu instid0(VALU_DEP_1) | instskip(NEXT) | instid1(VALU_DEP_1)
	v_mul_f32_e32 v62, v63, v60
	v_fma_f32 v64, -v49, v62, v63
	s_delay_alu instid0(VALU_DEP_1) | instskip(NEXT) | instid1(VALU_DEP_1)
	v_fmac_f32_e32 v62, v64, v60
	v_fma_f32 v49, -v49, v62, v63
	s_delay_alu instid0(VALU_DEP_1) | instskip(SKIP_2) | instid1(VALU_DEP_3)
	v_div_fmas_f32 v60, v49, v60, v62
	v_pk_fma_f32 v[62:63], v[54:55], v[48:49], v[54:55] op_sel:[0,0,1] op_sel_hi:[1,0,0]
	v_pk_fma_f32 v[48:49], v[54:55], v[48:49], v[54:55] op_sel:[0,0,1] op_sel_hi:[1,1,0] neg_lo:[0,0,1] neg_hi:[0,0,1]
	v_div_fixup_f32 v54, v60, v61, 1.0
	s_delay_alu instid0(VALU_DEP_3) | instskip(NEXT) | instid1(VALU_DEP_1)
	v_mov_b32_e32 v49, v63
	v_pk_mul_f32 v[48:49], v[48:49], v[54:55] op_sel_hi:[1,0]
.LBB74_39:                              ;   in Loop: Header=BB74_4 Depth=1
	s_or_b32 exec_lo, exec_lo, s6
.LBB74_40:                              ;   in Loop: Header=BB74_4 Depth=1
	v_cmp_gt_f32_e32 vcc_lo, 0, v58
	s_mov_b32 s7, -1
                                        ; implicit-def: $vgpr55
	v_cndmask_b32_e64 v61, v58, -v58, vcc_lo
	v_cmp_gt_f32_e32 vcc_lo, 0, v59
	v_cndmask_b32_e64 v62, v59, -v59, vcc_lo
	s_and_not1_b32 vcc_lo, exec_lo, s28
	s_delay_alu instid0(VALU_DEP_1)
	v_cmp_ge_f32_e64 s6, v61, v62
	s_cbranch_vccnz .LBB74_50
; %bb.41:                               ;   in Loop: Header=BB74_4 Depth=1
                                        ; implicit-def: $vgpr60
                                        ; implicit-def: $vgpr54
	s_and_saveexec_b32 s7, s6
	s_delay_alu instid0(SALU_CYCLE_1)
	s_xor_b32 s29, exec_lo, s7
	s_cbranch_execz .LBB74_47
; %bb.42:                               ;   in Loop: Header=BB74_4 Depth=1
	v_cmp_neq_f32_e32 vcc_lo, 0, v58
	v_cmp_neq_f32_e64 s7, 0, v59
                                        ; implicit-def: $vgpr60
                                        ; implicit-def: $vgpr54
	s_or_b32 s7, s7, vcc_lo
	s_delay_alu instid0(SALU_CYCLE_1) | instskip(NEXT) | instid1(SALU_CYCLE_1)
	s_and_saveexec_b32 s30, s7
	s_xor_b32 s7, exec_lo, s30
	s_cbranch_execz .LBB74_44
; %bb.43:                               ;   in Loop: Header=BB74_4 Depth=1
	v_div_scale_f32 v54, null, v58, v58, v59
	v_div_scale_f32 v63, vcc_lo, v59, v58, v59
	s_delay_alu instid0(VALU_DEP_2) | instskip(SKIP_1) | instid1(TRANS32_DEP_1)
	v_rcp_f32_e32 v55, v54
	v_nop
	v_fma_f32 v60, -v54, v55, 1.0
	s_delay_alu instid0(VALU_DEP_1) | instskip(NEXT) | instid1(VALU_DEP_1)
	v_fmac_f32_e32 v55, v60, v55
	v_mul_f32_e32 v60, v63, v55
	s_delay_alu instid0(VALU_DEP_1) | instskip(NEXT) | instid1(VALU_DEP_1)
	v_fma_f32 v64, -v54, v60, v63
	v_fmac_f32_e32 v60, v64, v55
	s_delay_alu instid0(VALU_DEP_1) | instskip(NEXT) | instid1(VALU_DEP_1)
	v_fma_f32 v54, -v54, v60, v63
	v_div_fmas_f32 v54, v54, v55, v60
	s_delay_alu instid0(VALU_DEP_1) | instskip(NEXT) | instid1(VALU_DEP_1)
	v_div_fixup_f32 v54, v54, v58, v59
	v_fma_f32 v55, v59, v54, v58
	s_delay_alu instid0(VALU_DEP_1) | instskip(SKIP_1) | instid1(VALU_DEP_2)
	v_div_scale_f32 v60, null, v55, v55, 1.0
	v_div_scale_f32 v65, vcc_lo, 1.0, v55, 1.0
	v_rcp_f32_e32 v63, v60
	v_nop
	s_delay_alu instid0(TRANS32_DEP_1) | instskip(NEXT) | instid1(VALU_DEP_1)
	v_fma_f32 v64, -v60, v63, 1.0
	v_fmac_f32_e32 v63, v64, v63
	s_delay_alu instid0(VALU_DEP_1) | instskip(NEXT) | instid1(VALU_DEP_1)
	v_mul_f32_e32 v64, v65, v63
	v_fma_f32 v66, -v60, v64, v65
	s_delay_alu instid0(VALU_DEP_1) | instskip(NEXT) | instid1(VALU_DEP_1)
	v_fmac_f32_e32 v64, v66, v63
	v_fma_f32 v60, -v60, v64, v65
	s_delay_alu instid0(VALU_DEP_1) | instskip(SKIP_1) | instid1(VALU_DEP_2)
	v_div_fmas_f32 v60, v60, v63, v64
	v_fma_f32 v63, v56, v54, v57
	v_div_fixup_f32 v55, v60, v55, 1.0
	s_delay_alu instid0(VALU_DEP_1) | instskip(NEXT) | instid1(VALU_DEP_1)
	v_dual_fma_f32 v60, -v57, v54, v56 :: v_dual_mul_f32 v54, v63, v55
	v_mul_f32_e32 v60, v60, v55
.LBB74_44:                              ;   in Loop: Header=BB74_4 Depth=1
	s_and_not1_saveexec_b32 s30, s7
	s_cbranch_execz .LBB74_46
; %bb.45:                               ;   in Loop: Header=BB74_4 Depth=1
	v_div_scale_f32 v54, null, v61, v61, v57
	v_div_scale_f32 v55, null, v62, v62, v56
	v_div_scale_f32 v66, vcc_lo, v57, v61, v57
	s_delay_alu instid0(VALU_DEP_3) | instskip(NEXT) | instid1(VALU_DEP_2)
	v_rcp_f32_e32 v60, v54
	v_rcp_f32_e32 v63, v55
	s_delay_alu instid0(TRANS32_DEP_2) | instskip(NEXT) | instid1(TRANS32_DEP_1)
	v_fma_f32 v64, -v54, v60, 1.0
	v_fma_f32 v65, -v55, v63, 1.0
	s_delay_alu instid0(VALU_DEP_1) | instskip(SKIP_1) | instid1(VALU_DEP_1)
	v_dual_fmac_f32 v60, v64, v60 :: v_dual_fmac_f32 v63, v65, v63
	v_div_scale_f32 v64, s7, v56, v62, v56
	v_dual_mul_f32 v65, v66, v60 :: v_dual_mul_f32 v67, v64, v63
	s_delay_alu instid0(VALU_DEP_1) | instskip(NEXT) | instid1(VALU_DEP_1)
	v_dual_fma_f32 v68, -v54, v65, v66 :: v_dual_fma_f32 v69, -v55, v67, v64
	v_dual_fmac_f32 v65, v68, v60 :: v_dual_fmac_f32 v67, v69, v63
	s_delay_alu instid0(VALU_DEP_1) | instskip(NEXT) | instid1(VALU_DEP_1)
	v_dual_fma_f32 v54, -v54, v65, v66 :: v_dual_fma_f32 v55, -v55, v67, v64
	v_div_fmas_f32 v54, v54, v60, v65
	s_mov_b32 vcc_lo, s7
	s_delay_alu instid0(VALU_DEP_2) | instskip(NEXT) | instid1(VALU_DEP_2)
	v_div_fmas_f32 v55, v55, v63, v67
	v_div_fixup_f32 v54, v54, v61, v57
	s_delay_alu instid0(VALU_DEP_2)
	v_div_fixup_f32 v60, v55, v62, v56
.LBB74_46:                              ;   in Loop: Header=BB74_4 Depth=1
	s_or_b32 exec_lo, exec_lo, s30
.LBB74_47:                              ;   in Loop: Header=BB74_4 Depth=1
	s_and_not1_saveexec_b32 s7, s29
	s_cbranch_execz .LBB74_49
; %bb.48:                               ;   in Loop: Header=BB74_4 Depth=1
	v_div_scale_f32 v54, null, v59, v59, v58
	v_div_scale_f32 v63, vcc_lo, v58, v59, v58
	s_delay_alu instid0(VALU_DEP_2) | instskip(SKIP_1) | instid1(TRANS32_DEP_1)
	v_rcp_f32_e32 v55, v54
	v_nop
	v_fma_f32 v60, -v54, v55, 1.0
	s_delay_alu instid0(VALU_DEP_1) | instskip(NEXT) | instid1(VALU_DEP_1)
	v_fmac_f32_e32 v55, v60, v55
	v_mul_f32_e32 v60, v63, v55
	s_delay_alu instid0(VALU_DEP_1) | instskip(NEXT) | instid1(VALU_DEP_1)
	v_fma_f32 v64, -v54, v60, v63
	v_fmac_f32_e32 v60, v64, v55
	s_delay_alu instid0(VALU_DEP_1) | instskip(NEXT) | instid1(VALU_DEP_1)
	v_fma_f32 v54, -v54, v60, v63
	v_div_fmas_f32 v54, v54, v55, v60
	s_delay_alu instid0(VALU_DEP_1) | instskip(NEXT) | instid1(VALU_DEP_1)
	v_div_fixup_f32 v54, v54, v59, v58
	v_fma_f32 v55, v58, v54, v59
	s_delay_alu instid0(VALU_DEP_1) | instskip(SKIP_1) | instid1(VALU_DEP_2)
	v_div_scale_f32 v60, null, v55, v55, 1.0
	v_div_scale_f32 v65, vcc_lo, 1.0, v55, 1.0
	v_rcp_f32_e32 v63, v60
	v_nop
	s_delay_alu instid0(TRANS32_DEP_1) | instskip(NEXT) | instid1(VALU_DEP_1)
	v_fma_f32 v64, -v60, v63, 1.0
	v_fmac_f32_e32 v63, v64, v63
	s_delay_alu instid0(VALU_DEP_1) | instskip(NEXT) | instid1(VALU_DEP_1)
	v_mul_f32_e32 v64, v65, v63
	v_fma_f32 v66, -v60, v64, v65
	s_delay_alu instid0(VALU_DEP_1) | instskip(NEXT) | instid1(VALU_DEP_1)
	v_fmac_f32_e32 v64, v66, v63
	v_fma_f32 v60, -v60, v64, v65
	s_delay_alu instid0(VALU_DEP_1) | instskip(SKIP_1) | instid1(VALU_DEP_2)
	v_div_fmas_f32 v60, v60, v63, v64
	v_fma_f32 v63, v57, v54, v56
	v_div_fixup_f32 v55, v60, v55, 1.0
	s_delay_alu instid0(VALU_DEP_1) | instskip(NEXT) | instid1(VALU_DEP_1)
	v_dual_fma_f32 v60, v56, v54, -v57 :: v_dual_mul_f32 v54, v63, v55
	v_mul_f32_e32 v60, v60, v55
.LBB74_49:                              ;   in Loop: Header=BB74_4 Depth=1
	s_or_b32 exec_lo, exec_lo, s7
	v_mov_b64_e32 v[64:65], s[12:13]
	v_mov_b64_e32 v[66:67], s[22:23]
	s_mov_b32 s7, 0
	s_delay_alu instid0(VALU_DEP_2) | instskip(NEXT) | instid1(VALU_DEP_2)
	v_pk_mul_f32 v[64:65], v[60:61], v[64:65] op_sel_hi:[0,1]
	v_pk_mul_f32 v[68:69], v[54:55], v[66:67] op_sel_hi:[0,1]
	s_delay_alu instid0(VALU_DEP_2) | instskip(NEXT) | instid1(VALU_DEP_2)
	v_pk_fma_f32 v[54:55], v[54:55], v[66:67], v[64:65] op_sel_hi:[0,1,1] neg_lo:[0,0,1] neg_hi:[0,0,1]
	v_add_f32_e32 v54, v68, v64
.LBB74_50:                              ;   in Loop: Header=BB74_4 Depth=1
	s_and_b32 vcc_lo, exec_lo, s7
	s_cbranch_vccz .LBB74_60
; %bb.51:                               ;   in Loop: Header=BB74_4 Depth=1
                                        ; implicit-def: $vgpr55
	s_and_saveexec_b32 s7, s6
	s_delay_alu instid0(SALU_CYCLE_1)
	s_xor_b32 s7, exec_lo, s7
	s_cbranch_execz .LBB74_57
; %bb.52:                               ;   in Loop: Header=BB74_4 Depth=1
	v_cmp_neq_f32_e32 vcc_lo, 0, v58
	v_cmp_neq_f32_e64 s6, 0, v59
                                        ; implicit-def: $vgpr55
	s_or_b32 s6, s6, vcc_lo
	s_delay_alu instid0(SALU_CYCLE_1) | instskip(NEXT) | instid1(SALU_CYCLE_1)
	s_and_saveexec_b32 s29, s6
	s_xor_b32 s6, exec_lo, s29
	s_cbranch_execz .LBB74_54
; %bb.53:                               ;   in Loop: Header=BB74_4 Depth=1
	v_div_scale_f32 v54, null, v58, v58, v59
	v_div_scale_f32 v61, vcc_lo, v59, v58, v59
	s_delay_alu instid0(VALU_DEP_2) | instskip(SKIP_1) | instid1(TRANS32_DEP_1)
	v_rcp_f32_e32 v55, v54
	v_nop
	v_fma_f32 v60, -v54, v55, 1.0
	s_delay_alu instid0(VALU_DEP_1) | instskip(NEXT) | instid1(VALU_DEP_1)
	v_fmac_f32_e32 v55, v60, v55
	v_mul_f32_e32 v60, v61, v55
	s_delay_alu instid0(VALU_DEP_1) | instskip(NEXT) | instid1(VALU_DEP_1)
	v_fma_f32 v62, -v54, v60, v61
	v_fmac_f32_e32 v60, v62, v55
	s_delay_alu instid0(VALU_DEP_1) | instskip(NEXT) | instid1(VALU_DEP_1)
	v_fma_f32 v54, -v54, v60, v61
	v_div_fmas_f32 v54, v54, v55, v60
	s_delay_alu instid0(VALU_DEP_1) | instskip(NEXT) | instid1(VALU_DEP_1)
	v_div_fixup_f32 v54, v54, v58, v59
	v_fmac_f32_e32 v58, v59, v54
	s_delay_alu instid0(VALU_DEP_1) | instskip(SKIP_1) | instid1(VALU_DEP_2)
	v_div_scale_f32 v55, null, v58, v58, 1.0
	v_div_scale_f32 v61, vcc_lo, 1.0, v58, 1.0
	v_rcp_f32_e32 v59, v55
	v_nop
	s_delay_alu instid0(TRANS32_DEP_1) | instskip(NEXT) | instid1(VALU_DEP_1)
	v_fma_f32 v60, -v55, v59, 1.0
	v_fmac_f32_e32 v59, v60, v59
	s_delay_alu instid0(VALU_DEP_1) | instskip(NEXT) | instid1(VALU_DEP_1)
	v_mul_f32_e32 v60, v61, v59
	v_fma_f32 v62, -v55, v60, v61
	s_delay_alu instid0(VALU_DEP_1) | instskip(NEXT) | instid1(VALU_DEP_1)
	v_fmac_f32_e32 v60, v62, v59
                                        ; implicit-def: $vgpr62
	v_fma_f32 v55, -v55, v60, v61
	s_delay_alu instid0(VALU_DEP_1) | instskip(SKIP_2) | instid1(VALU_DEP_3)
	v_div_fmas_f32 v59, v55, v59, v60
	v_pk_fma_f32 v[60:61], v[56:57], v[54:55], v[56:57] op_sel:[1,0,0] op_sel_hi:[0,0,1]
	v_pk_fma_f32 v[54:55], v[56:57], v[54:55], v[56:57] op_sel:[1,0,0] op_sel_hi:[0,1,1] neg_lo:[1,0,0] neg_hi:[1,0,0]
	v_div_fixup_f32 v56, v59, v58, 1.0
	s_delay_alu instid0(VALU_DEP_3) | instskip(NEXT) | instid1(VALU_DEP_1)
	v_mov_b32_e32 v55, v61
                                        ; implicit-def: $vgpr61
	v_pk_mul_f32 v[54:55], v[54:55], v[56:57] op_sel_hi:[1,0]
                                        ; implicit-def: $vgpr56_vgpr57
.LBB74_54:                              ;   in Loop: Header=BB74_4 Depth=1
	s_and_not1_saveexec_b32 s29, s6
	s_cbranch_execz .LBB74_56
; %bb.55:                               ;   in Loop: Header=BB74_4 Depth=1
	v_div_scale_f32 v54, null, v62, v62, v56
	v_div_scale_f32 v55, null, v61, v61, v57
	v_div_scale_f32 v64, vcc_lo, v56, v62, v56
	s_delay_alu instid0(VALU_DEP_3) | instskip(NEXT) | instid1(VALU_DEP_2)
	v_rcp_f32_e32 v58, v54
	v_rcp_f32_e32 v59, v55
	s_delay_alu instid0(TRANS32_DEP_2) | instskip(NEXT) | instid1(TRANS32_DEP_1)
	v_fma_f32 v60, -v54, v58, 1.0
	v_fma_f32 v63, -v55, v59, 1.0
	s_delay_alu instid0(VALU_DEP_1) | instskip(SKIP_1) | instid1(VALU_DEP_1)
	v_dual_fmac_f32 v58, v60, v58 :: v_dual_fmac_f32 v59, v63, v59
	v_div_scale_f32 v60, s6, v57, v61, v57
	v_mul_f32_e32 v65, v60, v59
	s_delay_alu instid0(VALU_DEP_1) | instskip(NEXT) | instid1(VALU_DEP_1)
	v_dual_mul_f32 v63, v64, v58 :: v_dual_fma_f32 v67, -v55, v65, v60
	v_fma_f32 v66, -v54, v63, v64
	s_delay_alu instid0(VALU_DEP_1) | instskip(NEXT) | instid1(VALU_DEP_1)
	v_dual_fmac_f32 v63, v66, v58 :: v_dual_fmac_f32 v65, v67, v59
	v_fma_f32 v54, -v54, v63, v64
	s_delay_alu instid0(VALU_DEP_2) | instskip(NEXT) | instid1(VALU_DEP_2)
	v_fma_f32 v55, -v55, v65, v60
	v_div_fmas_f32 v54, v54, v58, v63
	s_mov_b32 vcc_lo, s6
	s_delay_alu instid0(VALU_DEP_2) | instskip(NEXT) | instid1(VALU_DEP_2)
	v_div_fmas_f32 v55, v55, v59, v65
	v_div_fixup_f32 v54, v54, v62, v56
	s_delay_alu instid0(VALU_DEP_2)
	v_div_fixup_f32 v55, v55, v61, v57
.LBB74_56:                              ;   in Loop: Header=BB74_4 Depth=1
	s_or_b32 exec_lo, exec_lo, s29
                                        ; implicit-def: $vgpr59
                                        ; implicit-def: $vgpr56_vgpr57
.LBB74_57:                              ;   in Loop: Header=BB74_4 Depth=1
	s_and_not1_saveexec_b32 s6, s7
	s_cbranch_execz .LBB74_59
; %bb.58:                               ;   in Loop: Header=BB74_4 Depth=1
	v_div_scale_f32 v54, null, v59, v59, v58
	v_div_scale_f32 v61, vcc_lo, v58, v59, v58
	s_delay_alu instid0(VALU_DEP_2) | instskip(SKIP_1) | instid1(TRANS32_DEP_1)
	v_rcp_f32_e32 v55, v54
	v_nop
	v_fma_f32 v60, -v54, v55, 1.0
	s_delay_alu instid0(VALU_DEP_1) | instskip(NEXT) | instid1(VALU_DEP_1)
	v_fmac_f32_e32 v55, v60, v55
	v_mul_f32_e32 v60, v61, v55
	s_delay_alu instid0(VALU_DEP_1) | instskip(NEXT) | instid1(VALU_DEP_1)
	v_fma_f32 v62, -v54, v60, v61
	v_fmac_f32_e32 v60, v62, v55
	s_delay_alu instid0(VALU_DEP_1) | instskip(NEXT) | instid1(VALU_DEP_1)
	v_fma_f32 v54, -v54, v60, v61
	v_div_fmas_f32 v54, v54, v55, v60
	s_delay_alu instid0(VALU_DEP_1) | instskip(NEXT) | instid1(VALU_DEP_1)
	v_div_fixup_f32 v54, v54, v59, v58
	v_fmac_f32_e32 v59, v58, v54
	s_delay_alu instid0(VALU_DEP_1) | instskip(SKIP_1) | instid1(VALU_DEP_2)
	v_div_scale_f32 v55, null, v59, v59, 1.0
	v_div_scale_f32 v61, vcc_lo, 1.0, v59, 1.0
	v_rcp_f32_e32 v58, v55
	v_nop
	s_delay_alu instid0(TRANS32_DEP_1) | instskip(NEXT) | instid1(VALU_DEP_1)
	v_fma_f32 v60, -v55, v58, 1.0
	v_fmac_f32_e32 v58, v60, v58
	s_delay_alu instid0(VALU_DEP_1) | instskip(NEXT) | instid1(VALU_DEP_1)
	v_mul_f32_e32 v60, v61, v58
	v_fma_f32 v62, -v55, v60, v61
	s_delay_alu instid0(VALU_DEP_1) | instskip(NEXT) | instid1(VALU_DEP_1)
	v_fmac_f32_e32 v60, v62, v58
	v_fma_f32 v55, -v55, v60, v61
	s_delay_alu instid0(VALU_DEP_1) | instskip(SKIP_2) | instid1(VALU_DEP_3)
	v_div_fmas_f32 v58, v55, v58, v60
	v_pk_fma_f32 v[60:61], v[56:57], v[54:55], v[56:57] op_sel:[0,0,1] op_sel_hi:[1,0,0]
	v_pk_fma_f32 v[54:55], v[56:57], v[54:55], v[56:57] op_sel:[0,0,1] op_sel_hi:[1,1,0] neg_lo:[0,0,1] neg_hi:[0,0,1]
	v_div_fixup_f32 v56, v58, v59, 1.0
	s_delay_alu instid0(VALU_DEP_3) | instskip(NEXT) | instid1(VALU_DEP_1)
	v_mov_b32_e32 v55, v61
	v_pk_mul_f32 v[54:55], v[54:55], v[56:57] op_sel_hi:[1,0]
.LBB74_59:                              ;   in Loop: Header=BB74_4 Depth=1
	s_or_b32 exec_lo, exec_lo, s6
.LBB74_60:                              ;   in Loop: Header=BB74_4 Depth=1
	v_cmp_gt_f32_e32 vcc_lo, 0, v52
	s_mov_b32 s7, -1
                                        ; implicit-def: $vgpr57
	v_cndmask_b32_e64 v59, v52, -v52, vcc_lo
	v_cmp_gt_f32_e32 vcc_lo, 0, v53
	v_cndmask_b32_e64 v60, v53, -v53, vcc_lo
	s_and_not1_b32 vcc_lo, exec_lo, s28
	s_delay_alu instid0(VALU_DEP_1)
	v_cmp_ge_f32_e64 s6, v59, v60
	s_cbranch_vccnz .LBB74_70
; %bb.61:                               ;   in Loop: Header=BB74_4 Depth=1
                                        ; implicit-def: $vgpr58
                                        ; implicit-def: $vgpr56
	s_and_saveexec_b32 s7, s6
	s_delay_alu instid0(SALU_CYCLE_1)
	s_xor_b32 s29, exec_lo, s7
	s_cbranch_execz .LBB74_67
; %bb.62:                               ;   in Loop: Header=BB74_4 Depth=1
	v_cmp_neq_f32_e32 vcc_lo, 0, v52
	v_cmp_neq_f32_e64 s7, 0, v53
                                        ; implicit-def: $vgpr58
                                        ; implicit-def: $vgpr56
	s_or_b32 s7, s7, vcc_lo
	s_delay_alu instid0(SALU_CYCLE_1) | instskip(NEXT) | instid1(SALU_CYCLE_1)
	s_and_saveexec_b32 s30, s7
	s_xor_b32 s7, exec_lo, s30
	s_cbranch_execz .LBB74_64
; %bb.63:                               ;   in Loop: Header=BB74_4 Depth=1
	v_div_scale_f32 v56, null, v52, v52, v53
	v_div_scale_f32 v61, vcc_lo, v53, v52, v53
	s_delay_alu instid0(VALU_DEP_2) | instskip(SKIP_1) | instid1(TRANS32_DEP_1)
	v_rcp_f32_e32 v57, v56
	v_nop
	v_fma_f32 v58, -v56, v57, 1.0
	s_delay_alu instid0(VALU_DEP_1) | instskip(NEXT) | instid1(VALU_DEP_1)
	v_fmac_f32_e32 v57, v58, v57
	v_mul_f32_e32 v58, v61, v57
	s_delay_alu instid0(VALU_DEP_1) | instskip(NEXT) | instid1(VALU_DEP_1)
	v_fma_f32 v62, -v56, v58, v61
	v_fmac_f32_e32 v58, v62, v57
	s_delay_alu instid0(VALU_DEP_1) | instskip(NEXT) | instid1(VALU_DEP_1)
	v_fma_f32 v56, -v56, v58, v61
	v_div_fmas_f32 v56, v56, v57, v58
	s_delay_alu instid0(VALU_DEP_1) | instskip(NEXT) | instid1(VALU_DEP_1)
	v_div_fixup_f32 v56, v56, v52, v53
	v_fma_f32 v57, v53, v56, v52
	s_delay_alu instid0(VALU_DEP_1) | instskip(SKIP_1) | instid1(VALU_DEP_2)
	v_div_scale_f32 v58, null, v57, v57, 1.0
	v_div_scale_f32 v63, vcc_lo, 1.0, v57, 1.0
	v_rcp_f32_e32 v61, v58
	v_nop
	s_delay_alu instid0(TRANS32_DEP_1) | instskip(NEXT) | instid1(VALU_DEP_1)
	v_fma_f32 v62, -v58, v61, 1.0
	v_fmac_f32_e32 v61, v62, v61
	s_delay_alu instid0(VALU_DEP_1) | instskip(NEXT) | instid1(VALU_DEP_1)
	v_mul_f32_e32 v62, v63, v61
	v_fma_f32 v64, -v58, v62, v63
	s_delay_alu instid0(VALU_DEP_1) | instskip(NEXT) | instid1(VALU_DEP_1)
	v_fmac_f32_e32 v62, v64, v61
	v_fma_f32 v58, -v58, v62, v63
	s_delay_alu instid0(VALU_DEP_1) | instskip(SKIP_1) | instid1(VALU_DEP_2)
	v_div_fmas_f32 v58, v58, v61, v62
	v_fma_f32 v61, v50, v56, v51
	v_div_fixup_f32 v57, v58, v57, 1.0
	s_delay_alu instid0(VALU_DEP_1) | instskip(NEXT) | instid1(VALU_DEP_1)
	v_dual_fma_f32 v58, -v51, v56, v50 :: v_dual_mul_f32 v56, v61, v57
	v_mul_f32_e32 v58, v58, v57
.LBB74_64:                              ;   in Loop: Header=BB74_4 Depth=1
	s_and_not1_saveexec_b32 s30, s7
	s_cbranch_execz .LBB74_66
; %bb.65:                               ;   in Loop: Header=BB74_4 Depth=1
	v_div_scale_f32 v56, null, v59, v59, v51
	v_div_scale_f32 v57, null, v60, v60, v50
	v_div_scale_f32 v64, vcc_lo, v51, v59, v51
	s_delay_alu instid0(VALU_DEP_3) | instskip(NEXT) | instid1(VALU_DEP_2)
	v_rcp_f32_e32 v58, v56
	v_rcp_f32_e32 v61, v57
	s_delay_alu instid0(TRANS32_DEP_2) | instskip(NEXT) | instid1(TRANS32_DEP_1)
	v_fma_f32 v62, -v56, v58, 1.0
	v_fma_f32 v63, -v57, v61, 1.0
	s_delay_alu instid0(VALU_DEP_1) | instskip(SKIP_1) | instid1(VALU_DEP_1)
	v_dual_fmac_f32 v58, v62, v58 :: v_dual_fmac_f32 v61, v63, v61
	v_div_scale_f32 v62, s7, v50, v60, v50
	v_dual_mul_f32 v63, v64, v58 :: v_dual_mul_f32 v65, v62, v61
	s_delay_alu instid0(VALU_DEP_1) | instskip(NEXT) | instid1(VALU_DEP_1)
	v_dual_fma_f32 v66, -v56, v63, v64 :: v_dual_fma_f32 v67, -v57, v65, v62
	v_dual_fmac_f32 v63, v66, v58 :: v_dual_fmac_f32 v65, v67, v61
	s_delay_alu instid0(VALU_DEP_1) | instskip(NEXT) | instid1(VALU_DEP_1)
	v_dual_fma_f32 v56, -v56, v63, v64 :: v_dual_fma_f32 v57, -v57, v65, v62
	v_div_fmas_f32 v56, v56, v58, v63
	s_mov_b32 vcc_lo, s7
	s_delay_alu instid0(VALU_DEP_2) | instskip(NEXT) | instid1(VALU_DEP_2)
	v_div_fmas_f32 v57, v57, v61, v65
	v_div_fixup_f32 v56, v56, v59, v51
	s_delay_alu instid0(VALU_DEP_2)
	v_div_fixup_f32 v58, v57, v60, v50
.LBB74_66:                              ;   in Loop: Header=BB74_4 Depth=1
	s_or_b32 exec_lo, exec_lo, s30
.LBB74_67:                              ;   in Loop: Header=BB74_4 Depth=1
	s_and_not1_saveexec_b32 s7, s29
	s_cbranch_execz .LBB74_69
; %bb.68:                               ;   in Loop: Header=BB74_4 Depth=1
	v_div_scale_f32 v56, null, v53, v53, v52
	v_div_scale_f32 v61, vcc_lo, v52, v53, v52
	s_delay_alu instid0(VALU_DEP_2) | instskip(SKIP_1) | instid1(TRANS32_DEP_1)
	v_rcp_f32_e32 v57, v56
	v_nop
	v_fma_f32 v58, -v56, v57, 1.0
	s_delay_alu instid0(VALU_DEP_1) | instskip(NEXT) | instid1(VALU_DEP_1)
	v_fmac_f32_e32 v57, v58, v57
	v_mul_f32_e32 v58, v61, v57
	s_delay_alu instid0(VALU_DEP_1) | instskip(NEXT) | instid1(VALU_DEP_1)
	v_fma_f32 v62, -v56, v58, v61
	v_fmac_f32_e32 v58, v62, v57
	s_delay_alu instid0(VALU_DEP_1) | instskip(NEXT) | instid1(VALU_DEP_1)
	v_fma_f32 v56, -v56, v58, v61
	v_div_fmas_f32 v56, v56, v57, v58
	s_delay_alu instid0(VALU_DEP_1) | instskip(NEXT) | instid1(VALU_DEP_1)
	v_div_fixup_f32 v56, v56, v53, v52
	v_fma_f32 v57, v52, v56, v53
	s_delay_alu instid0(VALU_DEP_1) | instskip(SKIP_1) | instid1(VALU_DEP_2)
	v_div_scale_f32 v58, null, v57, v57, 1.0
	v_div_scale_f32 v63, vcc_lo, 1.0, v57, 1.0
	v_rcp_f32_e32 v61, v58
	v_nop
	s_delay_alu instid0(TRANS32_DEP_1) | instskip(NEXT) | instid1(VALU_DEP_1)
	v_fma_f32 v62, -v58, v61, 1.0
	v_fmac_f32_e32 v61, v62, v61
	s_delay_alu instid0(VALU_DEP_1) | instskip(NEXT) | instid1(VALU_DEP_1)
	v_mul_f32_e32 v62, v63, v61
	v_fma_f32 v64, -v58, v62, v63
	s_delay_alu instid0(VALU_DEP_1) | instskip(NEXT) | instid1(VALU_DEP_1)
	v_fmac_f32_e32 v62, v64, v61
	v_fma_f32 v58, -v58, v62, v63
	s_delay_alu instid0(VALU_DEP_1) | instskip(SKIP_1) | instid1(VALU_DEP_2)
	v_div_fmas_f32 v58, v58, v61, v62
	v_fma_f32 v61, v51, v56, v50
	v_div_fixup_f32 v57, v58, v57, 1.0
	s_delay_alu instid0(VALU_DEP_1) | instskip(NEXT) | instid1(VALU_DEP_1)
	v_dual_fma_f32 v58, v50, v56, -v51 :: v_dual_mul_f32 v56, v61, v57
	v_mul_f32_e32 v58, v58, v57
.LBB74_69:                              ;   in Loop: Header=BB74_4 Depth=1
	s_or_b32 exec_lo, exec_lo, s7
	v_mov_b64_e32 v[62:63], s[12:13]
	v_mov_b64_e32 v[64:65], s[22:23]
	s_mov_b32 s7, 0
	s_delay_alu instid0(VALU_DEP_2) | instskip(NEXT) | instid1(VALU_DEP_2)
	v_pk_mul_f32 v[62:63], v[58:59], v[62:63] op_sel_hi:[0,1]
	v_pk_mul_f32 v[66:67], v[56:57], v[64:65] op_sel_hi:[0,1]
	s_delay_alu instid0(VALU_DEP_2) | instskip(NEXT) | instid1(VALU_DEP_2)
	v_pk_fma_f32 v[56:57], v[56:57], v[64:65], v[62:63] op_sel_hi:[0,1,1] neg_lo:[0,0,1] neg_hi:[0,0,1]
	v_add_f32_e32 v56, v66, v62
.LBB74_70:                              ;   in Loop: Header=BB74_4 Depth=1
	s_and_b32 vcc_lo, exec_lo, s7
	s_cbranch_vccz .LBB74_80
; %bb.71:                               ;   in Loop: Header=BB74_4 Depth=1
                                        ; implicit-def: $vgpr57
	s_and_saveexec_b32 s7, s6
	s_delay_alu instid0(SALU_CYCLE_1)
	s_xor_b32 s7, exec_lo, s7
	s_cbranch_execz .LBB74_77
; %bb.72:                               ;   in Loop: Header=BB74_4 Depth=1
	v_cmp_neq_f32_e32 vcc_lo, 0, v52
	v_cmp_neq_f32_e64 s6, 0, v53
                                        ; implicit-def: $vgpr57
	s_or_b32 s6, s6, vcc_lo
	s_delay_alu instid0(SALU_CYCLE_1) | instskip(NEXT) | instid1(SALU_CYCLE_1)
	s_and_saveexec_b32 s29, s6
	s_xor_b32 s6, exec_lo, s29
	s_cbranch_execz .LBB74_74
; %bb.73:                               ;   in Loop: Header=BB74_4 Depth=1
	v_div_scale_f32 v56, null, v52, v52, v53
	v_div_scale_f32 v59, vcc_lo, v53, v52, v53
	s_delay_alu instid0(VALU_DEP_2) | instskip(SKIP_1) | instid1(TRANS32_DEP_1)
	v_rcp_f32_e32 v57, v56
	v_nop
	v_fma_f32 v58, -v56, v57, 1.0
	s_delay_alu instid0(VALU_DEP_1) | instskip(NEXT) | instid1(VALU_DEP_1)
	v_fmac_f32_e32 v57, v58, v57
	v_mul_f32_e32 v58, v59, v57
	s_delay_alu instid0(VALU_DEP_1) | instskip(NEXT) | instid1(VALU_DEP_1)
	v_fma_f32 v60, -v56, v58, v59
	v_fmac_f32_e32 v58, v60, v57
	s_delay_alu instid0(VALU_DEP_1) | instskip(NEXT) | instid1(VALU_DEP_1)
	v_fma_f32 v56, -v56, v58, v59
	v_div_fmas_f32 v56, v56, v57, v58
	s_delay_alu instid0(VALU_DEP_1) | instskip(NEXT) | instid1(VALU_DEP_1)
	v_div_fixup_f32 v56, v56, v52, v53
	v_fmac_f32_e32 v52, v53, v56
	s_delay_alu instid0(VALU_DEP_1) | instskip(SKIP_1) | instid1(VALU_DEP_2)
	v_div_scale_f32 v53, null, v52, v52, 1.0
	v_div_scale_f32 v59, vcc_lo, 1.0, v52, 1.0
	v_rcp_f32_e32 v57, v53
	v_nop
	s_delay_alu instid0(TRANS32_DEP_1) | instskip(NEXT) | instid1(VALU_DEP_1)
	v_fma_f32 v58, -v53, v57, 1.0
	v_fmac_f32_e32 v57, v58, v57
	s_delay_alu instid0(VALU_DEP_1) | instskip(NEXT) | instid1(VALU_DEP_1)
	v_mul_f32_e32 v58, v59, v57
	v_fma_f32 v60, -v53, v58, v59
	s_delay_alu instid0(VALU_DEP_1) | instskip(NEXT) | instid1(VALU_DEP_1)
	v_fmac_f32_e32 v58, v60, v57
                                        ; implicit-def: $vgpr60
	v_fma_f32 v53, -v53, v58, v59
	s_delay_alu instid0(VALU_DEP_1) | instskip(SKIP_2) | instid1(VALU_DEP_3)
	v_div_fmas_f32 v53, v53, v57, v58
	v_pk_fma_f32 v[58:59], v[50:51], v[56:57], v[50:51] op_sel:[1,0,0] op_sel_hi:[0,0,1]
	v_pk_fma_f32 v[50:51], v[50:51], v[56:57], v[50:51] op_sel:[1,0,0] op_sel_hi:[0,1,1] neg_lo:[1,0,0] neg_hi:[1,0,0]
	v_div_fixup_f32 v52, v53, v52, 1.0
	s_delay_alu instid0(VALU_DEP_3) | instskip(NEXT) | instid1(VALU_DEP_1)
	v_mov_b32_e32 v51, v59
                                        ; implicit-def: $vgpr59
	v_pk_mul_f32 v[56:57], v[50:51], v[52:53] op_sel_hi:[1,0]
                                        ; implicit-def: $vgpr50_vgpr51
.LBB74_74:                              ;   in Loop: Header=BB74_4 Depth=1
	s_and_not1_saveexec_b32 s29, s6
	s_cbranch_execz .LBB74_76
; %bb.75:                               ;   in Loop: Header=BB74_4 Depth=1
	v_div_scale_f32 v52, null, v60, v60, v50
	v_div_scale_f32 v53, null, v59, v59, v51
	v_div_scale_f32 v62, vcc_lo, v50, v60, v50
	s_delay_alu instid0(VALU_DEP_3) | instskip(NEXT) | instid1(VALU_DEP_2)
	v_rcp_f32_e32 v56, v52
	v_rcp_f32_e32 v57, v53
	s_delay_alu instid0(TRANS32_DEP_2) | instskip(NEXT) | instid1(TRANS32_DEP_1)
	v_fma_f32 v58, -v52, v56, 1.0
	v_fma_f32 v61, -v53, v57, 1.0
	s_delay_alu instid0(VALU_DEP_1) | instskip(SKIP_1) | instid1(VALU_DEP_1)
	v_dual_fmac_f32 v56, v58, v56 :: v_dual_fmac_f32 v57, v61, v57
	v_div_scale_f32 v58, s6, v51, v59, v51
	v_mul_f32_e32 v63, v58, v57
	s_delay_alu instid0(VALU_DEP_1) | instskip(NEXT) | instid1(VALU_DEP_1)
	v_dual_mul_f32 v61, v62, v56 :: v_dual_fma_f32 v65, -v53, v63, v58
	v_fma_f32 v64, -v52, v61, v62
	s_delay_alu instid0(VALU_DEP_1) | instskip(NEXT) | instid1(VALU_DEP_1)
	v_dual_fmac_f32 v61, v64, v56 :: v_dual_fmac_f32 v63, v65, v57
	v_fma_f32 v52, -v52, v61, v62
	s_delay_alu instid0(VALU_DEP_2) | instskip(NEXT) | instid1(VALU_DEP_2)
	v_fma_f32 v53, -v53, v63, v58
	v_div_fmas_f32 v52, v52, v56, v61
	s_mov_b32 vcc_lo, s6
	s_delay_alu instid0(VALU_DEP_2) | instskip(NEXT) | instid1(VALU_DEP_2)
	v_div_fmas_f32 v53, v53, v57, v63
	v_div_fixup_f32 v56, v52, v60, v50
	s_delay_alu instid0(VALU_DEP_2)
	v_div_fixup_f32 v57, v53, v59, v51
.LBB74_76:                              ;   in Loop: Header=BB74_4 Depth=1
	s_or_b32 exec_lo, exec_lo, s29
                                        ; implicit-def: $vgpr53
                                        ; implicit-def: $vgpr50_vgpr51
.LBB74_77:                              ;   in Loop: Header=BB74_4 Depth=1
	s_and_not1_saveexec_b32 s6, s7
	s_cbranch_execz .LBB74_79
; %bb.78:                               ;   in Loop: Header=BB74_4 Depth=1
	v_div_scale_f32 v56, null, v53, v53, v52
	v_div_scale_f32 v59, vcc_lo, v52, v53, v52
	s_delay_alu instid0(VALU_DEP_2) | instskip(SKIP_1) | instid1(TRANS32_DEP_1)
	v_rcp_f32_e32 v57, v56
	v_nop
	v_fma_f32 v58, -v56, v57, 1.0
	s_delay_alu instid0(VALU_DEP_1) | instskip(NEXT) | instid1(VALU_DEP_1)
	v_fmac_f32_e32 v57, v58, v57
	v_mul_f32_e32 v58, v59, v57
	s_delay_alu instid0(VALU_DEP_1) | instskip(NEXT) | instid1(VALU_DEP_1)
	v_fma_f32 v60, -v56, v58, v59
	v_fmac_f32_e32 v58, v60, v57
	s_delay_alu instid0(VALU_DEP_1) | instskip(NEXT) | instid1(VALU_DEP_1)
	v_fma_f32 v56, -v56, v58, v59
	v_div_fmas_f32 v56, v56, v57, v58
	s_delay_alu instid0(VALU_DEP_1) | instskip(NEXT) | instid1(VALU_DEP_1)
	v_div_fixup_f32 v56, v56, v53, v52
	v_fmac_f32_e32 v53, v52, v56
	s_delay_alu instid0(VALU_DEP_1) | instskip(SKIP_1) | instid1(VALU_DEP_2)
	v_div_scale_f32 v52, null, v53, v53, 1.0
	v_div_scale_f32 v59, vcc_lo, 1.0, v53, 1.0
	v_rcp_f32_e32 v57, v52
	v_nop
	s_delay_alu instid0(TRANS32_DEP_1) | instskip(NEXT) | instid1(VALU_DEP_1)
	v_fma_f32 v58, -v52, v57, 1.0
	v_fmac_f32_e32 v57, v58, v57
	s_delay_alu instid0(VALU_DEP_1) | instskip(NEXT) | instid1(VALU_DEP_1)
	v_mul_f32_e32 v58, v59, v57
	v_fma_f32 v60, -v52, v58, v59
	s_delay_alu instid0(VALU_DEP_1) | instskip(NEXT) | instid1(VALU_DEP_1)
	v_fmac_f32_e32 v58, v60, v57
	v_fma_f32 v52, -v52, v58, v59
	s_delay_alu instid0(VALU_DEP_1) | instskip(SKIP_2) | instid1(VALU_DEP_3)
	v_div_fmas_f32 v52, v52, v57, v58
	v_pk_fma_f32 v[58:59], v[50:51], v[56:57], v[50:51] op_sel:[0,0,1] op_sel_hi:[1,0,0]
	v_pk_fma_f32 v[50:51], v[50:51], v[56:57], v[50:51] op_sel:[0,0,1] op_sel_hi:[1,1,0] neg_lo:[0,0,1] neg_hi:[0,0,1]
	v_div_fixup_f32 v52, v52, v53, 1.0
	s_delay_alu instid0(VALU_DEP_3) | instskip(NEXT) | instid1(VALU_DEP_1)
	v_mov_b32_e32 v51, v59
	v_pk_mul_f32 v[56:57], v[50:51], v[52:53] op_sel_hi:[1,0]
.LBB74_79:                              ;   in Loop: Header=BB74_4 Depth=1
	s_or_b32 exec_lo, exec_lo, s6
.LBB74_80:                              ;   in Loop: Header=BB74_4 Depth=1
	v_cmp_gt_f32_e32 vcc_lo, 0, v46
	s_mov_b32 s7, -1
                                        ; implicit-def: $vgpr51
	v_cndmask_b32_e64 v53, v46, -v46, vcc_lo
	v_cmp_gt_f32_e32 vcc_lo, 0, v47
	v_cndmask_b32_e64 v58, v47, -v47, vcc_lo
	s_and_not1_b32 vcc_lo, exec_lo, s28
	s_delay_alu instid0(VALU_DEP_1)
	v_cmp_ge_f32_e64 s6, v53, v58
	s_cbranch_vccz .LBB74_86
; %bb.81:                               ;   in Loop: Header=BB74_4 Depth=1
	s_and_b32 vcc_lo, exec_lo, s7
	s_cbranch_vccnz .LBB74_95
.LBB74_82:                              ;   in Loop: Header=BB74_4 Depth=1
	s_and_saveexec_b32 s6, s2
	s_delay_alu instid0(SALU_CYCLE_1)
	s_xor_b32 s2, exec_lo, s6
	s_cbranch_execnz .LBB74_104
.LBB74_83:                              ;   in Loop: Header=BB74_4 Depth=1
	s_or_b32 exec_lo, exec_lo, s2
	s_and_saveexec_b32 s2, s3
	s_cbranch_execnz .LBB74_105
.LBB74_84:                              ;   in Loop: Header=BB74_4 Depth=1
	s_or_b32 exec_lo, exec_lo, s2
	s_and_saveexec_b32 s2, s4
	s_cbranch_execnz .LBB74_106
.LBB74_85:                              ;   in Loop: Header=BB74_4 Depth=1
	s_or_b32 exec_lo, exec_lo, s2
	s_and_saveexec_b32 s2, s5
	s_cbranch_execz .LBB74_3
	s_branch .LBB74_107
.LBB74_86:                              ;   in Loop: Header=BB74_4 Depth=1
                                        ; implicit-def: $vgpr52
                                        ; implicit-def: $vgpr50
	s_and_saveexec_b32 s7, s6
	s_delay_alu instid0(SALU_CYCLE_1)
	s_xor_b32 s29, exec_lo, s7
	s_cbranch_execz .LBB74_92
; %bb.87:                               ;   in Loop: Header=BB74_4 Depth=1
	v_cmp_neq_f32_e32 vcc_lo, 0, v46
	v_cmp_neq_f32_e64 s7, 0, v47
                                        ; implicit-def: $vgpr52
                                        ; implicit-def: $vgpr50
	s_or_b32 s7, s7, vcc_lo
	s_delay_alu instid0(SALU_CYCLE_1) | instskip(NEXT) | instid1(SALU_CYCLE_1)
	s_and_saveexec_b32 s30, s7
	s_xor_b32 s7, exec_lo, s30
	s_cbranch_execz .LBB74_89
; %bb.88:                               ;   in Loop: Header=BB74_4 Depth=1
	v_div_scale_f32 v50, null, v46, v46, v47
	v_div_scale_f32 v59, vcc_lo, v47, v46, v47
	s_delay_alu instid0(VALU_DEP_2) | instskip(SKIP_1) | instid1(TRANS32_DEP_1)
	v_rcp_f32_e32 v51, v50
	v_nop
	v_fma_f32 v52, -v50, v51, 1.0
	s_delay_alu instid0(VALU_DEP_1) | instskip(NEXT) | instid1(VALU_DEP_1)
	v_fmac_f32_e32 v51, v52, v51
	v_mul_f32_e32 v52, v59, v51
	s_delay_alu instid0(VALU_DEP_1) | instskip(NEXT) | instid1(VALU_DEP_1)
	v_fma_f32 v60, -v50, v52, v59
	v_fmac_f32_e32 v52, v60, v51
	s_delay_alu instid0(VALU_DEP_1) | instskip(NEXT) | instid1(VALU_DEP_1)
	v_fma_f32 v50, -v50, v52, v59
	v_div_fmas_f32 v50, v50, v51, v52
	s_delay_alu instid0(VALU_DEP_1) | instskip(NEXT) | instid1(VALU_DEP_1)
	v_div_fixup_f32 v50, v50, v46, v47
	v_fma_f32 v51, v47, v50, v46
	s_delay_alu instid0(VALU_DEP_1) | instskip(SKIP_1) | instid1(VALU_DEP_2)
	v_div_scale_f32 v52, null, v51, v51, 1.0
	v_div_scale_f32 v61, vcc_lo, 1.0, v51, 1.0
	v_rcp_f32_e32 v59, v52
	v_nop
	s_delay_alu instid0(TRANS32_DEP_1) | instskip(NEXT) | instid1(VALU_DEP_1)
	v_fma_f32 v60, -v52, v59, 1.0
	v_fmac_f32_e32 v59, v60, v59
	s_delay_alu instid0(VALU_DEP_1) | instskip(NEXT) | instid1(VALU_DEP_1)
	v_mul_f32_e32 v60, v61, v59
	v_fma_f32 v62, -v52, v60, v61
	s_delay_alu instid0(VALU_DEP_1) | instskip(NEXT) | instid1(VALU_DEP_1)
	v_fmac_f32_e32 v60, v62, v59
	v_fma_f32 v52, -v52, v60, v61
	s_delay_alu instid0(VALU_DEP_1) | instskip(SKIP_1) | instid1(VALU_DEP_2)
	v_div_fmas_f32 v52, v52, v59, v60
	v_fma_f32 v59, v44, v50, v45
	v_div_fixup_f32 v51, v52, v51, 1.0
	s_delay_alu instid0(VALU_DEP_1) | instskip(NEXT) | instid1(VALU_DEP_1)
	v_dual_fma_f32 v52, -v45, v50, v44 :: v_dual_mul_f32 v50, v59, v51
	v_mul_f32_e32 v52, v52, v51
.LBB74_89:                              ;   in Loop: Header=BB74_4 Depth=1
	s_and_not1_saveexec_b32 s30, s7
	s_cbranch_execz .LBB74_91
; %bb.90:                               ;   in Loop: Header=BB74_4 Depth=1
	v_div_scale_f32 v50, null, v53, v53, v45
	v_div_scale_f32 v51, null, v58, v58, v44
	v_div_scale_f32 v62, vcc_lo, v45, v53, v45
	s_delay_alu instid0(VALU_DEP_3) | instskip(NEXT) | instid1(VALU_DEP_2)
	v_rcp_f32_e32 v52, v50
	v_rcp_f32_e32 v59, v51
	s_delay_alu instid0(TRANS32_DEP_2) | instskip(NEXT) | instid1(TRANS32_DEP_1)
	v_fma_f32 v60, -v50, v52, 1.0
	v_fma_f32 v61, -v51, v59, 1.0
	s_delay_alu instid0(VALU_DEP_1) | instskip(SKIP_1) | instid1(VALU_DEP_1)
	v_dual_fmac_f32 v52, v60, v52 :: v_dual_fmac_f32 v59, v61, v59
	v_div_scale_f32 v60, s7, v44, v58, v44
	v_dual_mul_f32 v61, v62, v52 :: v_dual_mul_f32 v63, v60, v59
	s_delay_alu instid0(VALU_DEP_1) | instskip(NEXT) | instid1(VALU_DEP_1)
	v_dual_fma_f32 v64, -v50, v61, v62 :: v_dual_fma_f32 v65, -v51, v63, v60
	v_dual_fmac_f32 v61, v64, v52 :: v_dual_fmac_f32 v63, v65, v59
	s_delay_alu instid0(VALU_DEP_1) | instskip(NEXT) | instid1(VALU_DEP_1)
	v_dual_fma_f32 v50, -v50, v61, v62 :: v_dual_fma_f32 v51, -v51, v63, v60
	v_div_fmas_f32 v50, v50, v52, v61
	s_mov_b32 vcc_lo, s7
	s_delay_alu instid0(VALU_DEP_2) | instskip(NEXT) | instid1(VALU_DEP_2)
	v_div_fmas_f32 v51, v51, v59, v63
	v_div_fixup_f32 v50, v50, v53, v45
	s_delay_alu instid0(VALU_DEP_2)
	v_div_fixup_f32 v52, v51, v58, v44
.LBB74_91:                              ;   in Loop: Header=BB74_4 Depth=1
	s_or_b32 exec_lo, exec_lo, s30
.LBB74_92:                              ;   in Loop: Header=BB74_4 Depth=1
	s_and_not1_saveexec_b32 s7, s29
	s_cbranch_execz .LBB74_94
; %bb.93:                               ;   in Loop: Header=BB74_4 Depth=1
	v_div_scale_f32 v50, null, v47, v47, v46
	v_div_scale_f32 v59, vcc_lo, v46, v47, v46
	s_delay_alu instid0(VALU_DEP_2) | instskip(SKIP_1) | instid1(TRANS32_DEP_1)
	v_rcp_f32_e32 v51, v50
	v_nop
	v_fma_f32 v52, -v50, v51, 1.0
	s_delay_alu instid0(VALU_DEP_1) | instskip(NEXT) | instid1(VALU_DEP_1)
	v_fmac_f32_e32 v51, v52, v51
	v_mul_f32_e32 v52, v59, v51
	s_delay_alu instid0(VALU_DEP_1) | instskip(NEXT) | instid1(VALU_DEP_1)
	v_fma_f32 v60, -v50, v52, v59
	v_fmac_f32_e32 v52, v60, v51
	s_delay_alu instid0(VALU_DEP_1) | instskip(NEXT) | instid1(VALU_DEP_1)
	v_fma_f32 v50, -v50, v52, v59
	v_div_fmas_f32 v50, v50, v51, v52
	s_delay_alu instid0(VALU_DEP_1) | instskip(NEXT) | instid1(VALU_DEP_1)
	v_div_fixup_f32 v50, v50, v47, v46
	v_fma_f32 v51, v46, v50, v47
	s_delay_alu instid0(VALU_DEP_1) | instskip(SKIP_1) | instid1(VALU_DEP_2)
	v_div_scale_f32 v52, null, v51, v51, 1.0
	v_div_scale_f32 v61, vcc_lo, 1.0, v51, 1.0
	v_rcp_f32_e32 v59, v52
	v_nop
	s_delay_alu instid0(TRANS32_DEP_1) | instskip(NEXT) | instid1(VALU_DEP_1)
	v_fma_f32 v60, -v52, v59, 1.0
	v_fmac_f32_e32 v59, v60, v59
	s_delay_alu instid0(VALU_DEP_1) | instskip(NEXT) | instid1(VALU_DEP_1)
	v_mul_f32_e32 v60, v61, v59
	v_fma_f32 v62, -v52, v60, v61
	s_delay_alu instid0(VALU_DEP_1) | instskip(NEXT) | instid1(VALU_DEP_1)
	v_fmac_f32_e32 v60, v62, v59
	v_fma_f32 v52, -v52, v60, v61
	s_delay_alu instid0(VALU_DEP_1) | instskip(SKIP_1) | instid1(VALU_DEP_2)
	v_div_fmas_f32 v52, v52, v59, v60
	v_fma_f32 v59, v45, v50, v44
	v_div_fixup_f32 v51, v52, v51, 1.0
	s_delay_alu instid0(VALU_DEP_1) | instskip(NEXT) | instid1(VALU_DEP_1)
	v_dual_fma_f32 v52, v44, v50, -v45 :: v_dual_mul_f32 v50, v59, v51
	v_mul_f32_e32 v52, v52, v51
.LBB74_94:                              ;   in Loop: Header=BB74_4 Depth=1
	s_or_b32 exec_lo, exec_lo, s7
	v_mov_b64_e32 v[60:61], s[12:13]
	v_mov_b64_e32 v[62:63], s[22:23]
	s_delay_alu instid0(VALU_DEP_2) | instskip(NEXT) | instid1(VALU_DEP_2)
	v_pk_mul_f32 v[60:61], v[52:53], v[60:61] op_sel_hi:[0,1]
	v_pk_mul_f32 v[64:65], v[50:51], v[62:63] op_sel_hi:[0,1]
	s_delay_alu instid0(VALU_DEP_2) | instskip(NEXT) | instid1(VALU_DEP_2)
	v_pk_fma_f32 v[50:51], v[50:51], v[62:63], v[60:61] op_sel_hi:[0,1,1] neg_lo:[0,0,1] neg_hi:[0,0,1]
	v_add_f32_e32 v50, v64, v60
	s_branch .LBB74_82
.LBB74_95:                              ;   in Loop: Header=BB74_4 Depth=1
                                        ; implicit-def: $vgpr51
	s_and_saveexec_b32 s7, s6
	s_delay_alu instid0(SALU_CYCLE_1)
	s_xor_b32 s7, exec_lo, s7
	s_cbranch_execz .LBB74_101
; %bb.96:                               ;   in Loop: Header=BB74_4 Depth=1
	v_cmp_neq_f32_e32 vcc_lo, 0, v46
	v_cmp_neq_f32_e64 s6, 0, v47
                                        ; implicit-def: $vgpr51
	s_or_b32 s6, s6, vcc_lo
	s_delay_alu instid0(SALU_CYCLE_1) | instskip(NEXT) | instid1(SALU_CYCLE_1)
	s_and_saveexec_b32 s29, s6
	s_xor_b32 s6, exec_lo, s29
	s_cbranch_execz .LBB74_98
; %bb.97:                               ;   in Loop: Header=BB74_4 Depth=1
	v_div_scale_f32 v50, null, v46, v46, v47
	v_div_scale_f32 v53, vcc_lo, v47, v46, v47
	s_delay_alu instid0(VALU_DEP_2) | instskip(SKIP_1) | instid1(TRANS32_DEP_1)
	v_rcp_f32_e32 v51, v50
	v_nop
	v_fma_f32 v52, -v50, v51, 1.0
	s_delay_alu instid0(VALU_DEP_1) | instskip(NEXT) | instid1(VALU_DEP_1)
	v_fmac_f32_e32 v51, v52, v51
	v_mul_f32_e32 v52, v53, v51
	s_delay_alu instid0(VALU_DEP_1) | instskip(NEXT) | instid1(VALU_DEP_1)
	v_fma_f32 v58, -v50, v52, v53
	v_fmac_f32_e32 v52, v58, v51
	s_delay_alu instid0(VALU_DEP_1) | instskip(NEXT) | instid1(VALU_DEP_1)
	v_fma_f32 v50, -v50, v52, v53
	v_div_fmas_f32 v50, v50, v51, v52
	s_delay_alu instid0(VALU_DEP_1) | instskip(NEXT) | instid1(VALU_DEP_1)
	v_div_fixup_f32 v50, v50, v46, v47
	v_fmac_f32_e32 v46, v47, v50
	s_delay_alu instid0(VALU_DEP_1) | instskip(SKIP_1) | instid1(VALU_DEP_2)
	v_div_scale_f32 v47, null, v46, v46, 1.0
	v_div_scale_f32 v53, vcc_lo, 1.0, v46, 1.0
	v_rcp_f32_e32 v51, v47
	v_nop
	s_delay_alu instid0(TRANS32_DEP_1) | instskip(NEXT) | instid1(VALU_DEP_1)
	v_fma_f32 v52, -v47, v51, 1.0
	v_fmac_f32_e32 v51, v52, v51
	s_delay_alu instid0(VALU_DEP_1) | instskip(NEXT) | instid1(VALU_DEP_1)
	v_mul_f32_e32 v52, v53, v51
	v_fma_f32 v58, -v47, v52, v53
	s_delay_alu instid0(VALU_DEP_1) | instskip(NEXT) | instid1(VALU_DEP_1)
	v_fmac_f32_e32 v52, v58, v51
                                        ; implicit-def: $vgpr58
	v_fma_f32 v47, -v47, v52, v53
	s_delay_alu instid0(VALU_DEP_1) | instskip(SKIP_2) | instid1(VALU_DEP_3)
	v_div_fmas_f32 v47, v47, v51, v52
	v_pk_fma_f32 v[52:53], v[44:45], v[50:51], v[44:45] op_sel:[1,0,0] op_sel_hi:[0,0,1]
	v_pk_fma_f32 v[44:45], v[44:45], v[50:51], v[44:45] op_sel:[1,0,0] op_sel_hi:[0,1,1] neg_lo:[1,0,0] neg_hi:[1,0,0]
	v_div_fixup_f32 v46, v47, v46, 1.0
	s_delay_alu instid0(VALU_DEP_3) | instskip(NEXT) | instid1(VALU_DEP_1)
	v_mov_b32_e32 v45, v53
                                        ; implicit-def: $vgpr53
	v_pk_mul_f32 v[50:51], v[44:45], v[46:47] op_sel_hi:[1,0]
                                        ; implicit-def: $vgpr44_vgpr45
.LBB74_98:                              ;   in Loop: Header=BB74_4 Depth=1
	s_and_not1_saveexec_b32 s29, s6
	s_cbranch_execz .LBB74_100
; %bb.99:                               ;   in Loop: Header=BB74_4 Depth=1
	v_div_scale_f32 v46, null, v58, v58, v44
	v_div_scale_f32 v47, null, v53, v53, v45
	v_div_scale_f32 v60, vcc_lo, v44, v58, v44
	s_delay_alu instid0(VALU_DEP_3) | instskip(NEXT) | instid1(VALU_DEP_2)
	v_rcp_f32_e32 v50, v46
	v_rcp_f32_e32 v51, v47
	s_delay_alu instid0(TRANS32_DEP_2) | instskip(NEXT) | instid1(TRANS32_DEP_1)
	v_fma_f32 v52, -v46, v50, 1.0
	v_fma_f32 v59, -v47, v51, 1.0
	s_delay_alu instid0(VALU_DEP_1) | instskip(SKIP_1) | instid1(VALU_DEP_1)
	v_dual_fmac_f32 v50, v52, v50 :: v_dual_fmac_f32 v51, v59, v51
	v_div_scale_f32 v52, s6, v45, v53, v45
	v_mul_f32_e32 v61, v52, v51
	s_delay_alu instid0(VALU_DEP_1) | instskip(NEXT) | instid1(VALU_DEP_1)
	v_dual_mul_f32 v59, v60, v50 :: v_dual_fma_f32 v63, -v47, v61, v52
	v_fma_f32 v62, -v46, v59, v60
	s_delay_alu instid0(VALU_DEP_1) | instskip(NEXT) | instid1(VALU_DEP_1)
	v_dual_fmac_f32 v59, v62, v50 :: v_dual_fmac_f32 v61, v63, v51
	v_fma_f32 v46, -v46, v59, v60
	s_delay_alu instid0(VALU_DEP_2) | instskip(NEXT) | instid1(VALU_DEP_2)
	v_fma_f32 v47, -v47, v61, v52
	v_div_fmas_f32 v46, v46, v50, v59
	s_mov_b32 vcc_lo, s6
	s_delay_alu instid0(VALU_DEP_2) | instskip(NEXT) | instid1(VALU_DEP_2)
	v_div_fmas_f32 v47, v47, v51, v61
	v_div_fixup_f32 v50, v46, v58, v44
	s_delay_alu instid0(VALU_DEP_2)
	v_div_fixup_f32 v51, v47, v53, v45
.LBB74_100:                             ;   in Loop: Header=BB74_4 Depth=1
	s_or_b32 exec_lo, exec_lo, s29
                                        ; implicit-def: $vgpr47
                                        ; implicit-def: $vgpr44_vgpr45
.LBB74_101:                             ;   in Loop: Header=BB74_4 Depth=1
	s_and_not1_saveexec_b32 s6, s7
	s_cbranch_execz .LBB74_103
; %bb.102:                              ;   in Loop: Header=BB74_4 Depth=1
	v_div_scale_f32 v50, null, v47, v47, v46
	v_div_scale_f32 v53, vcc_lo, v46, v47, v46
	s_delay_alu instid0(VALU_DEP_2) | instskip(SKIP_1) | instid1(TRANS32_DEP_1)
	v_rcp_f32_e32 v51, v50
	v_nop
	v_fma_f32 v52, -v50, v51, 1.0
	s_delay_alu instid0(VALU_DEP_1) | instskip(NEXT) | instid1(VALU_DEP_1)
	v_fmac_f32_e32 v51, v52, v51
	v_mul_f32_e32 v52, v53, v51
	s_delay_alu instid0(VALU_DEP_1) | instskip(NEXT) | instid1(VALU_DEP_1)
	v_fma_f32 v58, -v50, v52, v53
	v_fmac_f32_e32 v52, v58, v51
	s_delay_alu instid0(VALU_DEP_1) | instskip(NEXT) | instid1(VALU_DEP_1)
	v_fma_f32 v50, -v50, v52, v53
	v_div_fmas_f32 v50, v50, v51, v52
	s_delay_alu instid0(VALU_DEP_1) | instskip(NEXT) | instid1(VALU_DEP_1)
	v_div_fixup_f32 v50, v50, v47, v46
	v_fmac_f32_e32 v47, v46, v50
	s_delay_alu instid0(VALU_DEP_1) | instskip(SKIP_1) | instid1(VALU_DEP_2)
	v_div_scale_f32 v46, null, v47, v47, 1.0
	v_div_scale_f32 v53, vcc_lo, 1.0, v47, 1.0
	v_rcp_f32_e32 v51, v46
	v_nop
	s_delay_alu instid0(TRANS32_DEP_1) | instskip(NEXT) | instid1(VALU_DEP_1)
	v_fma_f32 v52, -v46, v51, 1.0
	v_fmac_f32_e32 v51, v52, v51
	s_delay_alu instid0(VALU_DEP_1) | instskip(NEXT) | instid1(VALU_DEP_1)
	v_mul_f32_e32 v52, v53, v51
	v_fma_f32 v58, -v46, v52, v53
	s_delay_alu instid0(VALU_DEP_1) | instskip(NEXT) | instid1(VALU_DEP_1)
	v_fmac_f32_e32 v52, v58, v51
	v_fma_f32 v46, -v46, v52, v53
	s_delay_alu instid0(VALU_DEP_1) | instskip(SKIP_2) | instid1(VALU_DEP_3)
	v_div_fmas_f32 v46, v46, v51, v52
	v_pk_fma_f32 v[52:53], v[44:45], v[50:51], v[44:45] op_sel:[0,0,1] op_sel_hi:[1,0,0]
	v_pk_fma_f32 v[44:45], v[44:45], v[50:51], v[44:45] op_sel:[0,0,1] op_sel_hi:[1,1,0] neg_lo:[0,0,1] neg_hi:[0,0,1]
	v_div_fixup_f32 v46, v46, v47, 1.0
	s_delay_alu instid0(VALU_DEP_3) | instskip(NEXT) | instid1(VALU_DEP_1)
	v_mov_b32_e32 v45, v53
	v_pk_mul_f32 v[50:51], v[44:45], v[46:47] op_sel_hi:[1,0]
.LBB74_103:                             ;   in Loop: Header=BB74_4 Depth=1
	s_or_b32 exec_lo, exec_lo, s6
	s_and_saveexec_b32 s6, s2
	s_delay_alu instid0(SALU_CYCLE_1)
	s_xor_b32 s2, exec_lo, s6
	s_cbranch_execz .LBB74_83
.LBB74_104:                             ;   in Loop: Header=BB74_4 Depth=1
	v_add_nc_u64_e32 v[44:45], s[16:17], v[6:7]
	v_dual_add_f32 v36, v36, v49 :: v_dual_add_f32 v37, v37, v48
	global_store_b64 v[44:45], v[36:37], off
	s_wait_xcnt 0x0
	s_or_b32 exec_lo, exec_lo, s2
	s_and_saveexec_b32 s2, s3
	s_cbranch_execz .LBB74_84
.LBB74_105:                             ;   in Loop: Header=BB74_4 Depth=1
	v_add_nc_u64_e32 v[36:37], s[16:17], v[24:25]
	v_dual_add_f32 v38, v38, v55 :: v_dual_add_f32 v39, v39, v54
	global_store_b64 v[36:37], v[38:39], off
	s_wait_xcnt 0x0
	s_or_b32 exec_lo, exec_lo, s2
	s_and_saveexec_b32 s2, s4
	s_cbranch_execz .LBB74_85
.LBB74_106:                             ;   in Loop: Header=BB74_4 Depth=1
	v_add_nc_u64_e32 v[36:37], s[16:17], v[26:27]
	v_dual_add_f32 v38, v40, v57 :: v_dual_add_f32 v39, v41, v56
	global_store_b64 v[36:37], v[38:39], off
	s_wait_xcnt 0x0
	s_or_b32 exec_lo, exec_lo, s2
	s_and_saveexec_b32 s2, s5
	s_cbranch_execz .LBB74_3
.LBB74_107:                             ;   in Loop: Header=BB74_4 Depth=1
	v_add_nc_u64_e32 v[36:37], s[16:17], v[18:19]
	v_dual_add_f32 v38, v42, v51 :: v_dual_add_f32 v39, v43, v50
	global_store_b64 v[36:37], v[38:39], off
	s_branch .LBB74_3
.LBB74_108:
	s_mov_b32 s20, 0
.LBB74_109:
	s_delay_alu instid0(SALU_CYCLE_1)
	s_and_not1_b32 vcc_lo, exec_lo, s20
	s_cbranch_vccnz .LBB74_193
; %bb.110:
	v_min_i64 v[26:27], 0x10000, s[18:19]
	v_dual_mov_b32 v29, 0 :: v_dual_lshlrev_b32 v28, 2, v0
	s_mov_b32 s2, exec_lo
	s_delay_alu instid0(VALU_DEP_1)
	v_cmpx_lt_i64_e64 v[28:29], v[26:27]
	s_cbranch_execz .LBB74_193
; %bb.111:
	s_load_b32 s0, s[0:1], 0xc64
	s_cmp_neq_f32 s12, 1.0
	v_dual_mov_b32 v1, v29 :: v_dual_lshlrev_b32 v28, 5, v0
	s_mov_b32 s3, 0
	s_wait_xcnt 0x0
	s_cselect_b32 s1, -1, 0
	s_and_b32 s2, s13, 0x7fffffff
	s_mov_b32 s4, s13
	s_cmp_lg_u32 s2, 0
	s_mov_b32 s5, s12
	s_cselect_b32 s6, -1, 0
	s_mov_b32 s7, s3
	s_or_b32 s16, s1, s6
	s_mov_b32 s17, s3
	s_wait_kmcnt 0x0
	s_and_b32 s2, s0, 0xffff
	s_delay_alu instid0(SALU_CYCLE_1)
	s_lshl_b32 s6, s2, 5
	s_branch .LBB74_114
.LBB74_112:                             ;   in Loop: Header=BB74_114 Depth=1
	s_or_b32 exec_lo, exec_lo, s0
.LBB74_113:                             ;   in Loop: Header=BB74_114 Depth=1
	v_add_nc_u64_e32 v[0:1], s[2:3], v[0:1]
	s_wait_loadcnt 0x0
	v_dual_add_f32 v8, v8, v18 :: v_dual_add_f32 v9, v9, v19
	v_dual_add_f32 v6, v6, v32 :: v_dual_add_f32 v7, v7, v33
	;; [unrolled: 1-line block ×3, first 2 shown]
	s_delay_alu instid0(VALU_DEP_4)
	v_lshlrev_b64_e32 v[12:13], 2, v[0:1]
	v_dual_add_f32 v4, v4, v10 :: v_dual_add_f32 v5, v5, v11
	s_add_nc_u64 s[10:11], s[10:11], s[6:7]
	s_add_nc_u64 s[14:15], s[14:15], s[6:7]
	;; [unrolled: 1-line block ×3, first 2 shown]
	s_clause 0x1
	global_store_b128 v[30:31], v[6:9], off
	global_store_b128 v[30:31], v[2:5], off offset:16
	v_cmp_ge_i64_e32 vcc_lo, v[12:13], v[26:27]
	s_or_b32 s17, vcc_lo, s17
	s_wait_xcnt 0x0
	s_and_not1_b32 exec_lo, exec_lo, s17
	s_cbranch_execz .LBB74_193
.LBB74_114:                             ; =>This Inner Loop Header: Depth=1
	v_add_nc_u64_e32 v[32:33], s[10:11], v[28:29]
	v_add_nc_u64_e32 v[30:31], s[14:15], v[28:29]
	;; [unrolled: 1-line block ×3, first 2 shown]
	s_mov_b32 s1, -1
	s_clause 0x1
	global_load_b128 v[22:25], v[32:33], off
	global_load_b128 v[14:17], v[32:33], off offset:16
	s_clause 0x1
	global_load_b128 v[2:5], v[30:31], off offset:16
	global_load_b128 v[6:9], v[30:31], off
	s_clause 0x1
	global_load_b128 v[10:13], v[34:35], off offset:16
	global_load_b128 v[18:21], v[34:35], off
                                        ; implicit-def: $vgpr33
	s_wait_loadcnt 0x5
	v_cmp_gt_f32_e32 vcc_lo, 0, v23
	s_wait_xcnt 0x0
	v_cndmask_b32_e64 v35, v23, -v23, vcc_lo
	v_cmp_gt_f32_e32 vcc_lo, 0, v22
	v_cndmask_b32_e64 v36, v22, -v22, vcc_lo
	s_and_b32 vcc_lo, exec_lo, s16
	s_delay_alu instid0(VALU_DEP_1)
	v_cmp_ge_f32_e64 s0, v36, v35
	s_cbranch_vccz .LBB74_124
; %bb.115:                              ;   in Loop: Header=BB74_114 Depth=1
                                        ; implicit-def: $vgpr34
                                        ; implicit-def: $vgpr32
	s_and_saveexec_b32 s1, s0
	s_delay_alu instid0(SALU_CYCLE_1)
	s_xor_b32 s18, exec_lo, s1
	s_cbranch_execz .LBB74_121
; %bb.116:                              ;   in Loop: Header=BB74_114 Depth=1
	v_cmp_neq_f32_e32 vcc_lo, 0, v22
	v_cmp_neq_f32_e64 s1, 0, v23
                                        ; implicit-def: $vgpr34
                                        ; implicit-def: $vgpr32
	s_or_b32 s1, vcc_lo, s1
	s_delay_alu instid0(SALU_CYCLE_1) | instskip(NEXT) | instid1(SALU_CYCLE_1)
	s_and_saveexec_b32 s19, s1
	s_xor_b32 s1, exec_lo, s19
	s_cbranch_execz .LBB74_118
; %bb.117:                              ;   in Loop: Header=BB74_114 Depth=1
	v_div_scale_f32 v32, null, v22, v22, v23
	v_div_scale_f32 v37, vcc_lo, v23, v22, v23
	s_delay_alu instid0(VALU_DEP_2) | instskip(SKIP_1) | instid1(TRANS32_DEP_1)
	v_rcp_f32_e32 v33, v32
	v_nop
	v_fma_f32 v34, -v32, v33, 1.0
	s_delay_alu instid0(VALU_DEP_1) | instskip(NEXT) | instid1(VALU_DEP_1)
	v_fmac_f32_e32 v33, v34, v33
	v_mul_f32_e32 v34, v37, v33
	s_delay_alu instid0(VALU_DEP_1) | instskip(NEXT) | instid1(VALU_DEP_1)
	v_fma_f32 v38, -v32, v34, v37
	v_fmac_f32_e32 v34, v38, v33
	s_delay_alu instid0(VALU_DEP_1) | instskip(NEXT) | instid1(VALU_DEP_1)
	v_fma_f32 v32, -v32, v34, v37
	v_div_fmas_f32 v32, v32, v33, v34
	s_delay_alu instid0(VALU_DEP_1) | instskip(NEXT) | instid1(VALU_DEP_1)
	v_div_fixup_f32 v32, v32, v22, v23
	v_fma_f32 v33, v23, v32, v22
	s_delay_alu instid0(VALU_DEP_1) | instskip(SKIP_1) | instid1(VALU_DEP_2)
	v_div_scale_f32 v34, null, v33, v33, 1.0
	v_div_scale_f32 v39, vcc_lo, 1.0, v33, 1.0
	v_rcp_f32_e32 v37, v34
	v_nop
	s_delay_alu instid0(TRANS32_DEP_1) | instskip(NEXT) | instid1(VALU_DEP_1)
	v_fma_f32 v38, -v34, v37, 1.0
	v_fmac_f32_e32 v37, v38, v37
	s_delay_alu instid0(VALU_DEP_1) | instskip(NEXT) | instid1(VALU_DEP_1)
	v_mul_f32_e32 v38, v39, v37
	v_fma_f32 v40, -v34, v38, v39
	s_delay_alu instid0(VALU_DEP_1) | instskip(NEXT) | instid1(VALU_DEP_1)
	v_fmac_f32_e32 v38, v40, v37
	v_fma_f32 v34, -v34, v38, v39
	s_delay_alu instid0(VALU_DEP_1) | instskip(SKIP_2) | instid1(VALU_DEP_2)
	v_div_fmas_f32 v34, v34, v37, v38
	s_wait_loadcnt 0x0
	v_fma_f32 v37, v19, v32, v18
	v_div_fixup_f32 v33, v34, v33, 1.0
	s_delay_alu instid0(VALU_DEP_1) | instskip(NEXT) | instid1(VALU_DEP_1)
	v_dual_fma_f32 v34, -v18, v32, v19 :: v_dual_mul_f32 v32, v37, v33
	v_mul_f32_e32 v34, v34, v33
.LBB74_118:                             ;   in Loop: Header=BB74_114 Depth=1
	s_and_not1_saveexec_b32 s19, s1
	s_cbranch_execz .LBB74_120
; %bb.119:                              ;   in Loop: Header=BB74_114 Depth=1
	s_wait_loadcnt 0x0
	v_div_scale_f32 v32, null, v36, v36, v18
	v_div_scale_f32 v33, null, v35, v35, v19
	v_div_scale_f32 v40, vcc_lo, v18, v36, v18
	s_delay_alu instid0(VALU_DEP_3) | instskip(NEXT) | instid1(VALU_DEP_2)
	v_rcp_f32_e32 v34, v32
	v_rcp_f32_e32 v37, v33
	s_delay_alu instid0(TRANS32_DEP_2) | instskip(NEXT) | instid1(TRANS32_DEP_1)
	v_fma_f32 v38, -v32, v34, 1.0
	v_fma_f32 v39, -v33, v37, 1.0
	s_delay_alu instid0(VALU_DEP_1) | instskip(SKIP_1) | instid1(VALU_DEP_1)
	v_dual_fmac_f32 v34, v38, v34 :: v_dual_fmac_f32 v37, v39, v37
	v_div_scale_f32 v38, s1, v19, v35, v19
	v_dual_mul_f32 v39, v40, v34 :: v_dual_mul_f32 v41, v38, v37
	s_delay_alu instid0(VALU_DEP_1) | instskip(NEXT) | instid1(VALU_DEP_1)
	v_dual_fma_f32 v42, -v32, v39, v40 :: v_dual_fma_f32 v43, -v33, v41, v38
	v_dual_fmac_f32 v39, v42, v34 :: v_dual_fmac_f32 v41, v43, v37
	s_delay_alu instid0(VALU_DEP_1) | instskip(NEXT) | instid1(VALU_DEP_1)
	v_dual_fma_f32 v32, -v32, v39, v40 :: v_dual_fma_f32 v33, -v33, v41, v38
	v_div_fmas_f32 v32, v32, v34, v39
	s_mov_b32 vcc_lo, s1
	s_delay_alu instid0(VALU_DEP_2) | instskip(NEXT) | instid1(VALU_DEP_2)
	v_div_fmas_f32 v33, v33, v37, v41
	v_div_fixup_f32 v32, v32, v36, v18
	s_delay_alu instid0(VALU_DEP_2)
	v_div_fixup_f32 v34, v33, v35, v19
.LBB74_120:                             ;   in Loop: Header=BB74_114 Depth=1
	s_or_b32 exec_lo, exec_lo, s19
.LBB74_121:                             ;   in Loop: Header=BB74_114 Depth=1
	s_and_not1_saveexec_b32 s1, s18
	s_cbranch_execz .LBB74_123
; %bb.122:                              ;   in Loop: Header=BB74_114 Depth=1
	v_div_scale_f32 v32, null, v23, v23, v22
	v_div_scale_f32 v37, vcc_lo, v22, v23, v22
	s_delay_alu instid0(VALU_DEP_2) | instskip(SKIP_1) | instid1(TRANS32_DEP_1)
	v_rcp_f32_e32 v33, v32
	v_nop
	v_fma_f32 v34, -v32, v33, 1.0
	s_delay_alu instid0(VALU_DEP_1) | instskip(NEXT) | instid1(VALU_DEP_1)
	v_fmac_f32_e32 v33, v34, v33
	v_mul_f32_e32 v34, v37, v33
	s_delay_alu instid0(VALU_DEP_1) | instskip(NEXT) | instid1(VALU_DEP_1)
	v_fma_f32 v38, -v32, v34, v37
	v_fmac_f32_e32 v34, v38, v33
	s_delay_alu instid0(VALU_DEP_1) | instskip(NEXT) | instid1(VALU_DEP_1)
	v_fma_f32 v32, -v32, v34, v37
	v_div_fmas_f32 v32, v32, v33, v34
	s_delay_alu instid0(VALU_DEP_1) | instskip(NEXT) | instid1(VALU_DEP_1)
	v_div_fixup_f32 v32, v32, v23, v22
	v_fma_f32 v33, v22, v32, v23
	s_delay_alu instid0(VALU_DEP_1) | instskip(SKIP_1) | instid1(VALU_DEP_2)
	v_div_scale_f32 v34, null, v33, v33, 1.0
	v_div_scale_f32 v39, vcc_lo, 1.0, v33, 1.0
	v_rcp_f32_e32 v37, v34
	v_nop
	s_delay_alu instid0(TRANS32_DEP_1) | instskip(NEXT) | instid1(VALU_DEP_1)
	v_fma_f32 v38, -v34, v37, 1.0
	v_fmac_f32_e32 v37, v38, v37
	s_delay_alu instid0(VALU_DEP_1) | instskip(NEXT) | instid1(VALU_DEP_1)
	v_mul_f32_e32 v38, v39, v37
	v_fma_f32 v40, -v34, v38, v39
	s_delay_alu instid0(VALU_DEP_1) | instskip(NEXT) | instid1(VALU_DEP_1)
	v_fmac_f32_e32 v38, v40, v37
	v_fma_f32 v34, -v34, v38, v39
	s_delay_alu instid0(VALU_DEP_1) | instskip(SKIP_2) | instid1(VALU_DEP_2)
	v_div_fmas_f32 v34, v34, v37, v38
	s_wait_loadcnt 0x0
	v_fma_f32 v37, v18, v32, v19
	v_div_fixup_f32 v33, v34, v33, 1.0
	s_delay_alu instid0(VALU_DEP_1) | instskip(NEXT) | instid1(VALU_DEP_1)
	v_dual_fma_f32 v34, v19, v32, -v18 :: v_dual_mul_f32 v32, v37, v33
	v_mul_f32_e32 v34, v34, v33
.LBB74_123:                             ;   in Loop: Header=BB74_114 Depth=1
	s_or_b32 exec_lo, exec_lo, s1
	v_mov_b64_e32 v[38:39], s[4:5]
	v_mov_b64_e32 v[40:41], s[12:13]
	s_mov_b32 s1, 0
	s_delay_alu instid0(VALU_DEP_2) | instskip(NEXT) | instid1(VALU_DEP_2)
	v_pk_mul_f32 v[38:39], v[34:35], v[38:39] op_sel_hi:[0,1]
	v_pk_mul_f32 v[42:43], v[32:33], v[40:41] op_sel_hi:[0,1]
	s_delay_alu instid0(VALU_DEP_2) | instskip(NEXT) | instid1(VALU_DEP_2)
	v_pk_fma_f32 v[32:33], v[32:33], v[40:41], v[38:39] op_sel_hi:[0,1,1]
	v_sub_f32_e32 v32, v42, v38
.LBB74_124:                             ;   in Loop: Header=BB74_114 Depth=1
	s_and_b32 vcc_lo, exec_lo, s1
	s_cbranch_vccz .LBB74_134
; %bb.125:                              ;   in Loop: Header=BB74_114 Depth=1
                                        ; implicit-def: $vgpr33
	s_and_saveexec_b32 s1, s0
	s_delay_alu instid0(SALU_CYCLE_1)
	s_xor_b32 s1, exec_lo, s1
	s_cbranch_execz .LBB74_131
; %bb.126:                              ;   in Loop: Header=BB74_114 Depth=1
	v_cmp_neq_f32_e32 vcc_lo, 0, v22
	v_cmp_neq_f32_e64 s0, 0, v23
                                        ; implicit-def: $vgpr33
	s_or_b32 s0, vcc_lo, s0
	s_delay_alu instid0(SALU_CYCLE_1) | instskip(NEXT) | instid1(SALU_CYCLE_1)
	s_and_saveexec_b32 s18, s0
	s_xor_b32 s0, exec_lo, s18
	s_cbranch_execz .LBB74_128
; %bb.127:                              ;   in Loop: Header=BB74_114 Depth=1
	v_div_scale_f32 v32, null, v22, v22, v23
	v_div_scale_f32 v35, vcc_lo, v23, v22, v23
	s_delay_alu instid0(VALU_DEP_2) | instskip(SKIP_1) | instid1(TRANS32_DEP_1)
	v_rcp_f32_e32 v33, v32
	v_nop
	v_fma_f32 v34, -v32, v33, 1.0
	s_delay_alu instid0(VALU_DEP_1) | instskip(NEXT) | instid1(VALU_DEP_1)
	v_fmac_f32_e32 v33, v34, v33
	v_mul_f32_e32 v34, v35, v33
	s_delay_alu instid0(VALU_DEP_1) | instskip(NEXT) | instid1(VALU_DEP_1)
	v_fma_f32 v36, -v32, v34, v35
	v_fmac_f32_e32 v34, v36, v33
	s_delay_alu instid0(VALU_DEP_1) | instskip(NEXT) | instid1(VALU_DEP_1)
	v_fma_f32 v32, -v32, v34, v35
	v_div_fmas_f32 v32, v32, v33, v34
	s_delay_alu instid0(VALU_DEP_1) | instskip(NEXT) | instid1(VALU_DEP_1)
	v_div_fixup_f32 v32, v32, v22, v23
	v_fma_f32 v36, v23, v32, v22
	s_delay_alu instid0(VALU_DEP_1) | instskip(SKIP_1) | instid1(VALU_DEP_2)
	v_div_scale_f32 v33, null, v36, v36, 1.0
	v_div_scale_f32 v37, vcc_lo, 1.0, v36, 1.0
	v_rcp_f32_e32 v34, v33
	v_nop
	s_delay_alu instid0(TRANS32_DEP_1) | instskip(NEXT) | instid1(VALU_DEP_1)
	v_fma_f32 v35, -v33, v34, 1.0
	v_fmac_f32_e32 v34, v35, v34
	s_delay_alu instid0(VALU_DEP_1) | instskip(NEXT) | instid1(VALU_DEP_1)
	v_mul_f32_e32 v35, v37, v34
	v_fma_f32 v38, -v33, v35, v37
	s_delay_alu instid0(VALU_DEP_1) | instskip(NEXT) | instid1(VALU_DEP_1)
	v_fmac_f32_e32 v35, v38, v34
	v_fma_f32 v33, -v33, v35, v37
	s_delay_alu instid0(VALU_DEP_1) | instskip(SKIP_3) | instid1(VALU_DEP_3)
	v_div_fmas_f32 v37, v33, v34, v35
	s_wait_loadcnt 0x0
	v_pk_fma_f32 v[34:35], v[18:19], v[32:33], v[18:19] op_sel:[1,0,0] op_sel_hi:[0,0,1] neg_lo:[1,0,0] neg_hi:[1,0,0]
	v_pk_fma_f32 v[32:33], v[18:19], v[32:33], v[18:19] op_sel:[1,0,0] op_sel_hi:[0,0,1]
	v_div_fixup_f32 v34, v37, v36, 1.0
	s_delay_alu instid0(VALU_DEP_3) | instskip(NEXT) | instid1(VALU_DEP_1)
	v_mov_b32_e32 v33, v35
                                        ; implicit-def: $vgpr36
	v_pk_mul_f32 v[32:33], v[32:33], v[34:35] op_sel_hi:[1,0]
                                        ; implicit-def: $vgpr35
.LBB74_128:                             ;   in Loop: Header=BB74_114 Depth=1
	s_and_not1_saveexec_b32 s18, s0
	s_cbranch_execz .LBB74_130
; %bb.129:                              ;   in Loop: Header=BB74_114 Depth=1
	s_wait_loadcnt 0x0
	v_div_scale_f32 v32, null, v36, v36, v18
	v_div_scale_f32 v33, null, v35, v35, v19
	v_div_scale_f32 v40, vcc_lo, v18, v36, v18
	s_delay_alu instid0(VALU_DEP_3) | instskip(NEXT) | instid1(VALU_DEP_2)
	v_rcp_f32_e32 v34, v32
	v_rcp_f32_e32 v37, v33
	s_delay_alu instid0(TRANS32_DEP_2) | instskip(NEXT) | instid1(TRANS32_DEP_1)
	v_fma_f32 v38, -v32, v34, 1.0
	v_fma_f32 v39, -v33, v37, 1.0
	s_delay_alu instid0(VALU_DEP_1) | instskip(SKIP_1) | instid1(VALU_DEP_1)
	v_dual_fmac_f32 v34, v38, v34 :: v_dual_fmac_f32 v37, v39, v37
	v_div_scale_f32 v38, s0, v19, v35, v19
	v_dual_mul_f32 v39, v40, v34 :: v_dual_mul_f32 v41, v38, v37
	s_delay_alu instid0(VALU_DEP_1) | instskip(NEXT) | instid1(VALU_DEP_1)
	v_dual_fma_f32 v42, -v32, v39, v40 :: v_dual_fma_f32 v43, -v33, v41, v38
	v_dual_fmac_f32 v39, v42, v34 :: v_dual_fmac_f32 v41, v43, v37
	s_delay_alu instid0(VALU_DEP_1) | instskip(NEXT) | instid1(VALU_DEP_1)
	v_dual_fma_f32 v32, -v32, v39, v40 :: v_dual_fma_f32 v33, -v33, v41, v38
	v_div_fmas_f32 v32, v32, v34, v39
	s_mov_b32 vcc_lo, s0
	s_delay_alu instid0(VALU_DEP_2) | instskip(NEXT) | instid1(VALU_DEP_2)
	v_div_fmas_f32 v33, v33, v37, v41
	v_div_fixup_f32 v32, v32, v36, v18
	s_delay_alu instid0(VALU_DEP_2)
	v_div_fixup_f32 v33, v33, v35, v19
.LBB74_130:                             ;   in Loop: Header=BB74_114 Depth=1
	s_or_b32 exec_lo, exec_lo, s18
.LBB74_131:                             ;   in Loop: Header=BB74_114 Depth=1
	s_and_not1_saveexec_b32 s0, s1
	s_cbranch_execz .LBB74_133
; %bb.132:                              ;   in Loop: Header=BB74_114 Depth=1
	v_div_scale_f32 v32, null, v23, v23, v22
	v_div_scale_f32 v35, vcc_lo, v22, v23, v22
	s_delay_alu instid0(VALU_DEP_2) | instskip(SKIP_1) | instid1(TRANS32_DEP_1)
	v_rcp_f32_e32 v33, v32
	v_nop
	v_fma_f32 v34, -v32, v33, 1.0
	s_delay_alu instid0(VALU_DEP_1) | instskip(NEXT) | instid1(VALU_DEP_1)
	v_fmac_f32_e32 v33, v34, v33
	v_mul_f32_e32 v34, v35, v33
	s_delay_alu instid0(VALU_DEP_1) | instskip(NEXT) | instid1(VALU_DEP_1)
	v_fma_f32 v36, -v32, v34, v35
	v_fmac_f32_e32 v34, v36, v33
	s_delay_alu instid0(VALU_DEP_1) | instskip(NEXT) | instid1(VALU_DEP_1)
	v_fma_f32 v32, -v32, v34, v35
	v_div_fmas_f32 v32, v32, v33, v34
	s_delay_alu instid0(VALU_DEP_1) | instskip(NEXT) | instid1(VALU_DEP_1)
	v_div_fixup_f32 v32, v32, v23, v22
	v_fma_f32 v33, v22, v32, v23
	s_delay_alu instid0(VALU_DEP_1) | instskip(SKIP_1) | instid1(VALU_DEP_2)
	v_div_scale_f32 v22, null, v33, v33, 1.0
	v_div_scale_f32 v35, vcc_lo, 1.0, v33, 1.0
	v_rcp_f32_e32 v23, v22
	v_nop
	s_delay_alu instid0(TRANS32_DEP_1) | instskip(NEXT) | instid1(VALU_DEP_1)
	v_fma_f32 v34, -v22, v23, 1.0
	v_fmac_f32_e32 v23, v34, v23
	s_delay_alu instid0(VALU_DEP_1) | instskip(NEXT) | instid1(VALU_DEP_1)
	v_mul_f32_e32 v34, v35, v23
	v_fma_f32 v36, -v22, v34, v35
	s_delay_alu instid0(VALU_DEP_1) | instskip(NEXT) | instid1(VALU_DEP_1)
	v_fmac_f32_e32 v34, v36, v23
	v_fma_f32 v22, -v22, v34, v35
	s_delay_alu instid0(VALU_DEP_1) | instskip(SKIP_3) | instid1(VALU_DEP_3)
	v_div_fmas_f32 v34, v22, v23, v34
	s_wait_loadcnt 0x0
	v_pk_fma_f32 v[22:23], v[18:19], v[32:33], v[18:19] op_sel:[0,0,1] op_sel_hi:[1,0,0] neg_lo:[0,0,1] neg_hi:[0,0,1]
	v_pk_fma_f32 v[18:19], v[18:19], v[32:33], v[18:19] op_sel:[0,0,1] op_sel_hi:[1,0,0]
	v_div_fixup_f32 v22, v34, v33, 1.0
	s_delay_alu instid0(VALU_DEP_3) | instskip(NEXT) | instid1(VALU_DEP_1)
	v_mov_b32_e32 v19, v23
	v_pk_mul_f32 v[32:33], v[18:19], v[22:23] op_sel_hi:[1,0]
.LBB74_133:                             ;   in Loop: Header=BB74_114 Depth=1
	s_or_b32 exec_lo, exec_lo, s0
.LBB74_134:                             ;   in Loop: Header=BB74_114 Depth=1
	v_cmp_gt_f32_e32 vcc_lo, 0, v25
	s_mov_b32 s1, -1
                                        ; implicit-def: $vgpr19
	v_cndmask_b32_e64 v23, v25, -v25, vcc_lo
	v_cmp_gt_f32_e32 vcc_lo, 0, v24
	v_cndmask_b32_e64 v34, v24, -v24, vcc_lo
	s_and_not1_b32 vcc_lo, exec_lo, s16
	s_delay_alu instid0(VALU_DEP_1)
	v_cmp_ge_f32_e64 s0, v34, v23
	s_cbranch_vccnz .LBB74_144
; %bb.135:                              ;   in Loop: Header=BB74_114 Depth=1
                                        ; implicit-def: $vgpr22
                                        ; implicit-def: $vgpr18
	s_and_saveexec_b32 s1, s0
	s_delay_alu instid0(SALU_CYCLE_1)
	s_xor_b32 s18, exec_lo, s1
	s_cbranch_execz .LBB74_141
; %bb.136:                              ;   in Loop: Header=BB74_114 Depth=1
	v_cmp_neq_f32_e32 vcc_lo, 0, v24
	v_cmp_neq_f32_e64 s1, 0, v25
                                        ; implicit-def: $vgpr22
                                        ; implicit-def: $vgpr18
	s_or_b32 s1, vcc_lo, s1
	s_delay_alu instid0(SALU_CYCLE_1) | instskip(NEXT) | instid1(SALU_CYCLE_1)
	s_and_saveexec_b32 s19, s1
	s_xor_b32 s1, exec_lo, s19
	s_cbranch_execz .LBB74_138
; %bb.137:                              ;   in Loop: Header=BB74_114 Depth=1
	s_wait_loadcnt 0x0
	v_div_scale_f32 v18, null, v24, v24, v25
	v_div_scale_f32 v35, vcc_lo, v25, v24, v25
	s_delay_alu instid0(VALU_DEP_2) | instskip(SKIP_1) | instid1(TRANS32_DEP_1)
	v_rcp_f32_e32 v19, v18
	v_nop
	v_fma_f32 v22, -v18, v19, 1.0
	s_delay_alu instid0(VALU_DEP_1) | instskip(NEXT) | instid1(VALU_DEP_1)
	v_fmac_f32_e32 v19, v22, v19
	v_mul_f32_e32 v22, v35, v19
	s_delay_alu instid0(VALU_DEP_1) | instskip(NEXT) | instid1(VALU_DEP_1)
	v_fma_f32 v36, -v18, v22, v35
	v_fmac_f32_e32 v22, v36, v19
	s_delay_alu instid0(VALU_DEP_1) | instskip(NEXT) | instid1(VALU_DEP_1)
	v_fma_f32 v18, -v18, v22, v35
	v_div_fmas_f32 v18, v18, v19, v22
	s_delay_alu instid0(VALU_DEP_1) | instskip(NEXT) | instid1(VALU_DEP_1)
	v_div_fixup_f32 v18, v18, v24, v25
	v_fma_f32 v19, v25, v18, v24
	s_delay_alu instid0(VALU_DEP_1) | instskip(SKIP_1) | instid1(VALU_DEP_2)
	v_div_scale_f32 v22, null, v19, v19, 1.0
	v_div_scale_f32 v37, vcc_lo, 1.0, v19, 1.0
	v_rcp_f32_e32 v35, v22
	v_nop
	s_delay_alu instid0(TRANS32_DEP_1) | instskip(NEXT) | instid1(VALU_DEP_1)
	v_fma_f32 v36, -v22, v35, 1.0
	v_fmac_f32_e32 v35, v36, v35
	s_delay_alu instid0(VALU_DEP_1) | instskip(NEXT) | instid1(VALU_DEP_1)
	v_mul_f32_e32 v36, v37, v35
	v_fma_f32 v38, -v22, v36, v37
	s_delay_alu instid0(VALU_DEP_1) | instskip(NEXT) | instid1(VALU_DEP_1)
	v_fmac_f32_e32 v36, v38, v35
	v_fma_f32 v22, -v22, v36, v37
	s_delay_alu instid0(VALU_DEP_1) | instskip(SKIP_1) | instid1(VALU_DEP_2)
	v_div_fmas_f32 v22, v22, v35, v36
	v_fma_f32 v35, v21, v18, v20
	v_div_fixup_f32 v19, v22, v19, 1.0
	s_delay_alu instid0(VALU_DEP_1) | instskip(NEXT) | instid1(VALU_DEP_1)
	v_dual_fma_f32 v22, -v20, v18, v21 :: v_dual_mul_f32 v18, v35, v19
	v_mul_f32_e32 v22, v22, v19
.LBB74_138:                             ;   in Loop: Header=BB74_114 Depth=1
	s_and_not1_saveexec_b32 s19, s1
	s_cbranch_execz .LBB74_140
; %bb.139:                              ;   in Loop: Header=BB74_114 Depth=1
	s_wait_loadcnt 0x0
	v_div_scale_f32 v18, null, v34, v34, v20
	v_div_scale_f32 v19, null, v23, v23, v21
	v_div_scale_f32 v38, vcc_lo, v20, v34, v20
	s_delay_alu instid0(VALU_DEP_3) | instskip(NEXT) | instid1(VALU_DEP_2)
	v_rcp_f32_e32 v22, v18
	v_rcp_f32_e32 v35, v19
	s_delay_alu instid0(TRANS32_DEP_2) | instskip(NEXT) | instid1(TRANS32_DEP_1)
	v_fma_f32 v36, -v18, v22, 1.0
	v_fma_f32 v37, -v19, v35, 1.0
	s_delay_alu instid0(VALU_DEP_1) | instskip(SKIP_1) | instid1(VALU_DEP_1)
	v_dual_fmac_f32 v22, v36, v22 :: v_dual_fmac_f32 v35, v37, v35
	v_div_scale_f32 v36, s1, v21, v23, v21
	v_dual_mul_f32 v37, v38, v22 :: v_dual_mul_f32 v39, v36, v35
	s_delay_alu instid0(VALU_DEP_1) | instskip(NEXT) | instid1(VALU_DEP_1)
	v_dual_fma_f32 v40, -v18, v37, v38 :: v_dual_fma_f32 v41, -v19, v39, v36
	v_dual_fmac_f32 v37, v40, v22 :: v_dual_fmac_f32 v39, v41, v35
	s_delay_alu instid0(VALU_DEP_1) | instskip(NEXT) | instid1(VALU_DEP_1)
	v_dual_fma_f32 v18, -v18, v37, v38 :: v_dual_fma_f32 v19, -v19, v39, v36
	v_div_fmas_f32 v18, v18, v22, v37
	s_mov_b32 vcc_lo, s1
	s_delay_alu instid0(VALU_DEP_2) | instskip(NEXT) | instid1(VALU_DEP_2)
	v_div_fmas_f32 v19, v19, v35, v39
	v_div_fixup_f32 v18, v18, v34, v20
	s_delay_alu instid0(VALU_DEP_2)
	v_div_fixup_f32 v22, v19, v23, v21
.LBB74_140:                             ;   in Loop: Header=BB74_114 Depth=1
	s_or_b32 exec_lo, exec_lo, s19
.LBB74_141:                             ;   in Loop: Header=BB74_114 Depth=1
	s_and_not1_saveexec_b32 s1, s18
	s_cbranch_execz .LBB74_143
; %bb.142:                              ;   in Loop: Header=BB74_114 Depth=1
	s_wait_loadcnt 0x0
	v_div_scale_f32 v18, null, v25, v25, v24
	v_div_scale_f32 v35, vcc_lo, v24, v25, v24
	s_delay_alu instid0(VALU_DEP_2) | instskip(SKIP_1) | instid1(TRANS32_DEP_1)
	v_rcp_f32_e32 v19, v18
	v_nop
	v_fma_f32 v22, -v18, v19, 1.0
	s_delay_alu instid0(VALU_DEP_1) | instskip(NEXT) | instid1(VALU_DEP_1)
	v_fmac_f32_e32 v19, v22, v19
	v_mul_f32_e32 v22, v35, v19
	s_delay_alu instid0(VALU_DEP_1) | instskip(NEXT) | instid1(VALU_DEP_1)
	v_fma_f32 v36, -v18, v22, v35
	v_fmac_f32_e32 v22, v36, v19
	s_delay_alu instid0(VALU_DEP_1) | instskip(NEXT) | instid1(VALU_DEP_1)
	v_fma_f32 v18, -v18, v22, v35
	v_div_fmas_f32 v18, v18, v19, v22
	s_delay_alu instid0(VALU_DEP_1) | instskip(NEXT) | instid1(VALU_DEP_1)
	v_div_fixup_f32 v18, v18, v25, v24
	v_fma_f32 v19, v24, v18, v25
	s_delay_alu instid0(VALU_DEP_1) | instskip(SKIP_1) | instid1(VALU_DEP_2)
	v_div_scale_f32 v22, null, v19, v19, 1.0
	v_div_scale_f32 v37, vcc_lo, 1.0, v19, 1.0
	v_rcp_f32_e32 v35, v22
	v_nop
	s_delay_alu instid0(TRANS32_DEP_1) | instskip(NEXT) | instid1(VALU_DEP_1)
	v_fma_f32 v36, -v22, v35, 1.0
	v_fmac_f32_e32 v35, v36, v35
	s_delay_alu instid0(VALU_DEP_1) | instskip(NEXT) | instid1(VALU_DEP_1)
	v_mul_f32_e32 v36, v37, v35
	v_fma_f32 v38, -v22, v36, v37
	s_delay_alu instid0(VALU_DEP_1) | instskip(NEXT) | instid1(VALU_DEP_1)
	v_fmac_f32_e32 v36, v38, v35
	v_fma_f32 v22, -v22, v36, v37
	s_delay_alu instid0(VALU_DEP_1) | instskip(SKIP_1) | instid1(VALU_DEP_2)
	v_div_fmas_f32 v22, v22, v35, v36
	v_fma_f32 v35, v20, v18, v21
	v_div_fixup_f32 v19, v22, v19, 1.0
	s_delay_alu instid0(VALU_DEP_1) | instskip(NEXT) | instid1(VALU_DEP_1)
	v_dual_fma_f32 v22, v21, v18, -v20 :: v_dual_mul_f32 v18, v35, v19
	v_mul_f32_e32 v22, v22, v19
.LBB74_143:                             ;   in Loop: Header=BB74_114 Depth=1
	s_or_b32 exec_lo, exec_lo, s1
	v_mov_b64_e32 v[36:37], s[4:5]
	v_mov_b64_e32 v[38:39], s[12:13]
	s_mov_b32 s1, 0
	s_delay_alu instid0(VALU_DEP_2) | instskip(SKIP_1) | instid1(VALU_DEP_2)
	v_pk_mul_f32 v[36:37], v[22:23], v[36:37] op_sel_hi:[0,1]
	s_wait_loadcnt 0x0
	v_pk_mul_f32 v[40:41], v[18:19], v[38:39] op_sel_hi:[0,1]
	s_delay_alu instid0(VALU_DEP_2) | instskip(NEXT) | instid1(VALU_DEP_2)
	v_pk_fma_f32 v[18:19], v[18:19], v[38:39], v[36:37] op_sel_hi:[0,1,1]
	v_sub_f32_e32 v18, v40, v36
.LBB74_144:                             ;   in Loop: Header=BB74_114 Depth=1
	s_and_b32 vcc_lo, exec_lo, s1
	s_cbranch_vccz .LBB74_154
; %bb.145:                              ;   in Loop: Header=BB74_114 Depth=1
                                        ; implicit-def: $vgpr19
	s_and_saveexec_b32 s1, s0
	s_delay_alu instid0(SALU_CYCLE_1)
	s_xor_b32 s1, exec_lo, s1
	s_cbranch_execz .LBB74_151
; %bb.146:                              ;   in Loop: Header=BB74_114 Depth=1
	v_cmp_neq_f32_e32 vcc_lo, 0, v24
	v_cmp_neq_f32_e64 s0, 0, v25
                                        ; implicit-def: $vgpr19
	s_or_b32 s0, vcc_lo, s0
	s_delay_alu instid0(SALU_CYCLE_1) | instskip(NEXT) | instid1(SALU_CYCLE_1)
	s_and_saveexec_b32 s18, s0
	s_xor_b32 s0, exec_lo, s18
	s_cbranch_execz .LBB74_148
; %bb.147:                              ;   in Loop: Header=BB74_114 Depth=1
	s_wait_loadcnt 0x0
	v_div_scale_f32 v18, null, v24, v24, v25
	v_div_scale_f32 v23, vcc_lo, v25, v24, v25
	s_delay_alu instid0(VALU_DEP_2) | instskip(SKIP_1) | instid1(TRANS32_DEP_1)
	v_rcp_f32_e32 v19, v18
	v_nop
	v_fma_f32 v22, -v18, v19, 1.0
	s_delay_alu instid0(VALU_DEP_1) | instskip(NEXT) | instid1(VALU_DEP_1)
	v_fmac_f32_e32 v19, v22, v19
	v_mul_f32_e32 v22, v23, v19
	s_delay_alu instid0(VALU_DEP_1) | instskip(NEXT) | instid1(VALU_DEP_1)
	v_fma_f32 v34, -v18, v22, v23
	v_fmac_f32_e32 v22, v34, v19
	s_delay_alu instid0(VALU_DEP_1) | instskip(NEXT) | instid1(VALU_DEP_1)
	v_fma_f32 v18, -v18, v22, v23
	v_div_fmas_f32 v18, v18, v19, v22
	s_delay_alu instid0(VALU_DEP_1) | instskip(NEXT) | instid1(VALU_DEP_1)
	v_div_fixup_f32 v18, v18, v24, v25
	v_fmac_f32_e32 v24, v25, v18
	s_delay_alu instid0(VALU_DEP_1) | instskip(SKIP_1) | instid1(VALU_DEP_2)
	v_div_scale_f32 v19, null, v24, v24, 1.0
	v_div_scale_f32 v25, vcc_lo, 1.0, v24, 1.0
	v_rcp_f32_e32 v22, v19
	v_nop
	s_delay_alu instid0(TRANS32_DEP_1) | instskip(NEXT) | instid1(VALU_DEP_1)
	v_fma_f32 v23, -v19, v22, 1.0
	v_fmac_f32_e32 v22, v23, v22
	s_delay_alu instid0(VALU_DEP_1) | instskip(NEXT) | instid1(VALU_DEP_1)
	v_mul_f32_e32 v23, v25, v22
	v_fma_f32 v34, -v19, v23, v25
	s_delay_alu instid0(VALU_DEP_1) | instskip(NEXT) | instid1(VALU_DEP_1)
	v_fmac_f32_e32 v23, v34, v22
                                        ; implicit-def: $vgpr34
	v_fma_f32 v19, -v19, v23, v25
	s_delay_alu instid0(VALU_DEP_1) | instskip(SKIP_2) | instid1(VALU_DEP_3)
	v_div_fmas_f32 v25, v19, v22, v23
	v_pk_fma_f32 v[22:23], v[20:21], v[18:19], v[20:21] op_sel:[1,0,0] op_sel_hi:[0,0,1] neg_lo:[1,0,0] neg_hi:[1,0,0]
	v_pk_fma_f32 v[18:19], v[20:21], v[18:19], v[20:21] op_sel:[1,0,0] op_sel_hi:[0,0,1]
	v_div_fixup_f32 v20, v25, v24, 1.0
	s_delay_alu instid0(VALU_DEP_3) | instskip(NEXT) | instid1(VALU_DEP_1)
	v_mov_b32_e32 v19, v23
                                        ; implicit-def: $vgpr23
	v_pk_mul_f32 v[18:19], v[18:19], v[20:21] op_sel_hi:[1,0]
                                        ; implicit-def: $vgpr20_vgpr21
.LBB74_148:                             ;   in Loop: Header=BB74_114 Depth=1
	s_and_not1_saveexec_b32 s18, s0
	s_cbranch_execz .LBB74_150
; %bb.149:                              ;   in Loop: Header=BB74_114 Depth=1
	s_wait_loadcnt 0x0
	v_div_scale_f32 v18, null, v34, v34, v20
	v_div_scale_f32 v19, null, v23, v23, v21
	v_div_scale_f32 v36, vcc_lo, v20, v34, v20
	s_delay_alu instid0(VALU_DEP_3) | instskip(NEXT) | instid1(VALU_DEP_2)
	v_rcp_f32_e32 v22, v18
	v_rcp_f32_e32 v24, v19
	s_delay_alu instid0(TRANS32_DEP_2) | instskip(NEXT) | instid1(TRANS32_DEP_1)
	v_fma_f32 v25, -v18, v22, 1.0
	v_fma_f32 v35, -v19, v24, 1.0
	s_delay_alu instid0(VALU_DEP_1) | instskip(SKIP_1) | instid1(VALU_DEP_1)
	v_dual_fmac_f32 v22, v25, v22 :: v_dual_fmac_f32 v24, v35, v24
	v_div_scale_f32 v25, s0, v21, v23, v21
	v_dual_mul_f32 v35, v36, v22 :: v_dual_mul_f32 v37, v25, v24
	s_delay_alu instid0(VALU_DEP_1) | instskip(NEXT) | instid1(VALU_DEP_1)
	v_dual_fma_f32 v38, -v18, v35, v36 :: v_dual_fma_f32 v39, -v19, v37, v25
	v_dual_fmac_f32 v35, v38, v22 :: v_dual_fmac_f32 v37, v39, v24
	s_delay_alu instid0(VALU_DEP_1) | instskip(NEXT) | instid1(VALU_DEP_1)
	v_dual_fma_f32 v18, -v18, v35, v36 :: v_dual_fma_f32 v19, -v19, v37, v25
	v_div_fmas_f32 v18, v18, v22, v35
	s_mov_b32 vcc_lo, s0
	s_delay_alu instid0(VALU_DEP_2) | instskip(NEXT) | instid1(VALU_DEP_2)
	v_div_fmas_f32 v19, v19, v24, v37
	v_div_fixup_f32 v18, v18, v34, v20
	s_delay_alu instid0(VALU_DEP_2)
	v_div_fixup_f32 v19, v19, v23, v21
.LBB74_150:                             ;   in Loop: Header=BB74_114 Depth=1
	s_or_b32 exec_lo, exec_lo, s18
                                        ; implicit-def: $vgpr22_vgpr23_vgpr24_vgpr25
                                        ; implicit-def: $vgpr20_vgpr21
.LBB74_151:                             ;   in Loop: Header=BB74_114 Depth=1
	s_and_not1_saveexec_b32 s0, s1
	s_cbranch_execz .LBB74_153
; %bb.152:                              ;   in Loop: Header=BB74_114 Depth=1
	s_wait_loadcnt 0x0
	v_div_scale_f32 v18, null, v25, v25, v24
	v_div_scale_f32 v23, vcc_lo, v24, v25, v24
	s_delay_alu instid0(VALU_DEP_2) | instskip(SKIP_1) | instid1(TRANS32_DEP_1)
	v_rcp_f32_e32 v19, v18
	v_nop
	v_fma_f32 v22, -v18, v19, 1.0
	s_delay_alu instid0(VALU_DEP_1) | instskip(NEXT) | instid1(VALU_DEP_1)
	v_fmac_f32_e32 v19, v22, v19
	v_mul_f32_e32 v22, v23, v19
	s_delay_alu instid0(VALU_DEP_1) | instskip(NEXT) | instid1(VALU_DEP_1)
	v_fma_f32 v34, -v18, v22, v23
	v_fmac_f32_e32 v22, v34, v19
	s_delay_alu instid0(VALU_DEP_1) | instskip(NEXT) | instid1(VALU_DEP_1)
	v_fma_f32 v18, -v18, v22, v23
	v_div_fmas_f32 v18, v18, v19, v22
	s_delay_alu instid0(VALU_DEP_1) | instskip(NEXT) | instid1(VALU_DEP_1)
	v_div_fixup_f32 v18, v18, v25, v24
	v_fmac_f32_e32 v25, v24, v18
	s_delay_alu instid0(VALU_DEP_1) | instskip(SKIP_1) | instid1(VALU_DEP_2)
	v_div_scale_f32 v19, null, v25, v25, 1.0
	v_div_scale_f32 v24, vcc_lo, 1.0, v25, 1.0
	v_rcp_f32_e32 v22, v19
	v_nop
	s_delay_alu instid0(TRANS32_DEP_1) | instskip(NEXT) | instid1(VALU_DEP_1)
	v_fma_f32 v23, -v19, v22, 1.0
	v_fmac_f32_e32 v22, v23, v22
	s_delay_alu instid0(VALU_DEP_1) | instskip(NEXT) | instid1(VALU_DEP_1)
	v_mul_f32_e32 v23, v24, v22
	v_fma_f32 v34, -v19, v23, v24
	s_delay_alu instid0(VALU_DEP_1) | instskip(NEXT) | instid1(VALU_DEP_1)
	v_fmac_f32_e32 v23, v34, v22
	v_fma_f32 v19, -v19, v23, v24
	s_delay_alu instid0(VALU_DEP_1) | instskip(SKIP_2) | instid1(VALU_DEP_3)
	v_div_fmas_f32 v24, v19, v22, v23
	v_pk_fma_f32 v[22:23], v[20:21], v[18:19], v[20:21] op_sel:[0,0,1] op_sel_hi:[1,0,0] neg_lo:[0,0,1] neg_hi:[0,0,1]
	v_pk_fma_f32 v[18:19], v[20:21], v[18:19], v[20:21] op_sel:[0,0,1] op_sel_hi:[1,0,0]
	v_div_fixup_f32 v20, v24, v25, 1.0
	s_delay_alu instid0(VALU_DEP_3) | instskip(NEXT) | instid1(VALU_DEP_1)
	v_mov_b32_e32 v19, v23
	v_pk_mul_f32 v[18:19], v[18:19], v[20:21] op_sel_hi:[1,0]
.LBB74_153:                             ;   in Loop: Header=BB74_114 Depth=1
	s_or_b32 exec_lo, exec_lo, s0
.LBB74_154:                             ;   in Loop: Header=BB74_114 Depth=1
	s_wait_loadcnt 0x4
	v_cmp_gt_f32_e32 vcc_lo, 0, v15
	s_mov_b32 s1, -1
                                        ; implicit-def: $vgpr21
	v_cndmask_b32_e64 v23, v15, -v15, vcc_lo
	v_cmp_gt_f32_e32 vcc_lo, 0, v14
	v_cndmask_b32_e64 v24, v14, -v14, vcc_lo
	s_and_not1_b32 vcc_lo, exec_lo, s16
	s_delay_alu instid0(VALU_DEP_1)
	v_cmp_ge_f32_e64 s0, v24, v23
	s_cbranch_vccnz .LBB74_164
; %bb.155:                              ;   in Loop: Header=BB74_114 Depth=1
                                        ; implicit-def: $vgpr22
                                        ; implicit-def: $vgpr20
	s_and_saveexec_b32 s1, s0
	s_delay_alu instid0(SALU_CYCLE_1)
	s_xor_b32 s18, exec_lo, s1
	s_cbranch_execz .LBB74_161
; %bb.156:                              ;   in Loop: Header=BB74_114 Depth=1
	v_cmp_neq_f32_e32 vcc_lo, 0, v14
	v_cmp_neq_f32_e64 s1, 0, v15
                                        ; implicit-def: $vgpr22
                                        ; implicit-def: $vgpr20
	s_or_b32 s1, vcc_lo, s1
	s_delay_alu instid0(SALU_CYCLE_1) | instskip(NEXT) | instid1(SALU_CYCLE_1)
	s_and_saveexec_b32 s19, s1
	s_xor_b32 s1, exec_lo, s19
	s_cbranch_execz .LBB74_158
; %bb.157:                              ;   in Loop: Header=BB74_114 Depth=1
	s_wait_loadcnt 0x0
	v_div_scale_f32 v20, null, v14, v14, v15
	v_div_scale_f32 v25, vcc_lo, v15, v14, v15
	s_delay_alu instid0(VALU_DEP_2) | instskip(SKIP_1) | instid1(TRANS32_DEP_1)
	v_rcp_f32_e32 v21, v20
	v_nop
	v_fma_f32 v22, -v20, v21, 1.0
	s_delay_alu instid0(VALU_DEP_1) | instskip(NEXT) | instid1(VALU_DEP_1)
	v_fmac_f32_e32 v21, v22, v21
	v_mul_f32_e32 v22, v25, v21
	s_delay_alu instid0(VALU_DEP_1) | instskip(NEXT) | instid1(VALU_DEP_1)
	v_fma_f32 v34, -v20, v22, v25
	v_fmac_f32_e32 v22, v34, v21
	s_delay_alu instid0(VALU_DEP_1) | instskip(NEXT) | instid1(VALU_DEP_1)
	v_fma_f32 v20, -v20, v22, v25
	v_div_fmas_f32 v20, v20, v21, v22
	s_delay_alu instid0(VALU_DEP_1) | instskip(NEXT) | instid1(VALU_DEP_1)
	v_div_fixup_f32 v20, v20, v14, v15
	v_fma_f32 v21, v15, v20, v14
	s_delay_alu instid0(VALU_DEP_1) | instskip(SKIP_1) | instid1(VALU_DEP_2)
	v_div_scale_f32 v22, null, v21, v21, 1.0
	v_div_scale_f32 v35, vcc_lo, 1.0, v21, 1.0
	v_rcp_f32_e32 v25, v22
	v_nop
	s_delay_alu instid0(TRANS32_DEP_1) | instskip(NEXT) | instid1(VALU_DEP_1)
	v_fma_f32 v34, -v22, v25, 1.0
	v_fmac_f32_e32 v25, v34, v25
	s_delay_alu instid0(VALU_DEP_1) | instskip(NEXT) | instid1(VALU_DEP_1)
	v_mul_f32_e32 v34, v35, v25
	v_fma_f32 v36, -v22, v34, v35
	s_delay_alu instid0(VALU_DEP_1) | instskip(NEXT) | instid1(VALU_DEP_1)
	v_fmac_f32_e32 v34, v36, v25
	v_fma_f32 v22, -v22, v34, v35
	s_delay_alu instid0(VALU_DEP_1) | instskip(SKIP_1) | instid1(VALU_DEP_2)
	v_div_fmas_f32 v22, v22, v25, v34
	v_fma_f32 v25, v11, v20, v10
	v_div_fixup_f32 v21, v22, v21, 1.0
	s_delay_alu instid0(VALU_DEP_1) | instskip(NEXT) | instid1(VALU_DEP_1)
	v_dual_fma_f32 v22, -v10, v20, v11 :: v_dual_mul_f32 v20, v25, v21
	v_mul_f32_e32 v22, v22, v21
.LBB74_158:                             ;   in Loop: Header=BB74_114 Depth=1
	s_and_not1_saveexec_b32 s19, s1
	s_cbranch_execz .LBB74_160
; %bb.159:                              ;   in Loop: Header=BB74_114 Depth=1
	s_wait_loadcnt 0x0
	v_div_scale_f32 v20, null, v24, v24, v10
	v_div_scale_f32 v21, null, v23, v23, v11
	v_div_scale_f32 v36, vcc_lo, v10, v24, v10
	s_delay_alu instid0(VALU_DEP_3) | instskip(NEXT) | instid1(VALU_DEP_2)
	v_rcp_f32_e32 v22, v20
	v_rcp_f32_e32 v25, v21
	s_delay_alu instid0(TRANS32_DEP_2) | instskip(NEXT) | instid1(TRANS32_DEP_1)
	v_fma_f32 v34, -v20, v22, 1.0
	v_fma_f32 v35, -v21, v25, 1.0
	s_delay_alu instid0(VALU_DEP_1) | instskip(SKIP_1) | instid1(VALU_DEP_1)
	v_dual_fmac_f32 v22, v34, v22 :: v_dual_fmac_f32 v25, v35, v25
	v_div_scale_f32 v34, s1, v11, v23, v11
	v_dual_mul_f32 v35, v36, v22 :: v_dual_mul_f32 v37, v34, v25
	s_delay_alu instid0(VALU_DEP_1) | instskip(NEXT) | instid1(VALU_DEP_1)
	v_dual_fma_f32 v38, -v20, v35, v36 :: v_dual_fma_f32 v39, -v21, v37, v34
	v_dual_fmac_f32 v35, v38, v22 :: v_dual_fmac_f32 v37, v39, v25
	s_delay_alu instid0(VALU_DEP_1) | instskip(NEXT) | instid1(VALU_DEP_1)
	v_dual_fma_f32 v20, -v20, v35, v36 :: v_dual_fma_f32 v21, -v21, v37, v34
	v_div_fmas_f32 v20, v20, v22, v35
	s_mov_b32 vcc_lo, s1
	s_delay_alu instid0(VALU_DEP_2) | instskip(NEXT) | instid1(VALU_DEP_2)
	v_div_fmas_f32 v21, v21, v25, v37
	v_div_fixup_f32 v20, v20, v24, v10
	s_delay_alu instid0(VALU_DEP_2)
	v_div_fixup_f32 v22, v21, v23, v11
.LBB74_160:                             ;   in Loop: Header=BB74_114 Depth=1
	s_or_b32 exec_lo, exec_lo, s19
.LBB74_161:                             ;   in Loop: Header=BB74_114 Depth=1
	s_and_not1_saveexec_b32 s1, s18
	s_cbranch_execz .LBB74_163
; %bb.162:                              ;   in Loop: Header=BB74_114 Depth=1
	s_wait_loadcnt 0x0
	v_div_scale_f32 v20, null, v15, v15, v14
	v_div_scale_f32 v25, vcc_lo, v14, v15, v14
	s_delay_alu instid0(VALU_DEP_2) | instskip(SKIP_1) | instid1(TRANS32_DEP_1)
	v_rcp_f32_e32 v21, v20
	v_nop
	v_fma_f32 v22, -v20, v21, 1.0
	s_delay_alu instid0(VALU_DEP_1) | instskip(NEXT) | instid1(VALU_DEP_1)
	v_fmac_f32_e32 v21, v22, v21
	v_mul_f32_e32 v22, v25, v21
	s_delay_alu instid0(VALU_DEP_1) | instskip(NEXT) | instid1(VALU_DEP_1)
	v_fma_f32 v34, -v20, v22, v25
	v_fmac_f32_e32 v22, v34, v21
	s_delay_alu instid0(VALU_DEP_1) | instskip(NEXT) | instid1(VALU_DEP_1)
	v_fma_f32 v20, -v20, v22, v25
	v_div_fmas_f32 v20, v20, v21, v22
	s_delay_alu instid0(VALU_DEP_1) | instskip(NEXT) | instid1(VALU_DEP_1)
	v_div_fixup_f32 v20, v20, v15, v14
	v_fma_f32 v21, v14, v20, v15
	s_delay_alu instid0(VALU_DEP_1) | instskip(SKIP_1) | instid1(VALU_DEP_2)
	v_div_scale_f32 v22, null, v21, v21, 1.0
	v_div_scale_f32 v35, vcc_lo, 1.0, v21, 1.0
	v_rcp_f32_e32 v25, v22
	v_nop
	s_delay_alu instid0(TRANS32_DEP_1) | instskip(NEXT) | instid1(VALU_DEP_1)
	v_fma_f32 v34, -v22, v25, 1.0
	v_fmac_f32_e32 v25, v34, v25
	s_delay_alu instid0(VALU_DEP_1) | instskip(NEXT) | instid1(VALU_DEP_1)
	v_mul_f32_e32 v34, v35, v25
	v_fma_f32 v36, -v22, v34, v35
	s_delay_alu instid0(VALU_DEP_1) | instskip(NEXT) | instid1(VALU_DEP_1)
	v_fmac_f32_e32 v34, v36, v25
	v_fma_f32 v22, -v22, v34, v35
	s_delay_alu instid0(VALU_DEP_1) | instskip(SKIP_1) | instid1(VALU_DEP_2)
	v_div_fmas_f32 v22, v22, v25, v34
	v_fma_f32 v25, v10, v20, v11
	v_div_fixup_f32 v21, v22, v21, 1.0
	s_delay_alu instid0(VALU_DEP_1) | instskip(NEXT) | instid1(VALU_DEP_1)
	v_dual_fma_f32 v22, v11, v20, -v10 :: v_dual_mul_f32 v20, v25, v21
	v_mul_f32_e32 v22, v22, v21
.LBB74_163:                             ;   in Loop: Header=BB74_114 Depth=1
	s_or_b32 exec_lo, exec_lo, s1
	v_mov_b64_e32 v[34:35], s[4:5]
	v_mov_b64_e32 v[36:37], s[12:13]
	s_mov_b32 s1, 0
	s_delay_alu instid0(VALU_DEP_2) | instskip(SKIP_1) | instid1(VALU_DEP_2)
	v_pk_mul_f32 v[34:35], v[22:23], v[34:35] op_sel_hi:[0,1]
	s_wait_loadcnt 0x0
	v_pk_mul_f32 v[38:39], v[20:21], v[36:37] op_sel_hi:[0,1]
	s_delay_alu instid0(VALU_DEP_2) | instskip(NEXT) | instid1(VALU_DEP_2)
	v_pk_fma_f32 v[20:21], v[20:21], v[36:37], v[34:35] op_sel_hi:[0,1,1]
	v_sub_f32_e32 v20, v38, v34
.LBB74_164:                             ;   in Loop: Header=BB74_114 Depth=1
	s_and_b32 vcc_lo, exec_lo, s1
	s_cbranch_vccz .LBB74_174
; %bb.165:                              ;   in Loop: Header=BB74_114 Depth=1
                                        ; implicit-def: $vgpr21
	s_and_saveexec_b32 s1, s0
	s_delay_alu instid0(SALU_CYCLE_1)
	s_xor_b32 s1, exec_lo, s1
	s_cbranch_execz .LBB74_171
; %bb.166:                              ;   in Loop: Header=BB74_114 Depth=1
	v_cmp_neq_f32_e32 vcc_lo, 0, v14
	v_cmp_neq_f32_e64 s0, 0, v15
                                        ; implicit-def: $vgpr21
	s_or_b32 s0, vcc_lo, s0
	s_delay_alu instid0(SALU_CYCLE_1) | instskip(NEXT) | instid1(SALU_CYCLE_1)
	s_and_saveexec_b32 s18, s0
	s_xor_b32 s0, exec_lo, s18
	s_cbranch_execz .LBB74_168
; %bb.167:                              ;   in Loop: Header=BB74_114 Depth=1
	s_wait_loadcnt 0x0
	v_div_scale_f32 v20, null, v14, v14, v15
	v_div_scale_f32 v23, vcc_lo, v15, v14, v15
	s_delay_alu instid0(VALU_DEP_2) | instskip(SKIP_1) | instid1(TRANS32_DEP_1)
	v_rcp_f32_e32 v21, v20
	v_nop
	v_fma_f32 v22, -v20, v21, 1.0
	s_delay_alu instid0(VALU_DEP_1) | instskip(NEXT) | instid1(VALU_DEP_1)
	v_fmac_f32_e32 v21, v22, v21
	v_mul_f32_e32 v22, v23, v21
	s_delay_alu instid0(VALU_DEP_1) | instskip(NEXT) | instid1(VALU_DEP_1)
	v_fma_f32 v24, -v20, v22, v23
	v_fmac_f32_e32 v22, v24, v21
	s_delay_alu instid0(VALU_DEP_1) | instskip(NEXT) | instid1(VALU_DEP_1)
	v_fma_f32 v20, -v20, v22, v23
	v_div_fmas_f32 v20, v20, v21, v22
	s_delay_alu instid0(VALU_DEP_1) | instskip(NEXT) | instid1(VALU_DEP_1)
	v_div_fixup_f32 v20, v20, v14, v15
	v_fma_f32 v24, v15, v20, v14
	s_delay_alu instid0(VALU_DEP_1) | instskip(SKIP_1) | instid1(VALU_DEP_2)
	v_div_scale_f32 v21, null, v24, v24, 1.0
	v_div_scale_f32 v25, vcc_lo, 1.0, v24, 1.0
	v_rcp_f32_e32 v22, v21
	v_nop
	s_delay_alu instid0(TRANS32_DEP_1) | instskip(NEXT) | instid1(VALU_DEP_1)
	v_fma_f32 v23, -v21, v22, 1.0
	v_fmac_f32_e32 v22, v23, v22
	s_delay_alu instid0(VALU_DEP_1) | instskip(NEXT) | instid1(VALU_DEP_1)
	v_mul_f32_e32 v23, v25, v22
	v_fma_f32 v34, -v21, v23, v25
	s_delay_alu instid0(VALU_DEP_1) | instskip(NEXT) | instid1(VALU_DEP_1)
	v_fmac_f32_e32 v23, v34, v22
	v_fma_f32 v21, -v21, v23, v25
	s_delay_alu instid0(VALU_DEP_1) | instskip(SKIP_2) | instid1(VALU_DEP_3)
	v_div_fmas_f32 v25, v21, v22, v23
	v_pk_fma_f32 v[22:23], v[10:11], v[20:21], v[10:11] op_sel:[1,0,0] op_sel_hi:[0,0,1] neg_lo:[1,0,0] neg_hi:[1,0,0]
	v_pk_fma_f32 v[20:21], v[10:11], v[20:21], v[10:11] op_sel:[1,0,0] op_sel_hi:[0,0,1]
	v_div_fixup_f32 v22, v25, v24, 1.0
	s_delay_alu instid0(VALU_DEP_3) | instskip(NEXT) | instid1(VALU_DEP_1)
	v_mov_b32_e32 v21, v23
                                        ; implicit-def: $vgpr24
	v_pk_mul_f32 v[20:21], v[20:21], v[22:23] op_sel_hi:[1,0]
                                        ; implicit-def: $vgpr23
.LBB74_168:                             ;   in Loop: Header=BB74_114 Depth=1
	s_and_not1_saveexec_b32 s18, s0
	s_cbranch_execz .LBB74_170
; %bb.169:                              ;   in Loop: Header=BB74_114 Depth=1
	s_wait_loadcnt 0x0
	v_div_scale_f32 v20, null, v24, v24, v10
	v_div_scale_f32 v21, null, v23, v23, v11
	v_div_scale_f32 v36, vcc_lo, v10, v24, v10
	s_delay_alu instid0(VALU_DEP_3) | instskip(NEXT) | instid1(VALU_DEP_2)
	v_rcp_f32_e32 v22, v20
	v_rcp_f32_e32 v25, v21
	s_delay_alu instid0(TRANS32_DEP_2) | instskip(NEXT) | instid1(TRANS32_DEP_1)
	v_fma_f32 v34, -v20, v22, 1.0
	v_fma_f32 v35, -v21, v25, 1.0
	s_delay_alu instid0(VALU_DEP_1) | instskip(SKIP_1) | instid1(VALU_DEP_1)
	v_dual_fmac_f32 v22, v34, v22 :: v_dual_fmac_f32 v25, v35, v25
	v_div_scale_f32 v34, s0, v11, v23, v11
	v_dual_mul_f32 v35, v36, v22 :: v_dual_mul_f32 v37, v34, v25
	s_delay_alu instid0(VALU_DEP_1) | instskip(NEXT) | instid1(VALU_DEP_1)
	v_dual_fma_f32 v38, -v20, v35, v36 :: v_dual_fma_f32 v39, -v21, v37, v34
	v_dual_fmac_f32 v35, v38, v22 :: v_dual_fmac_f32 v37, v39, v25
	s_delay_alu instid0(VALU_DEP_1) | instskip(NEXT) | instid1(VALU_DEP_1)
	v_dual_fma_f32 v20, -v20, v35, v36 :: v_dual_fma_f32 v21, -v21, v37, v34
	v_div_fmas_f32 v20, v20, v22, v35
	s_mov_b32 vcc_lo, s0
	s_delay_alu instid0(VALU_DEP_2) | instskip(NEXT) | instid1(VALU_DEP_2)
	v_div_fmas_f32 v21, v21, v25, v37
	v_div_fixup_f32 v20, v20, v24, v10
	s_delay_alu instid0(VALU_DEP_2)
	v_div_fixup_f32 v21, v21, v23, v11
.LBB74_170:                             ;   in Loop: Header=BB74_114 Depth=1
	s_or_b32 exec_lo, exec_lo, s18
.LBB74_171:                             ;   in Loop: Header=BB74_114 Depth=1
	s_and_not1_saveexec_b32 s0, s1
	s_cbranch_execz .LBB74_173
; %bb.172:                              ;   in Loop: Header=BB74_114 Depth=1
	s_wait_loadcnt 0x0
	v_div_scale_f32 v20, null, v15, v15, v14
	v_div_scale_f32 v23, vcc_lo, v14, v15, v14
	s_delay_alu instid0(VALU_DEP_2) | instskip(SKIP_1) | instid1(TRANS32_DEP_1)
	v_rcp_f32_e32 v21, v20
	v_nop
	v_fma_f32 v22, -v20, v21, 1.0
	s_delay_alu instid0(VALU_DEP_1) | instskip(NEXT) | instid1(VALU_DEP_1)
	v_fmac_f32_e32 v21, v22, v21
	v_mul_f32_e32 v22, v23, v21
	s_delay_alu instid0(VALU_DEP_1) | instskip(NEXT) | instid1(VALU_DEP_1)
	v_fma_f32 v24, -v20, v22, v23
	v_fmac_f32_e32 v22, v24, v21
	s_delay_alu instid0(VALU_DEP_1) | instskip(NEXT) | instid1(VALU_DEP_1)
	v_fma_f32 v20, -v20, v22, v23
	v_div_fmas_f32 v20, v20, v21, v22
	s_delay_alu instid0(VALU_DEP_1) | instskip(NEXT) | instid1(VALU_DEP_1)
	v_div_fixup_f32 v20, v20, v15, v14
	v_fma_f32 v21, v14, v20, v15
	s_delay_alu instid0(VALU_DEP_1) | instskip(SKIP_1) | instid1(VALU_DEP_2)
	v_div_scale_f32 v14, null, v21, v21, 1.0
	v_div_scale_f32 v23, vcc_lo, 1.0, v21, 1.0
	v_rcp_f32_e32 v15, v14
	v_nop
	s_delay_alu instid0(TRANS32_DEP_1) | instskip(NEXT) | instid1(VALU_DEP_1)
	v_fma_f32 v22, -v14, v15, 1.0
	v_fmac_f32_e32 v15, v22, v15
	s_delay_alu instid0(VALU_DEP_1) | instskip(NEXT) | instid1(VALU_DEP_1)
	v_mul_f32_e32 v22, v23, v15
	v_fma_f32 v24, -v14, v22, v23
	s_delay_alu instid0(VALU_DEP_1) | instskip(NEXT) | instid1(VALU_DEP_1)
	v_fmac_f32_e32 v22, v24, v15
	v_fma_f32 v14, -v14, v22, v23
	s_delay_alu instid0(VALU_DEP_1) | instskip(SKIP_2) | instid1(VALU_DEP_3)
	v_div_fmas_f32 v22, v14, v15, v22
	v_pk_fma_f32 v[14:15], v[10:11], v[20:21], v[10:11] op_sel:[0,0,1] op_sel_hi:[1,0,0] neg_lo:[0,0,1] neg_hi:[0,0,1]
	v_pk_fma_f32 v[10:11], v[10:11], v[20:21], v[10:11] op_sel:[0,0,1] op_sel_hi:[1,0,0]
	v_div_fixup_f32 v14, v22, v21, 1.0
	s_delay_alu instid0(VALU_DEP_3) | instskip(NEXT) | instid1(VALU_DEP_1)
	v_mov_b32_e32 v11, v15
	v_pk_mul_f32 v[20:21], v[10:11], v[14:15] op_sel_hi:[1,0]
.LBB74_173:                             ;   in Loop: Header=BB74_114 Depth=1
	s_or_b32 exec_lo, exec_lo, s0
.LBB74_174:                             ;   in Loop: Header=BB74_114 Depth=1
	v_cmp_gt_f32_e32 vcc_lo, 0, v17
	s_mov_b32 s1, -1
                                        ; implicit-def: $vgpr11
	v_cndmask_b32_e64 v15, v17, -v17, vcc_lo
	v_cmp_gt_f32_e32 vcc_lo, 0, v16
	v_cndmask_b32_e64 v22, v16, -v16, vcc_lo
	s_and_not1_b32 vcc_lo, exec_lo, s16
	s_delay_alu instid0(VALU_DEP_1)
	v_cmp_ge_f32_e64 s0, v22, v15
	s_cbranch_vccnz .LBB74_184
; %bb.175:                              ;   in Loop: Header=BB74_114 Depth=1
                                        ; implicit-def: $vgpr14
                                        ; implicit-def: $vgpr10
	s_and_saveexec_b32 s1, s0
	s_delay_alu instid0(SALU_CYCLE_1)
	s_xor_b32 s18, exec_lo, s1
	s_cbranch_execz .LBB74_181
; %bb.176:                              ;   in Loop: Header=BB74_114 Depth=1
	v_cmp_neq_f32_e32 vcc_lo, 0, v16
	v_cmp_neq_f32_e64 s1, 0, v17
                                        ; implicit-def: $vgpr14
                                        ; implicit-def: $vgpr10
	s_or_b32 s1, vcc_lo, s1
	s_delay_alu instid0(SALU_CYCLE_1) | instskip(NEXT) | instid1(SALU_CYCLE_1)
	s_and_saveexec_b32 s19, s1
	s_xor_b32 s1, exec_lo, s19
	s_cbranch_execz .LBB74_178
; %bb.177:                              ;   in Loop: Header=BB74_114 Depth=1
	s_wait_loadcnt 0x1
	v_div_scale_f32 v10, null, v16, v16, v17
	v_div_scale_f32 v23, vcc_lo, v17, v16, v17
	s_delay_alu instid0(VALU_DEP_2) | instskip(SKIP_1) | instid1(TRANS32_DEP_1)
	v_rcp_f32_e32 v11, v10
	v_nop
	v_fma_f32 v14, -v10, v11, 1.0
	s_delay_alu instid0(VALU_DEP_1) | instskip(NEXT) | instid1(VALU_DEP_1)
	v_fmac_f32_e32 v11, v14, v11
	v_mul_f32_e32 v14, v23, v11
	s_delay_alu instid0(VALU_DEP_1) | instskip(NEXT) | instid1(VALU_DEP_1)
	v_fma_f32 v24, -v10, v14, v23
	v_fmac_f32_e32 v14, v24, v11
	s_delay_alu instid0(VALU_DEP_1) | instskip(NEXT) | instid1(VALU_DEP_1)
	v_fma_f32 v10, -v10, v14, v23
	v_div_fmas_f32 v10, v10, v11, v14
	s_delay_alu instid0(VALU_DEP_1) | instskip(NEXT) | instid1(VALU_DEP_1)
	v_div_fixup_f32 v10, v10, v16, v17
	v_fma_f32 v11, v17, v10, v16
	s_delay_alu instid0(VALU_DEP_1) | instskip(SKIP_1) | instid1(VALU_DEP_2)
	v_div_scale_f32 v14, null, v11, v11, 1.0
	v_div_scale_f32 v25, vcc_lo, 1.0, v11, 1.0
	v_rcp_f32_e32 v23, v14
	v_nop
	s_delay_alu instid0(TRANS32_DEP_1) | instskip(NEXT) | instid1(VALU_DEP_1)
	v_fma_f32 v24, -v14, v23, 1.0
	v_fmac_f32_e32 v23, v24, v23
	s_delay_alu instid0(VALU_DEP_1) | instskip(NEXT) | instid1(VALU_DEP_1)
	v_mul_f32_e32 v24, v25, v23
	v_fma_f32 v34, -v14, v24, v25
	s_delay_alu instid0(VALU_DEP_1) | instskip(NEXT) | instid1(VALU_DEP_1)
	v_fmac_f32_e32 v24, v34, v23
	v_fma_f32 v14, -v14, v24, v25
	s_delay_alu instid0(VALU_DEP_1) | instskip(SKIP_1) | instid1(VALU_DEP_2)
	v_div_fmas_f32 v14, v14, v23, v24
	v_fma_f32 v23, v13, v10, v12
	v_div_fixup_f32 v11, v14, v11, 1.0
	s_delay_alu instid0(VALU_DEP_1) | instskip(NEXT) | instid1(VALU_DEP_1)
	v_dual_fma_f32 v14, -v12, v10, v13 :: v_dual_mul_f32 v10, v23, v11
	v_mul_f32_e32 v14, v14, v11
.LBB74_178:                             ;   in Loop: Header=BB74_114 Depth=1
	s_and_not1_saveexec_b32 s19, s1
	s_cbranch_execz .LBB74_180
; %bb.179:                              ;   in Loop: Header=BB74_114 Depth=1
	s_wait_loadcnt 0x1
	v_div_scale_f32 v10, null, v22, v22, v12
	v_div_scale_f32 v11, null, v15, v15, v13
	v_div_scale_f32 v34, vcc_lo, v12, v22, v12
	s_delay_alu instid0(VALU_DEP_3) | instskip(NEXT) | instid1(VALU_DEP_2)
	v_rcp_f32_e32 v14, v10
	v_rcp_f32_e32 v23, v11
	s_delay_alu instid0(TRANS32_DEP_2) | instskip(NEXT) | instid1(TRANS32_DEP_1)
	v_fma_f32 v24, -v10, v14, 1.0
	v_fma_f32 v25, -v11, v23, 1.0
	s_delay_alu instid0(VALU_DEP_1) | instskip(SKIP_1) | instid1(VALU_DEP_1)
	v_dual_fmac_f32 v14, v24, v14 :: v_dual_fmac_f32 v23, v25, v23
	v_div_scale_f32 v24, s1, v13, v15, v13
	v_dual_mul_f32 v25, v34, v14 :: v_dual_mul_f32 v35, v24, v23
	s_delay_alu instid0(VALU_DEP_1) | instskip(NEXT) | instid1(VALU_DEP_1)
	v_dual_fma_f32 v36, -v10, v25, v34 :: v_dual_fma_f32 v37, -v11, v35, v24
	v_dual_fmac_f32 v25, v36, v14 :: v_dual_fmac_f32 v35, v37, v23
	s_delay_alu instid0(VALU_DEP_1) | instskip(NEXT) | instid1(VALU_DEP_1)
	v_dual_fma_f32 v10, -v10, v25, v34 :: v_dual_fma_f32 v11, -v11, v35, v24
	v_div_fmas_f32 v10, v10, v14, v25
	s_mov_b32 vcc_lo, s1
	s_delay_alu instid0(VALU_DEP_2) | instskip(NEXT) | instid1(VALU_DEP_2)
	v_div_fmas_f32 v11, v11, v23, v35
	v_div_fixup_f32 v10, v10, v22, v12
	s_delay_alu instid0(VALU_DEP_2)
	v_div_fixup_f32 v14, v11, v15, v13
.LBB74_180:                             ;   in Loop: Header=BB74_114 Depth=1
	s_or_b32 exec_lo, exec_lo, s19
.LBB74_181:                             ;   in Loop: Header=BB74_114 Depth=1
	s_and_not1_saveexec_b32 s1, s18
	s_cbranch_execz .LBB74_183
; %bb.182:                              ;   in Loop: Header=BB74_114 Depth=1
	s_wait_loadcnt 0x1
	v_div_scale_f32 v10, null, v17, v17, v16
	v_div_scale_f32 v23, vcc_lo, v16, v17, v16
	s_delay_alu instid0(VALU_DEP_2) | instskip(SKIP_1) | instid1(TRANS32_DEP_1)
	v_rcp_f32_e32 v11, v10
	v_nop
	v_fma_f32 v14, -v10, v11, 1.0
	s_delay_alu instid0(VALU_DEP_1) | instskip(NEXT) | instid1(VALU_DEP_1)
	v_fmac_f32_e32 v11, v14, v11
	v_mul_f32_e32 v14, v23, v11
	s_delay_alu instid0(VALU_DEP_1) | instskip(NEXT) | instid1(VALU_DEP_1)
	v_fma_f32 v24, -v10, v14, v23
	v_fmac_f32_e32 v14, v24, v11
	s_delay_alu instid0(VALU_DEP_1) | instskip(NEXT) | instid1(VALU_DEP_1)
	v_fma_f32 v10, -v10, v14, v23
	v_div_fmas_f32 v10, v10, v11, v14
	s_delay_alu instid0(VALU_DEP_1) | instskip(NEXT) | instid1(VALU_DEP_1)
	v_div_fixup_f32 v10, v10, v17, v16
	v_fma_f32 v11, v16, v10, v17
	s_delay_alu instid0(VALU_DEP_1) | instskip(SKIP_1) | instid1(VALU_DEP_2)
	v_div_scale_f32 v14, null, v11, v11, 1.0
	v_div_scale_f32 v25, vcc_lo, 1.0, v11, 1.0
	v_rcp_f32_e32 v23, v14
	v_nop
	s_delay_alu instid0(TRANS32_DEP_1) | instskip(NEXT) | instid1(VALU_DEP_1)
	v_fma_f32 v24, -v14, v23, 1.0
	v_fmac_f32_e32 v23, v24, v23
	s_delay_alu instid0(VALU_DEP_1) | instskip(NEXT) | instid1(VALU_DEP_1)
	v_mul_f32_e32 v24, v25, v23
	v_fma_f32 v34, -v14, v24, v25
	s_delay_alu instid0(VALU_DEP_1) | instskip(NEXT) | instid1(VALU_DEP_1)
	v_fmac_f32_e32 v24, v34, v23
	v_fma_f32 v14, -v14, v24, v25
	s_delay_alu instid0(VALU_DEP_1) | instskip(SKIP_1) | instid1(VALU_DEP_2)
	v_div_fmas_f32 v14, v14, v23, v24
	v_fma_f32 v23, v12, v10, v13
	v_div_fixup_f32 v11, v14, v11, 1.0
	s_delay_alu instid0(VALU_DEP_1) | instskip(NEXT) | instid1(VALU_DEP_1)
	v_dual_fma_f32 v14, v13, v10, -v12 :: v_dual_mul_f32 v10, v23, v11
	v_mul_f32_e32 v14, v14, v11
.LBB74_183:                             ;   in Loop: Header=BB74_114 Depth=1
	s_or_b32 exec_lo, exec_lo, s1
	v_mov_b64_e32 v[24:25], s[4:5]
	v_mov_b64_e32 v[34:35], s[12:13]
	s_mov_b32 s1, 0
	s_delay_alu instid0(VALU_DEP_2) | instskip(SKIP_1) | instid1(VALU_DEP_2)
	v_pk_mul_f32 v[24:25], v[14:15], v[24:25] op_sel_hi:[0,1]
	s_wait_loadcnt 0x1
	v_pk_mul_f32 v[36:37], v[10:11], v[34:35] op_sel_hi:[0,1]
	s_delay_alu instid0(VALU_DEP_2) | instskip(NEXT) | instid1(VALU_DEP_2)
	v_pk_fma_f32 v[10:11], v[10:11], v[34:35], v[24:25] op_sel_hi:[0,1,1]
	v_sub_f32_e32 v10, v36, v24
.LBB74_184:                             ;   in Loop: Header=BB74_114 Depth=1
	s_and_b32 vcc_lo, exec_lo, s1
	s_cbranch_vccz .LBB74_113
; %bb.185:                              ;   in Loop: Header=BB74_114 Depth=1
                                        ; implicit-def: $vgpr11
	s_and_saveexec_b32 s1, s0
	s_delay_alu instid0(SALU_CYCLE_1)
	s_xor_b32 s1, exec_lo, s1
	s_cbranch_execz .LBB74_191
; %bb.186:                              ;   in Loop: Header=BB74_114 Depth=1
	v_cmp_neq_f32_e32 vcc_lo, 0, v16
	v_cmp_neq_f32_e64 s0, 0, v17
                                        ; implicit-def: $vgpr11
	s_or_b32 s0, vcc_lo, s0
	s_delay_alu instid0(SALU_CYCLE_1) | instskip(NEXT) | instid1(SALU_CYCLE_1)
	s_and_saveexec_b32 s18, s0
	s_xor_b32 s0, exec_lo, s18
	s_cbranch_execz .LBB74_188
; %bb.187:                              ;   in Loop: Header=BB74_114 Depth=1
	s_wait_loadcnt 0x1
	v_div_scale_f32 v10, null, v16, v16, v17
	v_div_scale_f32 v15, vcc_lo, v17, v16, v17
	s_delay_alu instid0(VALU_DEP_2) | instskip(SKIP_1) | instid1(TRANS32_DEP_1)
	v_rcp_f32_e32 v11, v10
	v_nop
	v_fma_f32 v14, -v10, v11, 1.0
	s_delay_alu instid0(VALU_DEP_1) | instskip(NEXT) | instid1(VALU_DEP_1)
	v_fmac_f32_e32 v11, v14, v11
	v_mul_f32_e32 v14, v15, v11
	s_delay_alu instid0(VALU_DEP_1) | instskip(NEXT) | instid1(VALU_DEP_1)
	v_fma_f32 v22, -v10, v14, v15
	v_fmac_f32_e32 v14, v22, v11
	s_delay_alu instid0(VALU_DEP_1) | instskip(NEXT) | instid1(VALU_DEP_1)
	v_fma_f32 v10, -v10, v14, v15
	v_div_fmas_f32 v10, v10, v11, v14
	s_delay_alu instid0(VALU_DEP_1) | instskip(NEXT) | instid1(VALU_DEP_1)
	v_div_fixup_f32 v10, v10, v16, v17
	v_fmac_f32_e32 v16, v17, v10
	s_delay_alu instid0(VALU_DEP_1) | instskip(SKIP_1) | instid1(VALU_DEP_2)
	v_div_scale_f32 v11, null, v16, v16, 1.0
	v_div_scale_f32 v17, vcc_lo, 1.0, v16, 1.0
	v_rcp_f32_e32 v14, v11
	v_nop
	s_delay_alu instid0(TRANS32_DEP_1) | instskip(NEXT) | instid1(VALU_DEP_1)
	v_fma_f32 v15, -v11, v14, 1.0
	v_fmac_f32_e32 v14, v15, v14
	s_delay_alu instid0(VALU_DEP_1) | instskip(NEXT) | instid1(VALU_DEP_1)
	v_mul_f32_e32 v15, v17, v14
	v_fma_f32 v22, -v11, v15, v17
	s_delay_alu instid0(VALU_DEP_1) | instskip(NEXT) | instid1(VALU_DEP_1)
	v_fmac_f32_e32 v15, v22, v14
                                        ; implicit-def: $vgpr22
	v_fma_f32 v11, -v11, v15, v17
	s_delay_alu instid0(VALU_DEP_1) | instskip(SKIP_2) | instid1(VALU_DEP_3)
	v_div_fmas_f32 v17, v11, v14, v15
	v_pk_fma_f32 v[14:15], v[12:13], v[10:11], v[12:13] op_sel:[1,0,0] op_sel_hi:[0,0,1] neg_lo:[1,0,0] neg_hi:[1,0,0]
	v_pk_fma_f32 v[10:11], v[12:13], v[10:11], v[12:13] op_sel:[1,0,0] op_sel_hi:[0,0,1]
	v_div_fixup_f32 v12, v17, v16, 1.0
	s_delay_alu instid0(VALU_DEP_3) | instskip(NEXT) | instid1(VALU_DEP_1)
	v_mov_b32_e32 v11, v15
                                        ; implicit-def: $vgpr15
	v_pk_mul_f32 v[10:11], v[10:11], v[12:13] op_sel_hi:[1,0]
                                        ; implicit-def: $vgpr12_vgpr13
.LBB74_188:                             ;   in Loop: Header=BB74_114 Depth=1
	s_and_not1_saveexec_b32 s18, s0
	s_cbranch_execz .LBB74_190
; %bb.189:                              ;   in Loop: Header=BB74_114 Depth=1
	s_wait_loadcnt 0x1
	v_div_scale_f32 v10, null, v22, v22, v12
	v_div_scale_f32 v11, null, v15, v15, v13
	v_div_scale_f32 v24, vcc_lo, v12, v22, v12
	s_delay_alu instid0(VALU_DEP_3) | instskip(NEXT) | instid1(VALU_DEP_2)
	v_rcp_f32_e32 v14, v10
	v_rcp_f32_e32 v16, v11
	s_delay_alu instid0(TRANS32_DEP_2) | instskip(NEXT) | instid1(TRANS32_DEP_1)
	v_fma_f32 v17, -v10, v14, 1.0
	v_fma_f32 v23, -v11, v16, 1.0
	s_delay_alu instid0(VALU_DEP_1) | instskip(SKIP_1) | instid1(VALU_DEP_1)
	v_dual_fmac_f32 v14, v17, v14 :: v_dual_fmac_f32 v16, v23, v16
	v_div_scale_f32 v17, s0, v13, v15, v13
	v_dual_mul_f32 v23, v24, v14 :: v_dual_mul_f32 v25, v17, v16
	s_delay_alu instid0(VALU_DEP_1) | instskip(NEXT) | instid1(VALU_DEP_1)
	v_dual_fma_f32 v34, -v10, v23, v24 :: v_dual_fma_f32 v35, -v11, v25, v17
	v_dual_fmac_f32 v23, v34, v14 :: v_dual_fmac_f32 v25, v35, v16
	s_delay_alu instid0(VALU_DEP_1) | instskip(NEXT) | instid1(VALU_DEP_1)
	v_dual_fma_f32 v10, -v10, v23, v24 :: v_dual_fma_f32 v11, -v11, v25, v17
	v_div_fmas_f32 v10, v10, v14, v23
	s_mov_b32 vcc_lo, s0
	s_delay_alu instid0(VALU_DEP_2) | instskip(NEXT) | instid1(VALU_DEP_2)
	v_div_fmas_f32 v11, v11, v16, v25
	v_div_fixup_f32 v10, v10, v22, v12
	s_delay_alu instid0(VALU_DEP_2)
	v_div_fixup_f32 v11, v11, v15, v13
.LBB74_190:                             ;   in Loop: Header=BB74_114 Depth=1
	s_or_b32 exec_lo, exec_lo, s18
                                        ; implicit-def: $vgpr14_vgpr15_vgpr16_vgpr17
                                        ; implicit-def: $vgpr12_vgpr13
.LBB74_191:                             ;   in Loop: Header=BB74_114 Depth=1
	s_and_not1_saveexec_b32 s0, s1
	s_cbranch_execz .LBB74_112
; %bb.192:                              ;   in Loop: Header=BB74_114 Depth=1
	s_wait_loadcnt 0x1
	v_div_scale_f32 v10, null, v17, v17, v16
	v_div_scale_f32 v15, vcc_lo, v16, v17, v16
	s_delay_alu instid0(VALU_DEP_2) | instskip(SKIP_1) | instid1(TRANS32_DEP_1)
	v_rcp_f32_e32 v11, v10
	v_nop
	v_fma_f32 v14, -v10, v11, 1.0
	s_delay_alu instid0(VALU_DEP_1) | instskip(NEXT) | instid1(VALU_DEP_1)
	v_fmac_f32_e32 v11, v14, v11
	v_mul_f32_e32 v14, v15, v11
	s_delay_alu instid0(VALU_DEP_1) | instskip(NEXT) | instid1(VALU_DEP_1)
	v_fma_f32 v22, -v10, v14, v15
	v_fmac_f32_e32 v14, v22, v11
	s_delay_alu instid0(VALU_DEP_1) | instskip(NEXT) | instid1(VALU_DEP_1)
	v_fma_f32 v10, -v10, v14, v15
	v_div_fmas_f32 v10, v10, v11, v14
	s_delay_alu instid0(VALU_DEP_1) | instskip(NEXT) | instid1(VALU_DEP_1)
	v_div_fixup_f32 v10, v10, v17, v16
	v_fmac_f32_e32 v17, v16, v10
	s_delay_alu instid0(VALU_DEP_1) | instskip(SKIP_1) | instid1(VALU_DEP_2)
	v_div_scale_f32 v11, null, v17, v17, 1.0
	v_div_scale_f32 v16, vcc_lo, 1.0, v17, 1.0
	v_rcp_f32_e32 v14, v11
	v_nop
	s_delay_alu instid0(TRANS32_DEP_1) | instskip(NEXT) | instid1(VALU_DEP_1)
	v_fma_f32 v15, -v11, v14, 1.0
	v_fmac_f32_e32 v14, v15, v14
	s_delay_alu instid0(VALU_DEP_1) | instskip(NEXT) | instid1(VALU_DEP_1)
	v_mul_f32_e32 v15, v16, v14
	v_fma_f32 v22, -v11, v15, v16
	s_delay_alu instid0(VALU_DEP_1) | instskip(NEXT) | instid1(VALU_DEP_1)
	v_fmac_f32_e32 v15, v22, v14
	v_fma_f32 v11, -v11, v15, v16
	s_delay_alu instid0(VALU_DEP_1) | instskip(SKIP_2) | instid1(VALU_DEP_3)
	v_div_fmas_f32 v16, v11, v14, v15
	v_pk_fma_f32 v[14:15], v[12:13], v[10:11], v[12:13] op_sel:[0,0,1] op_sel_hi:[1,0,0] neg_lo:[0,0,1] neg_hi:[0,0,1]
	v_pk_fma_f32 v[10:11], v[12:13], v[10:11], v[12:13] op_sel:[0,0,1] op_sel_hi:[1,0,0]
	v_div_fixup_f32 v12, v16, v17, 1.0
	s_delay_alu instid0(VALU_DEP_3) | instskip(NEXT) | instid1(VALU_DEP_1)
	v_mov_b32_e32 v11, v15
	v_pk_mul_f32 v[10:11], v[10:11], v[12:13] op_sel_hi:[1,0]
	s_branch .LBB74_112
.LBB74_193:
	s_sendmsg sendmsg(MSG_DEALLOC_VGPRS)
	s_endpgm
	.section	.rodata,"a",@progbits
	.p2align	6, 0x0
	.amdhsa_kernel _ZN2at6native12_GLOBAL__N_125multi_tensor_apply_kernelINS1_18TensorListMetadataILi3EEENS1_24PointwiseOpScalarFunctorIN3c107complexIfEELi3ELi3ELi0EEEJSt7dividesIS8_ES8_EEEvT_T0_DpT1_
		.amdhsa_group_segment_fixed_size 0
		.amdhsa_private_segment_fixed_size 0
		.amdhsa_kernarg_size 3416
		.amdhsa_user_sgpr_count 2
		.amdhsa_user_sgpr_dispatch_ptr 0
		.amdhsa_user_sgpr_queue_ptr 0
		.amdhsa_user_sgpr_kernarg_segment_ptr 1
		.amdhsa_user_sgpr_dispatch_id 0
		.amdhsa_user_sgpr_kernarg_preload_length 0
		.amdhsa_user_sgpr_kernarg_preload_offset 0
		.amdhsa_user_sgpr_private_segment_size 0
		.amdhsa_wavefront_size32 1
		.amdhsa_uses_dynamic_stack 0
		.amdhsa_enable_private_segment 0
		.amdhsa_system_sgpr_workgroup_id_x 1
		.amdhsa_system_sgpr_workgroup_id_y 0
		.amdhsa_system_sgpr_workgroup_id_z 0
		.amdhsa_system_sgpr_workgroup_info 0
		.amdhsa_system_vgpr_workitem_id 0
		.amdhsa_next_free_vgpr 72
		.amdhsa_next_free_sgpr 31
		.amdhsa_named_barrier_count 0
		.amdhsa_reserve_vcc 1
		.amdhsa_float_round_mode_32 0
		.amdhsa_float_round_mode_16_64 0
		.amdhsa_float_denorm_mode_32 3
		.amdhsa_float_denorm_mode_16_64 3
		.amdhsa_fp16_overflow 0
		.amdhsa_memory_ordered 1
		.amdhsa_forward_progress 1
		.amdhsa_inst_pref_size 109
		.amdhsa_round_robin_scheduling 0
		.amdhsa_exception_fp_ieee_invalid_op 0
		.amdhsa_exception_fp_denorm_src 0
		.amdhsa_exception_fp_ieee_div_zero 0
		.amdhsa_exception_fp_ieee_overflow 0
		.amdhsa_exception_fp_ieee_underflow 0
		.amdhsa_exception_fp_ieee_inexact 0
		.amdhsa_exception_int_div_zero 0
	.end_amdhsa_kernel
	.section	.text._ZN2at6native12_GLOBAL__N_125multi_tensor_apply_kernelINS1_18TensorListMetadataILi3EEENS1_24PointwiseOpScalarFunctorIN3c107complexIfEELi3ELi3ELi0EEEJSt7dividesIS8_ES8_EEEvT_T0_DpT1_,"axG",@progbits,_ZN2at6native12_GLOBAL__N_125multi_tensor_apply_kernelINS1_18TensorListMetadataILi3EEENS1_24PointwiseOpScalarFunctorIN3c107complexIfEELi3ELi3ELi0EEEJSt7dividesIS8_ES8_EEEvT_T0_DpT1_,comdat
.Lfunc_end74:
	.size	_ZN2at6native12_GLOBAL__N_125multi_tensor_apply_kernelINS1_18TensorListMetadataILi3EEENS1_24PointwiseOpScalarFunctorIN3c107complexIfEELi3ELi3ELi0EEEJSt7dividesIS8_ES8_EEEvT_T0_DpT1_, .Lfunc_end74-_ZN2at6native12_GLOBAL__N_125multi_tensor_apply_kernelINS1_18TensorListMetadataILi3EEENS1_24PointwiseOpScalarFunctorIN3c107complexIfEELi3ELi3ELi0EEEJSt7dividesIS8_ES8_EEEvT_T0_DpT1_
                                        ; -- End function
	.set _ZN2at6native12_GLOBAL__N_125multi_tensor_apply_kernelINS1_18TensorListMetadataILi3EEENS1_24PointwiseOpScalarFunctorIN3c107complexIfEELi3ELi3ELi0EEEJSt7dividesIS8_ES8_EEEvT_T0_DpT1_.num_vgpr, 72
	.set _ZN2at6native12_GLOBAL__N_125multi_tensor_apply_kernelINS1_18TensorListMetadataILi3EEENS1_24PointwiseOpScalarFunctorIN3c107complexIfEELi3ELi3ELi0EEEJSt7dividesIS8_ES8_EEEvT_T0_DpT1_.num_agpr, 0
	.set _ZN2at6native12_GLOBAL__N_125multi_tensor_apply_kernelINS1_18TensorListMetadataILi3EEENS1_24PointwiseOpScalarFunctorIN3c107complexIfEELi3ELi3ELi0EEEJSt7dividesIS8_ES8_EEEvT_T0_DpT1_.numbered_sgpr, 31
	.set _ZN2at6native12_GLOBAL__N_125multi_tensor_apply_kernelINS1_18TensorListMetadataILi3EEENS1_24PointwiseOpScalarFunctorIN3c107complexIfEELi3ELi3ELi0EEEJSt7dividesIS8_ES8_EEEvT_T0_DpT1_.num_named_barrier, 0
	.set _ZN2at6native12_GLOBAL__N_125multi_tensor_apply_kernelINS1_18TensorListMetadataILi3EEENS1_24PointwiseOpScalarFunctorIN3c107complexIfEELi3ELi3ELi0EEEJSt7dividesIS8_ES8_EEEvT_T0_DpT1_.private_seg_size, 0
	.set _ZN2at6native12_GLOBAL__N_125multi_tensor_apply_kernelINS1_18TensorListMetadataILi3EEENS1_24PointwiseOpScalarFunctorIN3c107complexIfEELi3ELi3ELi0EEEJSt7dividesIS8_ES8_EEEvT_T0_DpT1_.uses_vcc, 1
	.set _ZN2at6native12_GLOBAL__N_125multi_tensor_apply_kernelINS1_18TensorListMetadataILi3EEENS1_24PointwiseOpScalarFunctorIN3c107complexIfEELi3ELi3ELi0EEEJSt7dividesIS8_ES8_EEEvT_T0_DpT1_.uses_flat_scratch, 0
	.set _ZN2at6native12_GLOBAL__N_125multi_tensor_apply_kernelINS1_18TensorListMetadataILi3EEENS1_24PointwiseOpScalarFunctorIN3c107complexIfEELi3ELi3ELi0EEEJSt7dividesIS8_ES8_EEEvT_T0_DpT1_.has_dyn_sized_stack, 0
	.set _ZN2at6native12_GLOBAL__N_125multi_tensor_apply_kernelINS1_18TensorListMetadataILi3EEENS1_24PointwiseOpScalarFunctorIN3c107complexIfEELi3ELi3ELi0EEEJSt7dividesIS8_ES8_EEEvT_T0_DpT1_.has_recursion, 0
	.set _ZN2at6native12_GLOBAL__N_125multi_tensor_apply_kernelINS1_18TensorListMetadataILi3EEENS1_24PointwiseOpScalarFunctorIN3c107complexIfEELi3ELi3ELi0EEEJSt7dividesIS8_ES8_EEEvT_T0_DpT1_.has_indirect_call, 0
	.section	.AMDGPU.csdata,"",@progbits
; Kernel info:
; codeLenInByte = 13948
; TotalNumSgprs: 33
; NumVgprs: 72
; ScratchSize: 0
; MemoryBound: 1
; FloatMode: 240
; IeeeMode: 1
; LDSByteSize: 0 bytes/workgroup (compile time only)
; SGPRBlocks: 0
; VGPRBlocks: 4
; NumSGPRsForWavesPerEU: 33
; NumVGPRsForWavesPerEU: 72
; NamedBarCnt: 0
; Occupancy: 12
; WaveLimiterHint : 0
; COMPUTE_PGM_RSRC2:SCRATCH_EN: 0
; COMPUTE_PGM_RSRC2:USER_SGPR: 2
; COMPUTE_PGM_RSRC2:TRAP_HANDLER: 0
; COMPUTE_PGM_RSRC2:TGID_X_EN: 1
; COMPUTE_PGM_RSRC2:TGID_Y_EN: 0
; COMPUTE_PGM_RSRC2:TGID_Z_EN: 0
; COMPUTE_PGM_RSRC2:TIDIG_COMP_CNT: 0
	.section	.text._ZN2at6native12_GLOBAL__N_125multi_tensor_apply_kernelINS1_18TensorListMetadataILi3EEENS1_24PointwiseOpScalarFunctorIN3c104HalfELi3ELi3ELi0EEEJSt7dividesIfEfEEEvT_T0_DpT1_,"axG",@progbits,_ZN2at6native12_GLOBAL__N_125multi_tensor_apply_kernelINS1_18TensorListMetadataILi3EEENS1_24PointwiseOpScalarFunctorIN3c104HalfELi3ELi3ELi0EEEJSt7dividesIfEfEEEvT_T0_DpT1_,comdat
	.globl	_ZN2at6native12_GLOBAL__N_125multi_tensor_apply_kernelINS1_18TensorListMetadataILi3EEENS1_24PointwiseOpScalarFunctorIN3c104HalfELi3ELi3ELi0EEEJSt7dividesIfEfEEEvT_T0_DpT1_ ; -- Begin function _ZN2at6native12_GLOBAL__N_125multi_tensor_apply_kernelINS1_18TensorListMetadataILi3EEENS1_24PointwiseOpScalarFunctorIN3c104HalfELi3ELi3ELi0EEEJSt7dividesIfEfEEEvT_T0_DpT1_
	.p2align	8
	.type	_ZN2at6native12_GLOBAL__N_125multi_tensor_apply_kernelINS1_18TensorListMetadataILi3EEENS1_24PointwiseOpScalarFunctorIN3c104HalfELi3ELi3ELi0EEEJSt7dividesIfEfEEEvT_T0_DpT1_,@function
_ZN2at6native12_GLOBAL__N_125multi_tensor_apply_kernelINS1_18TensorListMetadataILi3EEENS1_24PointwiseOpScalarFunctorIN3c104HalfELi3ELi3ELi0EEEJSt7dividesIfEfEEEvT_T0_DpT1_: ; @_ZN2at6native12_GLOBAL__N_125multi_tensor_apply_kernelINS1_18TensorListMetadataILi3EEENS1_24PointwiseOpScalarFunctorIN3c104HalfELi3ELi3ELi0EEEJSt7dividesIfEfEEEvT_T0_DpT1_
; %bb.0:
	s_bfe_u32 s2, ttmp6, 0x4000c
	s_and_b32 s3, ttmp6, 15
	s_add_co_i32 s2, s2, 1
	s_getreg_b32 s4, hwreg(HW_REG_IB_STS2, 6, 4)
	s_mul_i32 s2, ttmp9, s2
	s_delay_alu instid0(SALU_CYCLE_1) | instskip(SKIP_3) | instid1(SALU_CYCLE_1)
	s_add_co_i32 s2, s3, s2
	s_cmp_eq_u32 s4, 0
	s_mov_b32 s3, 0
	s_cselect_b32 s2, ttmp9, s2
	s_add_nc_u64 s[4:5], s[0:1], s[2:3]
	s_mul_u64 s[6:7], s[2:3], 3
	s_delay_alu instid0(SALU_CYCLE_1)
	s_add_nc_u64 s[4:5], s[4:5], s[6:7]
	s_clause 0x1
	s_load_b32 s16, s[4:5], 0x740
	s_load_u8 s12, s[0:1], s2 offset:0x600
	s_wait_kmcnt 0x0
	s_clause 0x3
	s_load_b64 s[6:7], s[0:1], s12 offset:0x180 scale_offset
	s_load_b64 s[8:9], s[0:1], s12 offset:0x300 scale_offset
	;; [unrolled: 1-line block ×4, first 2 shown]
	s_ashr_i32 s17, s16, 31
	s_wait_xcnt 0x0
	s_lshl_b64 s[12:13], s[16:17], 17
	s_wait_kmcnt 0x0
	s_add_nc_u64 s[14:15], s[6:7], s[12:13]
	s_delay_alu instid0(SALU_CYCLE_1)
	s_or_b32 s2, s8, s14
	s_load_b32 s14, s[0:1], 0xc4c
	s_and_b32 s2, s2, 7
	s_and_b64 s[18:19], s[10:11], 7
	s_cmp_eq_u32 s2, 0
	s_cselect_b32 s15, -1, 0
	s_and_b32 s2, s4, 3
	s_lshl_b64 s[16:17], s[16:17], 16
	s_or_b64 s[2:3], s[18:19], s[2:3]
	s_sub_nc_u64 s[16:17], s[4:5], s[16:17]
	s_cmp_eq_u64 s[2:3], 0
	s_cselect_b32 s2, -1, 0
	s_delay_alu instid0(SALU_CYCLE_1) | instskip(NEXT) | instid1(SALU_CYCLE_1)
	s_and_b32 s2, s15, s2
	s_and_b32 vcc_lo, exec_lo, s2
	s_mov_b32 s2, -1
	s_cbranch_vccnz .LBB75_29
; %bb.1:
	v_cmp_lt_i64_e64 s2, s[16:17], 1
	s_and_b32 vcc_lo, exec_lo, s2
	s_cbranch_vccnz .LBB75_28
; %bb.2:
	s_load_b32 s2, s[0:1], 0xc5c
	v_min_i64 v[2:3], 0x10000, s[16:17]
	v_min_u64 v[4:5], 0x10000, s[16:17]
	v_dual_mov_b32 v1, 0 :: v_dual_lshlrev_b32 v16, 1, v0
	s_mov_b32 s21, 0
	s_delay_alu instid0(SALU_CYCLE_1) | instskip(NEXT) | instid1(VALU_DEP_1)
	s_mov_b32 s19, s21
	v_dual_mov_b32 v17, v1 :: v_dual_mov_b32 v35, v1
	s_mov_b32 s5, s21
	s_mov_b32 s23, s21
	s_delay_alu instid0(VALU_DEP_1) | instskip(SKIP_4) | instid1(SALU_CYCLE_1)
	v_add_nc_u64_e32 v[6:7], s[10:11], v[16:17]
	v_add_nc_u64_e32 v[8:9], s[6:7], v[16:17]
	;; [unrolled: 1-line block ×3, first 2 shown]
	s_wait_kmcnt 0x0
	s_and_b32 s20, s2, 0xffff
	s_lshl_b32 s4, s20, 1
	s_cmp_eq_f32 s14, 1.0
	v_add_nc_u64_e32 v[10:11], s[20:21], v[0:1]
	v_mad_nc_u64_u32 v[22:23], s20, 6, v[16:17]
	s_mul_i32 s22, s20, 3
	s_cselect_b32 s2, -1, 0
	s_lshl_b32 s18, s20, 2
	v_add_nc_u64_e32 v[14:15], s[22:23], v[0:1]
	v_add_nc_u64_e32 v[32:33], s[18:19], v[16:17]
	v_lshlrev_b32_e32 v34, 1, v10
	v_add_nc_u64_e32 v[16:17], s[4:5], v[0:1]
	s_lshl_b32 s20, s20, 3
	s_mov_b64 s[22:23], 0
	v_add_nc_u64_e32 v[18:19], s[10:11], v[22:23]
	v_add_nc_u64_e32 v[20:21], s[6:7], v[22:23]
	v_add_nc_u64_e32 v[22:23], s[8:9], v[22:23]
	v_add_nc_u64_e32 v[24:25], s[10:11], v[34:35]
	v_add_nc_u64_e32 v[26:27], s[6:7], v[34:35]
	v_add_nc_u64_e32 v[28:29], s[10:11], v[32:33]
	v_add_nc_u64_e32 v[30:31], s[6:7], v[32:33]
	v_add_nc_u64_e32 v[32:33], s[8:9], v[32:33]
	v_add_nc_u64_e32 v[34:35], s[8:9], v[34:35]
	s_branch .LBB75_4
.LBB75_3:                               ;   in Loop: Header=BB75_4 Depth=1
	s_wait_xcnt 0x0
	s_or_b32 exec_lo, exec_lo, s3
	s_add_nc_u64 s[22:23], s[22:23], s[18:19]
	v_add_nc_u64_e32 v[6:7], s[20:21], v[6:7]
	v_cmp_lt_i64_e32 vcc_lo, s[22:23], v[2:3]
	v_add_nc_u64_e32 v[8:9], s[20:21], v[8:9]
	v_add_nc_u64_e32 v[12:13], s[20:21], v[12:13]
	;; [unrolled: 1-line block ×11, first 2 shown]
	s_cbranch_vccz .LBB75_28
.LBB75_4:                               ; =>This Inner Loop Header: Depth=1
	v_add_nc_u64_e32 v[36:37], s[22:23], v[0:1]
	v_mov_b32_e32 v38, 0
	s_delay_alu instid0(VALU_DEP_2)
	v_cmp_lt_u64_e32 vcc_lo, v[36:37], v[4:5]
	v_mov_b32_e32 v37, 0
	s_and_saveexec_b32 s3, vcc_lo
	s_cbranch_execz .LBB75_6
; %bb.5:                                ;   in Loop: Header=BB75_4 Depth=1
	v_add_nc_u64_e32 v[36:37], s[12:13], v[6:7]
	v_add_nc_u64_e32 v[38:39], s[12:13], v[8:9]
	global_load_u16 v40, v[36:37], off
	global_load_u16 v41, v[38:39], off
	s_wait_loadcnt 0x1
	s_wait_xcnt 0x1
	v_cvt_f32_f16_e32 v37, v40
	s_wait_loadcnt 0x0
	s_wait_xcnt 0x0
	v_cvt_f32_f16_e32 v38, v41
.LBB75_6:                               ;   in Loop: Header=BB75_4 Depth=1
	s_or_b32 exec_lo, exec_lo, s3
	v_dual_mov_b32 v36, 0 :: v_dual_mov_b32 v43, 0
	s_and_saveexec_b32 s3, vcc_lo
	s_cbranch_execz .LBB75_8
; %bb.7:                                ;   in Loop: Header=BB75_4 Depth=1
	v_add_nc_u64_e32 v[40:41], s[12:13], v[12:13]
	global_load_u16 v39, v[40:41], off
	s_wait_loadcnt 0x0
	v_cvt_f32_f16_e32 v43, v39
.LBB75_8:                               ;   in Loop: Header=BB75_4 Depth=1
	s_wait_xcnt 0x0
	s_or_b32 exec_lo, exec_lo, s3
	v_add_nc_u64_e32 v[40:41], s[22:23], v[10:11]
	s_delay_alu instid0(VALU_DEP_1)
	v_cmp_lt_u64_e64 s3, v[40:41], v[4:5]
	v_mov_b32_e32 v40, 0
	s_and_saveexec_b32 s4, s3
	s_cbranch_execz .LBB75_10
; %bb.9:                                ;   in Loop: Header=BB75_4 Depth=1
	v_add_nc_u64_e32 v[40:41], s[12:13], v[24:25]
	v_add_nc_u64_e32 v[44:45], s[12:13], v[26:27]
	global_load_u16 v36, v[40:41], off
	global_load_u16 v39, v[44:45], off
	s_wait_loadcnt 0x1
	s_wait_xcnt 0x1
	v_cvt_f32_f16_e32 v40, v36
	s_wait_loadcnt 0x0
	v_cvt_f32_f16_e32 v36, v39
.LBB75_10:                              ;   in Loop: Header=BB75_4 Depth=1
	s_wait_xcnt 0x0
	s_or_b32 exec_lo, exec_lo, s4
	v_dual_mov_b32 v39, 0 :: v_dual_mov_b32 v45, 0
	s_and_saveexec_b32 s4, s3
	s_cbranch_execz .LBB75_12
; %bb.11:                               ;   in Loop: Header=BB75_4 Depth=1
	v_add_nc_u64_e32 v[44:45], s[12:13], v[34:35]
	global_load_u16 v41, v[44:45], off
	s_wait_loadcnt 0x0
	s_wait_xcnt 0x0
	v_cvt_f32_f16_e32 v45, v41
.LBB75_12:                              ;   in Loop: Header=BB75_4 Depth=1
	s_or_b32 exec_lo, exec_lo, s4
	v_add_nc_u64_e32 v[46:47], s[22:23], v[16:17]
	v_mov_b32_e32 v42, 0
	s_delay_alu instid0(VALU_DEP_2)
	v_cmp_lt_u64_e64 s4, v[46:47], v[4:5]
	s_and_saveexec_b32 s5, s4
	s_cbranch_execz .LBB75_14
; %bb.13:                               ;   in Loop: Header=BB75_4 Depth=1
	v_add_nc_u64_e32 v[46:47], s[12:13], v[28:29]
	v_add_nc_u64_e32 v[48:49], s[12:13], v[30:31]
	global_load_u16 v39, v[46:47], off
	global_load_u16 v41, v[48:49], off
	s_wait_loadcnt 0x1
	v_cvt_f32_f16_e32 v42, v39
	s_wait_loadcnt 0x0
	v_cvt_f32_f16_e32 v39, v41
.LBB75_14:                              ;   in Loop: Header=BB75_4 Depth=1
	s_wait_xcnt 0x0
	s_or_b32 exec_lo, exec_lo, s5
	v_dual_mov_b32 v41, 0 :: v_dual_mov_b32 v46, 0
	s_and_saveexec_b32 s5, s4
	s_cbranch_execz .LBB75_16
; %bb.15:                               ;   in Loop: Header=BB75_4 Depth=1
	v_add_nc_u64_e32 v[46:47], s[12:13], v[32:33]
	global_load_u16 v44, v[46:47], off
	s_wait_loadcnt 0x0
	s_wait_xcnt 0x0
	v_cvt_f32_f16_e32 v46, v44
.LBB75_16:                              ;   in Loop: Header=BB75_4 Depth=1
	s_or_b32 exec_lo, exec_lo, s5
	v_add_nc_u64_e32 v[48:49], s[22:23], v[14:15]
	v_mov_b32_e32 v44, 0
	s_delay_alu instid0(VALU_DEP_2)
	v_cmp_lt_u64_e64 s5, v[48:49], v[4:5]
	s_and_saveexec_b32 s15, s5
	s_cbranch_execnz .LBB75_22
; %bb.17:                               ;   in Loop: Header=BB75_4 Depth=1
	s_or_b32 exec_lo, exec_lo, s15
	v_mov_b32_e32 v47, 0
	s_and_saveexec_b32 s15, s5
	s_cbranch_execnz .LBB75_23
.LBB75_18:                              ;   in Loop: Header=BB75_4 Depth=1
	s_or_b32 exec_lo, exec_lo, s15
	s_and_saveexec_b32 s15, vcc_lo
	s_cbranch_execnz .LBB75_24
.LBB75_19:                              ;   in Loop: Header=BB75_4 Depth=1
	s_or_b32 exec_lo, exec_lo, s15
	s_and_saveexec_b32 s15, s3
	s_cbranch_execnz .LBB75_25
.LBB75_20:                              ;   in Loop: Header=BB75_4 Depth=1
	s_or_b32 exec_lo, exec_lo, s15
	s_and_saveexec_b32 s3, s4
	s_cbranch_execnz .LBB75_26
.LBB75_21:                              ;   in Loop: Header=BB75_4 Depth=1
	s_or_b32 exec_lo, exec_lo, s3
	s_and_saveexec_b32 s3, s5
	s_cbranch_execz .LBB75_3
	s_branch .LBB75_27
.LBB75_22:                              ;   in Loop: Header=BB75_4 Depth=1
	v_add_nc_u64_e32 v[48:49], s[12:13], v[18:19]
	v_add_nc_u64_e32 v[50:51], s[12:13], v[20:21]
	global_load_u16 v41, v[48:49], off
	global_load_u16 v47, v[50:51], off
	s_wait_loadcnt 0x1
	v_cvt_f32_f16_e32 v44, v41
	s_wait_loadcnt 0x0
	v_cvt_f32_f16_e32 v41, v47
	s_wait_xcnt 0x0
	s_or_b32 exec_lo, exec_lo, s15
	v_mov_b32_e32 v47, 0
	s_and_saveexec_b32 s15, s5
	s_cbranch_execz .LBB75_18
.LBB75_23:                              ;   in Loop: Header=BB75_4 Depth=1
	v_add_nc_u64_e32 v[48:49], s[12:13], v[22:23]
	global_load_u16 v47, v[48:49], off
	s_wait_loadcnt 0x0
	v_cvt_f32_f16_e32 v47, v47
	s_wait_xcnt 0x0
	s_or_b32 exec_lo, exec_lo, s15
	s_and_saveexec_b32 s15, vcc_lo
	s_cbranch_execz .LBB75_19
.LBB75_24:                              ;   in Loop: Header=BB75_4 Depth=1
	v_div_scale_f32 v48, null, v43, v43, v38
	v_div_scale_f32 v51, vcc_lo, v38, v43, v38
	s_delay_alu instid0(VALU_DEP_2) | instskip(SKIP_1) | instid1(TRANS32_DEP_1)
	v_rcp_f32_e32 v49, v48
	v_nop
	v_fma_f32 v50, -v48, v49, 1.0
	s_delay_alu instid0(VALU_DEP_1) | instskip(NEXT) | instid1(VALU_DEP_1)
	v_fmac_f32_e32 v49, v50, v49
	v_mul_f32_e32 v50, v51, v49
	s_delay_alu instid0(VALU_DEP_1) | instskip(NEXT) | instid1(VALU_DEP_1)
	v_fma_f32 v52, -v48, v50, v51
	v_fmac_f32_e32 v50, v52, v49
	s_delay_alu instid0(VALU_DEP_1) | instskip(NEXT) | instid1(VALU_DEP_1)
	v_fma_f32 v48, -v48, v50, v51
	v_div_fmas_f32 v48, v48, v49, v50
	s_delay_alu instid0(VALU_DEP_1) | instskip(SKIP_1) | instid1(VALU_DEP_2)
	v_div_fixup_f32 v38, v48, v43, v38
	v_add_nc_u64_e32 v[48:49], s[12:13], v[6:7]
	v_dual_add_f32 v43, v37, v38 :: v_dual_fmac_f32 v37, s14, v38
	s_delay_alu instid0(VALU_DEP_1) | instskip(NEXT) | instid1(VALU_DEP_1)
	v_cndmask_b32_e64 v37, v37, v43, s2
	v_cvt_f16_f32_e32 v37, v37
	global_store_b16 v[48:49], v37, off
	s_wait_xcnt 0x0
	s_or_b32 exec_lo, exec_lo, s15
	s_and_saveexec_b32 s15, s3
	s_cbranch_execz .LBB75_20
.LBB75_25:                              ;   in Loop: Header=BB75_4 Depth=1
	v_div_scale_f32 v37, null, v45, v45, v36
	v_div_scale_f32 v48, vcc_lo, v36, v45, v36
	s_delay_alu instid0(VALU_DEP_2) | instskip(SKIP_1) | instid1(TRANS32_DEP_1)
	v_rcp_f32_e32 v38, v37
	v_nop
	v_fma_f32 v43, -v37, v38, 1.0
	s_delay_alu instid0(VALU_DEP_1) | instskip(NEXT) | instid1(VALU_DEP_1)
	v_fmac_f32_e32 v38, v43, v38
	v_mul_f32_e32 v43, v48, v38
	s_delay_alu instid0(VALU_DEP_1) | instskip(NEXT) | instid1(VALU_DEP_1)
	v_fma_f32 v49, -v37, v43, v48
	v_fmac_f32_e32 v43, v49, v38
	s_delay_alu instid0(VALU_DEP_1) | instskip(NEXT) | instid1(VALU_DEP_1)
	v_fma_f32 v37, -v37, v43, v48
	v_div_fmas_f32 v37, v37, v38, v43
	s_delay_alu instid0(VALU_DEP_1) | instskip(NEXT) | instid1(VALU_DEP_1)
	v_div_fixup_f32 v36, v37, v45, v36
	v_dual_add_f32 v37, v40, v36 :: v_dual_fmac_f32 v40, s14, v36
	s_delay_alu instid0(VALU_DEP_1) | instskip(SKIP_1) | instid1(VALU_DEP_2)
	v_cndmask_b32_e64 v38, v40, v37, s2
	v_add_nc_u64_e32 v[36:37], s[12:13], v[24:25]
	v_cvt_f16_f32_e32 v38, v38
	global_store_b16 v[36:37], v38, off
	s_wait_xcnt 0x0
	s_or_b32 exec_lo, exec_lo, s15
	s_and_saveexec_b32 s3, s4
	s_cbranch_execz .LBB75_21
.LBB75_26:                              ;   in Loop: Header=BB75_4 Depth=1
	v_div_scale_f32 v36, null, v46, v46, v39
	v_div_scale_f32 v40, vcc_lo, v39, v46, v39
	s_delay_alu instid0(VALU_DEP_2) | instskip(SKIP_1) | instid1(TRANS32_DEP_1)
	v_rcp_f32_e32 v37, v36
	v_nop
	v_fma_f32 v38, -v36, v37, 1.0
	s_delay_alu instid0(VALU_DEP_1) | instskip(NEXT) | instid1(VALU_DEP_1)
	v_fmac_f32_e32 v37, v38, v37
	v_mul_f32_e32 v38, v40, v37
	s_delay_alu instid0(VALU_DEP_1) | instskip(NEXT) | instid1(VALU_DEP_1)
	v_fma_f32 v43, -v36, v38, v40
	v_fmac_f32_e32 v38, v43, v37
	s_delay_alu instid0(VALU_DEP_1) | instskip(NEXT) | instid1(VALU_DEP_1)
	v_fma_f32 v36, -v36, v38, v40
	v_div_fmas_f32 v36, v36, v37, v38
	s_delay_alu instid0(VALU_DEP_1) | instskip(NEXT) | instid1(VALU_DEP_1)
	v_div_fixup_f32 v36, v36, v46, v39
	v_dual_add_f32 v37, v42, v36 :: v_dual_fmac_f32 v42, s14, v36
	s_delay_alu instid0(VALU_DEP_1) | instskip(SKIP_1) | instid1(VALU_DEP_2)
	v_cndmask_b32_e64 v38, v42, v37, s2
	v_add_nc_u64_e32 v[36:37], s[12:13], v[28:29]
	v_cvt_f16_f32_e32 v38, v38
	global_store_b16 v[36:37], v38, off
	s_wait_xcnt 0x0
	s_or_b32 exec_lo, exec_lo, s3
	s_and_saveexec_b32 s3, s5
	s_cbranch_execz .LBB75_3
.LBB75_27:                              ;   in Loop: Header=BB75_4 Depth=1
	v_div_scale_f32 v36, null, v47, v47, v41
	v_div_scale_f32 v39, vcc_lo, v41, v47, v41
	s_delay_alu instid0(VALU_DEP_2) | instskip(SKIP_1) | instid1(TRANS32_DEP_1)
	v_rcp_f32_e32 v37, v36
	v_nop
	v_fma_f32 v38, -v36, v37, 1.0
	s_delay_alu instid0(VALU_DEP_1) | instskip(NEXT) | instid1(VALU_DEP_1)
	v_fmac_f32_e32 v37, v38, v37
	v_mul_f32_e32 v38, v39, v37
	s_delay_alu instid0(VALU_DEP_1) | instskip(NEXT) | instid1(VALU_DEP_1)
	v_fma_f32 v40, -v36, v38, v39
	v_fmac_f32_e32 v38, v40, v37
	s_delay_alu instid0(VALU_DEP_1) | instskip(NEXT) | instid1(VALU_DEP_1)
	v_fma_f32 v36, -v36, v38, v39
	v_div_fmas_f32 v36, v36, v37, v38
	s_delay_alu instid0(VALU_DEP_1) | instskip(NEXT) | instid1(VALU_DEP_1)
	v_div_fixup_f32 v36, v36, v47, v41
	v_dual_add_f32 v37, v44, v36 :: v_dual_fmac_f32 v44, s14, v36
	s_delay_alu instid0(VALU_DEP_1) | instskip(SKIP_1) | instid1(VALU_DEP_2)
	v_cndmask_b32_e64 v38, v44, v37, s2
	v_add_nc_u64_e32 v[36:37], s[12:13], v[18:19]
	v_cvt_f16_f32_e32 v38, v38
	global_store_b16 v[36:37], v38, off
	s_branch .LBB75_3
.LBB75_28:
	s_mov_b32 s2, 0
.LBB75_29:
	s_delay_alu instid0(SALU_CYCLE_1)
	s_and_not1_b32 vcc_lo, exec_lo, s2
	s_cbranch_vccnz .LBB75_33
; %bb.30:
	v_min_i64 v[2:3], 0x10000, s[16:17]
	v_dual_mov_b32 v9, 0 :: v_dual_lshlrev_b32 v8, 2, v0
	s_mov_b32 s2, exec_lo
	s_delay_alu instid0(VALU_DEP_1)
	v_cmpx_lt_i64_e64 v[8:9], v[2:3]
	s_cbranch_execz .LBB75_33
; %bb.31:
	s_wait_xcnt 0x0
	s_load_b32 s1, s[0:1], 0xc5c
	v_dual_mov_b32 v1, v9 :: v_dual_lshlrev_b32 v8, 3, v0
	s_wait_kmcnt 0x0
	s_mov_b32 s15, s14
	s_cmp_eq_f32 s14, 1.0
	v_mov_b64_e32 v[6:7], s[14:15]
	v_dual_mov_b32 v4, s14 :: v_dual_mov_b32 v5, s14
	v_add_nc_u64_e32 v[8:9], s[12:13], v[8:9]
	s_mov_b32 s5, 0
	s_cselect_b32 s0, -1, 0
	s_mov_b32 s13, s5
	s_mov_b32 s14, s5
	s_and_b32 s4, s1, 0xffff
	s_delay_alu instid0(SALU_CYCLE_1)
	s_lshl_b32 s12, s4, 3
.LBB75_32:                              ; =>This Inner Loop Header: Depth=1
	v_add_nc_u64_e32 v[10:11], s[6:7], v[8:9]
	v_add_nc_u64_e32 v[12:13], s[8:9], v[8:9]
	;; [unrolled: 1-line block ×5, first 2 shown]
	global_load_b64 v[16:17], v[10:11], off
	global_load_b64 v[18:19], v[12:13], off
	;; [unrolled: 1-line block ×3, first 2 shown]
	s_wait_xcnt 0x2
	v_lshlrev_b64_e32 v[10:11], 2, v[0:1]
	s_wait_loadcnt 0x2
	v_lshrrev_b32_e32 v22, 16, v17
	v_cvt_f32_f16_e32 v23, v17
	v_lshrrev_b32_e32 v17, 16, v16
	v_cvt_f32_f16_e32 v16, v16
	s_wait_loadcnt 0x1
	v_dual_lshrrev_b32 v24, 16, v19 :: v_dual_lshrrev_b32 v25, 16, v18
	v_cvt_f32_f16_e32 v18, v18
	v_cvt_f32_f16_e32 v19, v19
	v_cvt_f32_f16_e32 v17, v17
	v_cvt_f32_f16_e32 v22, v22
	v_cvt_f32_f16_e32 v25, v25
	v_div_scale_f32 v26, null, v18, v18, v16
	v_cvt_f32_f16_e32 v24, v24
	v_div_scale_f32 v28, null, v19, v19, v23
	s_delay_alu instid0(VALU_DEP_3) | instskip(SKIP_1) | instid1(VALU_DEP_3)
	v_rcp_f32_e32 v30, v26
	v_div_scale_f32 v31, null, v25, v25, v17
	v_div_scale_f32 v33, null, v24, v24, v22
	s_delay_alu instid0(VALU_DEP_3) | instskip(NEXT) | instid1(VALU_DEP_2)
	v_rcp_f32_e32 v34, v28
	v_rcp_f32_e32 v36, v31
	s_delay_alu instid0(TRANS32_DEP_3) | instskip(NEXT) | instid1(VALU_DEP_2)
	v_fma_f32 v38, -v26, v30, 1.0
	v_rcp_f32_e32 v37, v33
	v_div_scale_f32 v27, vcc_lo, v16, v18, v16
	v_div_scale_f32 v29, s1, v23, v19, v23
	s_delay_alu instid0(TRANS32_DEP_3) | instskip(SKIP_3) | instid1(VALU_DEP_4)
	v_fma_f32 v39, -v28, v34, 1.0
	v_fmac_f32_e32 v30, v38, v30
	v_fma_f32 v38, -v31, v36, 1.0
	v_div_scale_f32 v32, s2, v17, v25, v17
	v_fmac_f32_e32 v34, v39, v34
	v_fma_f32 v39, -v33, v37, 1.0
	s_delay_alu instid0(VALU_DEP_4) | instskip(SKIP_1) | instid1(VALU_DEP_2)
	v_dual_fmac_f32 v36, v38, v36 :: v_dual_mul_f32 v40, v27, v30
	v_div_scale_f32 v35, s3, v22, v24, v22
	v_dual_fmac_f32 v37, v39, v37 :: v_dual_mul_f32 v41, v32, v36
	s_delay_alu instid0(VALU_DEP_3)
	v_dual_mul_f32 v38, v29, v34 :: v_dual_fma_f32 v39, -v26, v40, v27
	s_wait_loadcnt 0x0
	s_wait_xcnt 0x1
	v_cvt_f32_f16_e32 v12, v20
	v_dual_mul_f32 v43, v35, v37 :: v_dual_lshrrev_b32 v13, 16, v20
	v_fma_f32 v42, -v28, v38, v29
	v_fmac_f32_e32 v40, v39, v30
	v_fma_f32 v39, -v31, v41, v32
	v_cvt_f32_f16_e32 v20, v21
	s_delay_alu instid0(VALU_DEP_4) | instskip(SKIP_4) | instid1(VALU_DEP_4)
	v_dual_fmac_f32 v38, v42, v34 :: v_dual_lshrrev_b32 v21, 16, v21
	v_fma_f32 v42, -v33, v43, v35
	v_fma_f32 v26, -v26, v40, v27
	v_fmac_f32_e32 v41, v39, v36
	v_cvt_f32_f16_e32 v13, v13
	v_dual_fma_f32 v27, -v28, v38, v29 :: v_dual_fmac_f32 v43, v42, v37
	s_delay_alu instid0(VALU_DEP_4) | instskip(NEXT) | instid1(VALU_DEP_4)
	v_div_fmas_f32 v26, v26, v30, v40
	v_fma_f32 v28, -v31, v41, v32
	s_mov_b32 vcc_lo, s2
	v_cvt_f32_f16_e32 v21, v21
	v_fma_f32 v29, -v33, v43, v35
	v_div_fixup_f32 v16, v26, v18, v16
	v_div_fmas_f32 v18, v28, v36, v41
	s_mov_b32 vcc_lo, s1
	v_div_fmas_f32 v26, v27, v34, v38
	s_mov_b32 vcc_lo, s3
	s_delay_alu instid0(VALU_DEP_2) | instskip(SKIP_3) | instid1(VALU_DEP_3)
	v_div_fixup_f32 v17, v18, v25, v17
	v_div_fmas_f32 v27, v29, v37, v43
	v_cmp_ge_i64_e32 vcc_lo, v[10:11], v[2:3]
	v_div_fixup_f32 v18, v26, v19, v23
	v_div_fixup_f32 v19, v27, v24, v22
	v_pk_add_f32 v[22:23], v[16:17], v[12:13]
	v_pk_fma_f32 v[12:13], v[6:7], v[16:17], v[12:13]
	s_or_b32 s14, vcc_lo, s14
	s_delay_alu instid0(VALU_DEP_3) | instskip(SKIP_1) | instid1(VALU_DEP_3)
	v_pk_add_f32 v[16:17], v[18:19], v[20:21]
	v_pk_fma_f32 v[18:19], v[4:5], v[18:19], v[20:21]
	v_dual_cndmask_b32 v13, v13, v23, s0 :: v_dual_cndmask_b32 v12, v12, v22, s0
	s_delay_alu instid0(VALU_DEP_2) | instskip(NEXT) | instid1(VALU_DEP_2)
	v_dual_cndmask_b32 v17, v19, v17, s0 :: v_dual_cndmask_b32 v16, v18, v16, s0
	v_cvt_pk_f16_f32 v10, v12, v13
	s_delay_alu instid0(VALU_DEP_2)
	v_cvt_pk_f16_f32 v11, v16, v17
	global_store_b64 v[14:15], v[10:11], off
	s_wait_xcnt 0x0
	s_and_not1_b32 exec_lo, exec_lo, s14
	s_cbranch_execnz .LBB75_32
.LBB75_33:
	s_endpgm
	.section	.rodata,"a",@progbits
	.p2align	6, 0x0
	.amdhsa_kernel _ZN2at6native12_GLOBAL__N_125multi_tensor_apply_kernelINS1_18TensorListMetadataILi3EEENS1_24PointwiseOpScalarFunctorIN3c104HalfELi3ELi3ELi0EEEJSt7dividesIfEfEEEvT_T0_DpT1_
		.amdhsa_group_segment_fixed_size 0
		.amdhsa_private_segment_fixed_size 0
		.amdhsa_kernarg_size 3408
		.amdhsa_user_sgpr_count 2
		.amdhsa_user_sgpr_dispatch_ptr 0
		.amdhsa_user_sgpr_queue_ptr 0
		.amdhsa_user_sgpr_kernarg_segment_ptr 1
		.amdhsa_user_sgpr_dispatch_id 0
		.amdhsa_user_sgpr_kernarg_preload_length 0
		.amdhsa_user_sgpr_kernarg_preload_offset 0
		.amdhsa_user_sgpr_private_segment_size 0
		.amdhsa_wavefront_size32 1
		.amdhsa_uses_dynamic_stack 0
		.amdhsa_enable_private_segment 0
		.amdhsa_system_sgpr_workgroup_id_x 1
		.amdhsa_system_sgpr_workgroup_id_y 0
		.amdhsa_system_sgpr_workgroup_id_z 0
		.amdhsa_system_sgpr_workgroup_info 0
		.amdhsa_system_vgpr_workitem_id 0
		.amdhsa_next_free_vgpr 53
		.amdhsa_next_free_sgpr 24
		.amdhsa_named_barrier_count 0
		.amdhsa_reserve_vcc 1
		.amdhsa_float_round_mode_32 0
		.amdhsa_float_round_mode_16_64 0
		.amdhsa_float_denorm_mode_32 3
		.amdhsa_float_denorm_mode_16_64 3
		.amdhsa_fp16_overflow 0
		.amdhsa_memory_ordered 1
		.amdhsa_forward_progress 1
		.amdhsa_inst_pref_size 20
		.amdhsa_round_robin_scheduling 0
		.amdhsa_exception_fp_ieee_invalid_op 0
		.amdhsa_exception_fp_denorm_src 0
		.amdhsa_exception_fp_ieee_div_zero 0
		.amdhsa_exception_fp_ieee_overflow 0
		.amdhsa_exception_fp_ieee_underflow 0
		.amdhsa_exception_fp_ieee_inexact 0
		.amdhsa_exception_int_div_zero 0
	.end_amdhsa_kernel
	.section	.text._ZN2at6native12_GLOBAL__N_125multi_tensor_apply_kernelINS1_18TensorListMetadataILi3EEENS1_24PointwiseOpScalarFunctorIN3c104HalfELi3ELi3ELi0EEEJSt7dividesIfEfEEEvT_T0_DpT1_,"axG",@progbits,_ZN2at6native12_GLOBAL__N_125multi_tensor_apply_kernelINS1_18TensorListMetadataILi3EEENS1_24PointwiseOpScalarFunctorIN3c104HalfELi3ELi3ELi0EEEJSt7dividesIfEfEEEvT_T0_DpT1_,comdat
.Lfunc_end75:
	.size	_ZN2at6native12_GLOBAL__N_125multi_tensor_apply_kernelINS1_18TensorListMetadataILi3EEENS1_24PointwiseOpScalarFunctorIN3c104HalfELi3ELi3ELi0EEEJSt7dividesIfEfEEEvT_T0_DpT1_, .Lfunc_end75-_ZN2at6native12_GLOBAL__N_125multi_tensor_apply_kernelINS1_18TensorListMetadataILi3EEENS1_24PointwiseOpScalarFunctorIN3c104HalfELi3ELi3ELi0EEEJSt7dividesIfEfEEEvT_T0_DpT1_
                                        ; -- End function
	.set _ZN2at6native12_GLOBAL__N_125multi_tensor_apply_kernelINS1_18TensorListMetadataILi3EEENS1_24PointwiseOpScalarFunctorIN3c104HalfELi3ELi3ELi0EEEJSt7dividesIfEfEEEvT_T0_DpT1_.num_vgpr, 53
	.set _ZN2at6native12_GLOBAL__N_125multi_tensor_apply_kernelINS1_18TensorListMetadataILi3EEENS1_24PointwiseOpScalarFunctorIN3c104HalfELi3ELi3ELi0EEEJSt7dividesIfEfEEEvT_T0_DpT1_.num_agpr, 0
	.set _ZN2at6native12_GLOBAL__N_125multi_tensor_apply_kernelINS1_18TensorListMetadataILi3EEENS1_24PointwiseOpScalarFunctorIN3c104HalfELi3ELi3ELi0EEEJSt7dividesIfEfEEEvT_T0_DpT1_.numbered_sgpr, 24
	.set _ZN2at6native12_GLOBAL__N_125multi_tensor_apply_kernelINS1_18TensorListMetadataILi3EEENS1_24PointwiseOpScalarFunctorIN3c104HalfELi3ELi3ELi0EEEJSt7dividesIfEfEEEvT_T0_DpT1_.num_named_barrier, 0
	.set _ZN2at6native12_GLOBAL__N_125multi_tensor_apply_kernelINS1_18TensorListMetadataILi3EEENS1_24PointwiseOpScalarFunctorIN3c104HalfELi3ELi3ELi0EEEJSt7dividesIfEfEEEvT_T0_DpT1_.private_seg_size, 0
	.set _ZN2at6native12_GLOBAL__N_125multi_tensor_apply_kernelINS1_18TensorListMetadataILi3EEENS1_24PointwiseOpScalarFunctorIN3c104HalfELi3ELi3ELi0EEEJSt7dividesIfEfEEEvT_T0_DpT1_.uses_vcc, 1
	.set _ZN2at6native12_GLOBAL__N_125multi_tensor_apply_kernelINS1_18TensorListMetadataILi3EEENS1_24PointwiseOpScalarFunctorIN3c104HalfELi3ELi3ELi0EEEJSt7dividesIfEfEEEvT_T0_DpT1_.uses_flat_scratch, 0
	.set _ZN2at6native12_GLOBAL__N_125multi_tensor_apply_kernelINS1_18TensorListMetadataILi3EEENS1_24PointwiseOpScalarFunctorIN3c104HalfELi3ELi3ELi0EEEJSt7dividesIfEfEEEvT_T0_DpT1_.has_dyn_sized_stack, 0
	.set _ZN2at6native12_GLOBAL__N_125multi_tensor_apply_kernelINS1_18TensorListMetadataILi3EEENS1_24PointwiseOpScalarFunctorIN3c104HalfELi3ELi3ELi0EEEJSt7dividesIfEfEEEvT_T0_DpT1_.has_recursion, 0
	.set _ZN2at6native12_GLOBAL__N_125multi_tensor_apply_kernelINS1_18TensorListMetadataILi3EEENS1_24PointwiseOpScalarFunctorIN3c104HalfELi3ELi3ELi0EEEJSt7dividesIfEfEEEvT_T0_DpT1_.has_indirect_call, 0
	.section	.AMDGPU.csdata,"",@progbits
; Kernel info:
; codeLenInByte = 2468
; TotalNumSgprs: 26
; NumVgprs: 53
; ScratchSize: 0
; MemoryBound: 0
; FloatMode: 240
; IeeeMode: 1
; LDSByteSize: 0 bytes/workgroup (compile time only)
; SGPRBlocks: 0
; VGPRBlocks: 3
; NumSGPRsForWavesPerEU: 26
; NumVGPRsForWavesPerEU: 53
; NamedBarCnt: 0
; Occupancy: 16
; WaveLimiterHint : 0
; COMPUTE_PGM_RSRC2:SCRATCH_EN: 0
; COMPUTE_PGM_RSRC2:USER_SGPR: 2
; COMPUTE_PGM_RSRC2:TRAP_HANDLER: 0
; COMPUTE_PGM_RSRC2:TGID_X_EN: 1
; COMPUTE_PGM_RSRC2:TGID_Y_EN: 0
; COMPUTE_PGM_RSRC2:TGID_Z_EN: 0
; COMPUTE_PGM_RSRC2:TIDIG_COMP_CNT: 0
	.section	.text._ZN2at6native12_GLOBAL__N_125multi_tensor_apply_kernelINS1_18TensorListMetadataILi3EEENS1_24PointwiseOpScalarFunctorIN3c108BFloat16ELi3ELi3ELi0EEEJSt7dividesIfEfEEEvT_T0_DpT1_,"axG",@progbits,_ZN2at6native12_GLOBAL__N_125multi_tensor_apply_kernelINS1_18TensorListMetadataILi3EEENS1_24PointwiseOpScalarFunctorIN3c108BFloat16ELi3ELi3ELi0EEEJSt7dividesIfEfEEEvT_T0_DpT1_,comdat
	.globl	_ZN2at6native12_GLOBAL__N_125multi_tensor_apply_kernelINS1_18TensorListMetadataILi3EEENS1_24PointwiseOpScalarFunctorIN3c108BFloat16ELi3ELi3ELi0EEEJSt7dividesIfEfEEEvT_T0_DpT1_ ; -- Begin function _ZN2at6native12_GLOBAL__N_125multi_tensor_apply_kernelINS1_18TensorListMetadataILi3EEENS1_24PointwiseOpScalarFunctorIN3c108BFloat16ELi3ELi3ELi0EEEJSt7dividesIfEfEEEvT_T0_DpT1_
	.p2align	8
	.type	_ZN2at6native12_GLOBAL__N_125multi_tensor_apply_kernelINS1_18TensorListMetadataILi3EEENS1_24PointwiseOpScalarFunctorIN3c108BFloat16ELi3ELi3ELi0EEEJSt7dividesIfEfEEEvT_T0_DpT1_,@function
_ZN2at6native12_GLOBAL__N_125multi_tensor_apply_kernelINS1_18TensorListMetadataILi3EEENS1_24PointwiseOpScalarFunctorIN3c108BFloat16ELi3ELi3ELi0EEEJSt7dividesIfEfEEEvT_T0_DpT1_: ; @_ZN2at6native12_GLOBAL__N_125multi_tensor_apply_kernelINS1_18TensorListMetadataILi3EEENS1_24PointwiseOpScalarFunctorIN3c108BFloat16ELi3ELi3ELi0EEEJSt7dividesIfEfEEEvT_T0_DpT1_
; %bb.0:
	s_bfe_u32 s2, ttmp6, 0x4000c
	s_and_b32 s3, ttmp6, 15
	s_add_co_i32 s2, s2, 1
	s_getreg_b32 s4, hwreg(HW_REG_IB_STS2, 6, 4)
	s_mul_i32 s2, ttmp9, s2
	s_delay_alu instid0(SALU_CYCLE_1) | instskip(SKIP_3) | instid1(SALU_CYCLE_1)
	s_add_co_i32 s2, s3, s2
	s_cmp_eq_u32 s4, 0
	s_mov_b32 s3, 0
	s_cselect_b32 s2, ttmp9, s2
	s_add_nc_u64 s[4:5], s[0:1], s[2:3]
	s_mul_u64 s[6:7], s[2:3], 3
	s_delay_alu instid0(SALU_CYCLE_1)
	s_add_nc_u64 s[4:5], s[4:5], s[6:7]
	s_clause 0x1
	s_load_b32 s16, s[4:5], 0x740
	s_load_u8 s12, s[0:1], s2 offset:0x600
	s_wait_kmcnt 0x0
	s_clause 0x3
	s_load_b64 s[6:7], s[0:1], s12 offset:0x180 scale_offset
	s_load_b64 s[8:9], s[0:1], s12 offset:0x300 scale_offset
	;; [unrolled: 1-line block ×4, first 2 shown]
	s_ashr_i32 s17, s16, 31
	s_wait_xcnt 0x0
	s_lshl_b64 s[12:13], s[16:17], 17
	s_wait_kmcnt 0x0
	s_add_nc_u64 s[14:15], s[6:7], s[12:13]
	s_delay_alu instid0(SALU_CYCLE_1)
	s_or_b32 s2, s8, s14
	s_load_b32 s14, s[0:1], 0xc4c
	s_and_b32 s2, s2, 7
	s_and_b64 s[18:19], s[10:11], 7
	s_cmp_eq_u32 s2, 0
	s_cselect_b32 s15, -1, 0
	s_and_b32 s2, s4, 3
	s_lshl_b64 s[16:17], s[16:17], 16
	s_or_b64 s[2:3], s[18:19], s[2:3]
	s_sub_nc_u64 s[16:17], s[4:5], s[16:17]
	s_cmp_eq_u64 s[2:3], 0
	s_cselect_b32 s2, -1, 0
	s_delay_alu instid0(SALU_CYCLE_1) | instskip(NEXT) | instid1(SALU_CYCLE_1)
	s_and_b32 s2, s15, s2
	s_and_b32 vcc_lo, exec_lo, s2
	s_mov_b32 s2, -1
	s_cbranch_vccnz .LBB76_29
; %bb.1:
	v_cmp_lt_i64_e64 s2, s[16:17], 1
	s_and_b32 vcc_lo, exec_lo, s2
	s_cbranch_vccnz .LBB76_28
; %bb.2:
	s_load_b32 s2, s[0:1], 0xc5c
	v_min_i64 v[2:3], 0x10000, s[16:17]
	v_min_u64 v[4:5], 0x10000, s[16:17]
	v_dual_mov_b32 v1, 0 :: v_dual_lshlrev_b32 v16, 1, v0
	s_mov_b32 s21, 0
	s_delay_alu instid0(SALU_CYCLE_1) | instskip(NEXT) | instid1(VALU_DEP_1)
	s_mov_b32 s19, s21
	v_dual_mov_b32 v17, v1 :: v_dual_mov_b32 v35, v1
	s_mov_b32 s5, s21
	s_mov_b32 s23, s21
	s_delay_alu instid0(VALU_DEP_1) | instskip(SKIP_4) | instid1(SALU_CYCLE_1)
	v_add_nc_u64_e32 v[6:7], s[10:11], v[16:17]
	v_add_nc_u64_e32 v[8:9], s[6:7], v[16:17]
	;; [unrolled: 1-line block ×3, first 2 shown]
	s_wait_kmcnt 0x0
	s_and_b32 s20, s2, 0xffff
	s_lshl_b32 s4, s20, 1
	s_cmp_eq_f32 s14, 1.0
	v_add_nc_u64_e32 v[10:11], s[20:21], v[0:1]
	v_mad_nc_u64_u32 v[22:23], s20, 6, v[16:17]
	s_mul_i32 s22, s20, 3
	s_cselect_b32 s2, -1, 0
	s_lshl_b32 s18, s20, 2
	v_add_nc_u64_e32 v[14:15], s[22:23], v[0:1]
	v_add_nc_u64_e32 v[32:33], s[18:19], v[16:17]
	v_lshlrev_b32_e32 v34, 1, v10
	v_add_nc_u64_e32 v[16:17], s[4:5], v[0:1]
	s_lshl_b32 s20, s20, 3
	s_mov_b64 s[22:23], 0
	v_add_nc_u64_e32 v[18:19], s[10:11], v[22:23]
	v_add_nc_u64_e32 v[20:21], s[6:7], v[22:23]
	;; [unrolled: 1-line block ×9, first 2 shown]
	s_branch .LBB76_4
.LBB76_3:                               ;   in Loop: Header=BB76_4 Depth=1
	s_wait_xcnt 0x0
	s_or_b32 exec_lo, exec_lo, s3
	s_add_nc_u64 s[22:23], s[22:23], s[18:19]
	v_add_nc_u64_e32 v[6:7], s[20:21], v[6:7]
	v_cmp_lt_i64_e32 vcc_lo, s[22:23], v[2:3]
	v_add_nc_u64_e32 v[8:9], s[20:21], v[8:9]
	v_add_nc_u64_e32 v[12:13], s[20:21], v[12:13]
	;; [unrolled: 1-line block ×11, first 2 shown]
	s_cbranch_vccz .LBB76_28
.LBB76_4:                               ; =>This Inner Loop Header: Depth=1
	v_add_nc_u64_e32 v[36:37], s[22:23], v[0:1]
	v_dual_mov_b32 v39, 0 :: v_dual_mov_b32 v38, 0
	s_delay_alu instid0(VALU_DEP_2)
	v_cmp_lt_u64_e32 vcc_lo, v[36:37], v[4:5]
	s_and_saveexec_b32 s3, vcc_lo
	s_cbranch_execz .LBB76_6
; %bb.5:                                ;   in Loop: Header=BB76_4 Depth=1
	v_add_nc_u64_e32 v[36:37], s[12:13], v[8:9]
	v_add_nc_u64_e32 v[38:39], s[12:13], v[6:7]
	global_load_u16 v40, v[36:37], off
	global_load_u16 v41, v[38:39], off
	s_wait_loadcnt 0x0
	s_wait_xcnt 0x0
	v_dual_lshlrev_b32 v39, 16, v40 :: v_dual_lshlrev_b32 v38, 16, v41
.LBB76_6:                               ;   in Loop: Header=BB76_4 Depth=1
	s_or_b32 exec_lo, exec_lo, s3
	v_dual_mov_b32 v36, 0 :: v_dual_mov_b32 v44, 0
	s_and_saveexec_b32 s3, vcc_lo
	s_cbranch_execz .LBB76_8
; %bb.7:                                ;   in Loop: Header=BB76_4 Depth=1
	v_add_nc_u64_e32 v[40:41], s[12:13], v[12:13]
	global_load_u16 v37, v[40:41], off
	s_wait_loadcnt 0x0
	v_lshlrev_b32_e32 v44, 16, v37
.LBB76_8:                               ;   in Loop: Header=BB76_4 Depth=1
	s_wait_xcnt 0x0
	s_or_b32 exec_lo, exec_lo, s3
	v_add_nc_u64_e32 v[40:41], s[22:23], v[10:11]
	s_delay_alu instid0(VALU_DEP_1)
	v_cmp_lt_u64_e64 s3, v[40:41], v[4:5]
	v_mov_b32_e32 v41, 0
	s_and_saveexec_b32 s4, s3
	s_cbranch_execz .LBB76_10
; %bb.9:                                ;   in Loop: Header=BB76_4 Depth=1
	v_add_nc_u64_e32 v[36:37], s[12:13], v[26:27]
	v_add_nc_u64_e32 v[40:41], s[12:13], v[24:25]
	global_load_u16 v42, v[36:37], off
	global_load_u16 v43, v[40:41], off
	s_wait_loadcnt 0x0
	s_wait_xcnt 0x0
	v_dual_lshlrev_b32 v36, 16, v42 :: v_dual_lshlrev_b32 v41, 16, v43
.LBB76_10:                              ;   in Loop: Header=BB76_4 Depth=1
	s_or_b32 exec_lo, exec_lo, s4
	v_dual_mov_b32 v37, 0 :: v_dual_mov_b32 v45, 0
	s_and_saveexec_b32 s4, s3
	s_cbranch_execz .LBB76_12
; %bb.11:                               ;   in Loop: Header=BB76_4 Depth=1
	v_add_nc_u64_e32 v[42:43], s[12:13], v[34:35]
	global_load_u16 v40, v[42:43], off
	s_wait_loadcnt 0x0
	v_lshlrev_b32_e32 v45, 16, v40
.LBB76_12:                              ;   in Loop: Header=BB76_4 Depth=1
	s_wait_xcnt 0x0
	s_or_b32 exec_lo, exec_lo, s4
	v_add_nc_u64_e32 v[42:43], s[22:23], v[16:17]
	s_delay_alu instid0(VALU_DEP_1)
	v_cmp_lt_u64_e64 s4, v[42:43], v[4:5]
	v_mov_b32_e32 v42, 0
	s_and_saveexec_b32 s5, s4
	s_cbranch_execz .LBB76_14
; %bb.13:                               ;   in Loop: Header=BB76_4 Depth=1
	v_add_nc_u64_e32 v[42:43], s[12:13], v[30:31]
	v_add_nc_u64_e32 v[46:47], s[12:13], v[28:29]
	global_load_u16 v37, v[42:43], off
	global_load_u16 v40, v[46:47], off
	s_wait_loadcnt 0x0
	s_wait_xcnt 0x1
	v_dual_lshlrev_b32 v37, 16, v37 :: v_dual_lshlrev_b32 v42, 16, v40
.LBB76_14:                              ;   in Loop: Header=BB76_4 Depth=1
	s_wait_xcnt 0x0
	s_or_b32 exec_lo, exec_lo, s5
	v_dual_mov_b32 v40, 0 :: v_dual_mov_b32 v46, 0
	s_and_saveexec_b32 s5, s4
	s_cbranch_execz .LBB76_16
; %bb.15:                               ;   in Loop: Header=BB76_4 Depth=1
	v_add_nc_u64_e32 v[46:47], s[12:13], v[32:33]
	global_load_u16 v43, v[46:47], off
	s_wait_loadcnt 0x0
	s_wait_xcnt 0x0
	v_lshlrev_b32_e32 v46, 16, v43
.LBB76_16:                              ;   in Loop: Header=BB76_4 Depth=1
	s_or_b32 exec_lo, exec_lo, s5
	v_add_nc_u64_e32 v[48:49], s[22:23], v[14:15]
	v_mov_b32_e32 v43, 0
	s_delay_alu instid0(VALU_DEP_2)
	v_cmp_lt_u64_e64 s5, v[48:49], v[4:5]
	s_and_saveexec_b32 s15, s5
	s_cbranch_execnz .LBB76_22
; %bb.17:                               ;   in Loop: Header=BB76_4 Depth=1
	s_or_b32 exec_lo, exec_lo, s15
	v_mov_b32_e32 v47, 0
	s_and_saveexec_b32 s15, s5
	s_cbranch_execnz .LBB76_23
.LBB76_18:                              ;   in Loop: Header=BB76_4 Depth=1
	s_or_b32 exec_lo, exec_lo, s15
	s_and_saveexec_b32 s15, vcc_lo
	s_cbranch_execnz .LBB76_24
.LBB76_19:                              ;   in Loop: Header=BB76_4 Depth=1
	s_or_b32 exec_lo, exec_lo, s15
	s_and_saveexec_b32 s15, s3
	s_cbranch_execnz .LBB76_25
.LBB76_20:                              ;   in Loop: Header=BB76_4 Depth=1
	s_or_b32 exec_lo, exec_lo, s15
	s_and_saveexec_b32 s3, s4
	s_cbranch_execnz .LBB76_26
.LBB76_21:                              ;   in Loop: Header=BB76_4 Depth=1
	s_or_b32 exec_lo, exec_lo, s3
	s_and_saveexec_b32 s3, s5
	s_cbranch_execz .LBB76_3
	s_branch .LBB76_27
.LBB76_22:                              ;   in Loop: Header=BB76_4 Depth=1
	v_add_nc_u64_e32 v[48:49], s[12:13], v[20:21]
	v_add_nc_u64_e32 v[50:51], s[12:13], v[18:19]
	global_load_u16 v40, v[48:49], off
	global_load_u16 v43, v[50:51], off
	s_wait_loadcnt 0x0
	v_dual_lshlrev_b32 v40, 16, v40 :: v_dual_lshlrev_b32 v43, 16, v43
	s_wait_xcnt 0x0
	s_or_b32 exec_lo, exec_lo, s15
	v_mov_b32_e32 v47, 0
	s_and_saveexec_b32 s15, s5
	s_cbranch_execz .LBB76_18
.LBB76_23:                              ;   in Loop: Header=BB76_4 Depth=1
	v_add_nc_u64_e32 v[48:49], s[12:13], v[22:23]
	global_load_u16 v47, v[48:49], off
	s_wait_loadcnt 0x0
	v_lshlrev_b32_e32 v47, 16, v47
	s_wait_xcnt 0x0
	s_or_b32 exec_lo, exec_lo, s15
	s_and_saveexec_b32 s15, vcc_lo
	s_cbranch_execz .LBB76_19
.LBB76_24:                              ;   in Loop: Header=BB76_4 Depth=1
	v_div_scale_f32 v48, null, v44, v44, v39
	v_div_scale_f32 v51, vcc_lo, v39, v44, v39
	s_delay_alu instid0(VALU_DEP_2) | instskip(SKIP_1) | instid1(TRANS32_DEP_1)
	v_rcp_f32_e32 v49, v48
	v_nop
	v_fma_f32 v50, -v48, v49, 1.0
	s_delay_alu instid0(VALU_DEP_1) | instskip(NEXT) | instid1(VALU_DEP_1)
	v_fmac_f32_e32 v49, v50, v49
	v_mul_f32_e32 v50, v51, v49
	s_delay_alu instid0(VALU_DEP_1) | instskip(NEXT) | instid1(VALU_DEP_1)
	v_fma_f32 v52, -v48, v50, v51
	v_fmac_f32_e32 v50, v52, v49
	s_delay_alu instid0(VALU_DEP_1) | instskip(NEXT) | instid1(VALU_DEP_1)
	v_fma_f32 v48, -v48, v50, v51
	v_div_fmas_f32 v48, v48, v49, v50
	s_delay_alu instid0(VALU_DEP_1) | instskip(NEXT) | instid1(VALU_DEP_1)
	v_div_fixup_f32 v39, v48, v44, v39
	v_dual_add_f32 v44, v38, v39 :: v_dual_fmac_f32 v38, s14, v39
	s_delay_alu instid0(VALU_DEP_1) | instskip(NEXT) | instid1(VALU_DEP_1)
	v_cndmask_b32_e64 v44, v38, v44, s2
	v_bfe_u32 v38, v44, 16, 1
	v_cmp_o_f32_e32 vcc_lo, v44, v44
	s_delay_alu instid0(VALU_DEP_2) | instskip(NEXT) | instid1(VALU_DEP_1)
	v_add3_u32 v38, v44, v38, 0x7fff
	v_lshrrev_b32_e32 v48, 16, v38
	v_add_nc_u64_e32 v[38:39], s[12:13], v[6:7]
	s_delay_alu instid0(VALU_DEP_2)
	v_cndmask_b32_e32 v44, 0x7fc0, v48, vcc_lo
	global_store_b16 v[38:39], v44, off
	s_wait_xcnt 0x0
	s_or_b32 exec_lo, exec_lo, s15
	s_and_saveexec_b32 s15, s3
	s_cbranch_execz .LBB76_20
.LBB76_25:                              ;   in Loop: Header=BB76_4 Depth=1
	v_div_scale_f32 v38, null, v45, v45, v36
	v_div_scale_f32 v48, vcc_lo, v36, v45, v36
	s_delay_alu instid0(VALU_DEP_2) | instskip(SKIP_1) | instid1(TRANS32_DEP_1)
	v_rcp_f32_e32 v39, v38
	v_nop
	v_fma_f32 v44, -v38, v39, 1.0
	s_delay_alu instid0(VALU_DEP_1) | instskip(NEXT) | instid1(VALU_DEP_1)
	v_fmac_f32_e32 v39, v44, v39
	v_mul_f32_e32 v44, v48, v39
	s_delay_alu instid0(VALU_DEP_1) | instskip(NEXT) | instid1(VALU_DEP_1)
	v_fma_f32 v49, -v38, v44, v48
	v_fmac_f32_e32 v44, v49, v39
	s_delay_alu instid0(VALU_DEP_1) | instskip(NEXT) | instid1(VALU_DEP_1)
	v_fma_f32 v38, -v38, v44, v48
	v_div_fmas_f32 v38, v38, v39, v44
	s_delay_alu instid0(VALU_DEP_1) | instskip(NEXT) | instid1(VALU_DEP_1)
	v_div_fixup_f32 v36, v38, v45, v36
	v_dual_add_f32 v38, v41, v36 :: v_dual_fmac_f32 v41, s14, v36
	s_delay_alu instid0(VALU_DEP_1) | instskip(NEXT) | instid1(VALU_DEP_1)
	v_cndmask_b32_e64 v36, v41, v38, s2
	v_bfe_u32 v38, v36, 16, 1
	s_delay_alu instid0(VALU_DEP_1) | instskip(NEXT) | instid1(VALU_DEP_1)
	v_add3_u32 v38, v36, v38, 0x7fff
	v_lshrrev_b32_e32 v41, 16, v38
	v_cmp_o_f32_e32 vcc_lo, v36, v36
	v_add_nc_u64_e32 v[38:39], s[12:13], v[24:25]
	s_delay_alu instid0(VALU_DEP_3)
	v_cndmask_b32_e32 v36, 0x7fc0, v41, vcc_lo
	global_store_b16 v[38:39], v36, off
	s_wait_xcnt 0x0
	s_or_b32 exec_lo, exec_lo, s15
	s_and_saveexec_b32 s3, s4
	s_cbranch_execz .LBB76_21
.LBB76_26:                              ;   in Loop: Header=BB76_4 Depth=1
	v_div_scale_f32 v36, null, v46, v46, v37
	v_div_scale_f32 v41, vcc_lo, v37, v46, v37
	s_delay_alu instid0(VALU_DEP_2) | instskip(SKIP_1) | instid1(TRANS32_DEP_1)
	v_rcp_f32_e32 v38, v36
	v_nop
	v_fma_f32 v39, -v36, v38, 1.0
	s_delay_alu instid0(VALU_DEP_1) | instskip(NEXT) | instid1(VALU_DEP_1)
	v_fmac_f32_e32 v38, v39, v38
	v_mul_f32_e32 v39, v41, v38
	s_delay_alu instid0(VALU_DEP_1) | instskip(NEXT) | instid1(VALU_DEP_1)
	v_fma_f32 v44, -v36, v39, v41
	v_fmac_f32_e32 v39, v44, v38
	s_delay_alu instid0(VALU_DEP_1) | instskip(NEXT) | instid1(VALU_DEP_1)
	v_fma_f32 v36, -v36, v39, v41
	v_div_fmas_f32 v36, v36, v38, v39
	s_delay_alu instid0(VALU_DEP_1) | instskip(NEXT) | instid1(VALU_DEP_1)
	v_div_fixup_f32 v36, v36, v46, v37
	v_dual_add_f32 v37, v42, v36 :: v_dual_fmac_f32 v42, s14, v36
	s_delay_alu instid0(VALU_DEP_1) | instskip(NEXT) | instid1(VALU_DEP_1)
	v_cndmask_b32_e64 v38, v42, v37, s2
	v_bfe_u32 v36, v38, 16, 1
	v_cmp_o_f32_e32 vcc_lo, v38, v38
	s_delay_alu instid0(VALU_DEP_2) | instskip(NEXT) | instid1(VALU_DEP_1)
	v_add3_u32 v36, v38, v36, 0x7fff
	v_lshrrev_b32_e32 v39, 16, v36
	v_add_nc_u64_e32 v[36:37], s[12:13], v[28:29]
	s_delay_alu instid0(VALU_DEP_2)
	v_cndmask_b32_e32 v38, 0x7fc0, v39, vcc_lo
	global_store_b16 v[36:37], v38, off
	s_wait_xcnt 0x0
	s_or_b32 exec_lo, exec_lo, s3
	s_and_saveexec_b32 s3, s5
	s_cbranch_execz .LBB76_3
.LBB76_27:                              ;   in Loop: Header=BB76_4 Depth=1
	v_div_scale_f32 v36, null, v47, v47, v40
	v_div_scale_f32 v39, vcc_lo, v40, v47, v40
	s_delay_alu instid0(VALU_DEP_2) | instskip(SKIP_1) | instid1(TRANS32_DEP_1)
	v_rcp_f32_e32 v37, v36
	v_nop
	v_fma_f32 v38, -v36, v37, 1.0
	s_delay_alu instid0(VALU_DEP_1) | instskip(NEXT) | instid1(VALU_DEP_1)
	v_fmac_f32_e32 v37, v38, v37
	v_mul_f32_e32 v38, v39, v37
	s_delay_alu instid0(VALU_DEP_1) | instskip(NEXT) | instid1(VALU_DEP_1)
	v_fma_f32 v41, -v36, v38, v39
	v_fmac_f32_e32 v38, v41, v37
	s_delay_alu instid0(VALU_DEP_1) | instskip(NEXT) | instid1(VALU_DEP_1)
	v_fma_f32 v36, -v36, v38, v39
	v_div_fmas_f32 v36, v36, v37, v38
	s_delay_alu instid0(VALU_DEP_1) | instskip(NEXT) | instid1(VALU_DEP_1)
	v_div_fixup_f32 v36, v36, v47, v40
	v_dual_add_f32 v37, v43, v36 :: v_dual_fmac_f32 v43, s14, v36
	s_delay_alu instid0(VALU_DEP_1) | instskip(NEXT) | instid1(VALU_DEP_1)
	v_cndmask_b32_e64 v38, v43, v37, s2
	v_bfe_u32 v36, v38, 16, 1
	v_cmp_o_f32_e32 vcc_lo, v38, v38
	s_delay_alu instid0(VALU_DEP_2) | instskip(NEXT) | instid1(VALU_DEP_1)
	v_add3_u32 v36, v38, v36, 0x7fff
	v_lshrrev_b32_e32 v39, 16, v36
	v_add_nc_u64_e32 v[36:37], s[12:13], v[18:19]
	s_delay_alu instid0(VALU_DEP_2)
	v_cndmask_b32_e32 v38, 0x7fc0, v39, vcc_lo
	global_store_b16 v[36:37], v38, off
	s_branch .LBB76_3
.LBB76_28:
	s_mov_b32 s2, 0
.LBB76_29:
	s_delay_alu instid0(SALU_CYCLE_1)
	s_and_not1_b32 vcc_lo, exec_lo, s2
	s_cbranch_vccnz .LBB76_33
; %bb.30:
	v_min_i64 v[2:3], 0x10000, s[16:17]
	v_dual_mov_b32 v7, 0 :: v_dual_lshlrev_b32 v6, 2, v0
	s_mov_b32 s2, exec_lo
	s_delay_alu instid0(VALU_DEP_1)
	v_cmpx_lt_i64_e64 v[6:7], v[2:3]
	s_cbranch_execz .LBB76_33
; %bb.31:
	s_wait_xcnt 0x0
	s_load_b32 s1, s[0:1], 0xc5c
	v_dual_mov_b32 v1, v7 :: v_dual_lshlrev_b32 v6, 3, v0
	s_wait_kmcnt 0x0
	s_mov_b32 s15, s14
	s_cmp_eq_f32 s14, 1.0
	v_mov_b64_e32 v[4:5], s[14:15]
	s_mov_b32 s5, 0
	v_add_nc_u64_e32 v[6:7], s[12:13], v[6:7]
	s_cselect_b32 s0, -1, 0
	s_mov_b32 s13, s5
	s_mov_b32 s14, s5
	s_and_b32 s4, s1, 0xffff
	s_delay_alu instid0(SALU_CYCLE_1)
	s_lshl_b32 s12, s4, 3
.LBB76_32:                              ; =>This Inner Loop Header: Depth=1
	s_delay_alu instid0(VALU_DEP_1)
	v_add_nc_u64_e32 v[8:9], s[6:7], v[6:7]
	v_add_nc_u64_e32 v[10:11], s[8:9], v[6:7]
	v_add_nc_u64_e32 v[12:13], s[10:11], v[6:7]
	v_add_nc_u64_e32 v[0:1], s[4:5], v[0:1]
	v_add_nc_u64_e32 v[6:7], s[12:13], v[6:7]
	global_load_b64 v[14:15], v[8:9], off
	global_load_b64 v[16:17], v[10:11], off
	;; [unrolled: 1-line block ×3, first 2 shown]
	s_wait_xcnt 0x2
	v_lshlrev_b64_e32 v[8:9], 2, v[0:1]
	s_wait_loadcnt 0x2
	v_and_b32_e32 v22, 0xffff0000, v14
	s_wait_loadcnt 0x1
	v_and_b32_e32 v23, 0xffff0000, v16
	s_wait_loadcnt 0x0
	s_wait_xcnt 0x1
	v_dual_lshlrev_b32 v11, 16, v18 :: v_dual_lshlrev_b32 v21, 16, v16
	v_alignbit_b32 v24, v19, v18, 16
	v_and_b32_e32 v25, 0xffff0000, v15
	v_div_scale_f32 v27, null, v23, v23, v22
	v_and_b32_e32 v10, 0xffff0000, v18
	v_and_b32_e32 v18, 0xffff0000, v19
	;; [unrolled: 1-line block ×3, first 2 shown]
	s_delay_alu instid0(VALU_DEP_4) | instskip(SKIP_1) | instid1(TRANS32_DEP_1)
	v_rcp_f32_e32 v31, v27
	v_div_scale_f32 v28, s1, v22, v23, v22
	v_fma_f32 v37, -v27, v31, 1.0
	v_lshlrev_b32_e32 v20, 16, v14
	v_alignbit_b32 v14, v15, v14, 16
	v_alignbit_b32 v15, v17, v16, 16
	v_and_b32_e32 v16, 0xffff0000, v17
	v_fmac_f32_e32 v31, v37, v31
	v_div_scale_f32 v17, null, v21, v21, v20
	v_and_b32_e32 v24, 0xffff0000, v14
	v_and_b32_e32 v29, 0xffff0000, v15
	v_div_scale_f32 v14, null, v16, v16, v25
	s_delay_alu instid0(VALU_DEP_4) | instskip(SKIP_1) | instid1(VALU_DEP_3)
	v_rcp_f32_e32 v30, v17
	v_div_scale_f32 v26, vcc_lo, v20, v21, v20
	v_div_scale_f32 v32, null, v29, v29, v24
	s_delay_alu instid0(VALU_DEP_3) | instskip(SKIP_1) | instid1(TRANS32_DEP_2)
	v_rcp_f32_e32 v33, v14
	v_div_scale_f32 v15, s2, v25, v16, v25
	v_fma_f32 v36, -v17, v30, 1.0
	s_delay_alu instid0(VALU_DEP_3) | instskip(SKIP_1) | instid1(TRANS32_DEP_2)
	v_rcp_f32_e32 v35, v32
	v_div_scale_f32 v34, s3, v24, v29, v24
	v_fma_f32 v38, -v14, v33, 1.0
	s_delay_alu instid0(VALU_DEP_3) | instskip(NEXT) | instid1(TRANS32_DEP_1)
	v_fmac_f32_e32 v30, v36, v30
	v_fma_f32 v36, -v32, v35, 1.0
	s_delay_alu instid0(VALU_DEP_3) | instskip(NEXT) | instid1(VALU_DEP_3)
	v_fmac_f32_e32 v33, v38, v33
	v_dual_mul_f32 v37, v26, v30 :: v_dual_mul_f32 v38, v28, v31
	s_delay_alu instid0(VALU_DEP_2) | instskip(NEXT) | instid1(VALU_DEP_2)
	v_dual_fmac_f32 v35, v36, v35 :: v_dual_mul_f32 v36, v15, v33
	v_dual_fma_f32 v39, -v17, v37, v26 :: v_dual_fma_f32 v40, -v27, v38, v28
	s_delay_alu instid0(VALU_DEP_2) | instskip(NEXT) | instid1(VALU_DEP_2)
	v_mul_f32_e32 v41, v34, v35
	v_dual_fma_f32 v42, -v14, v36, v15 :: v_dual_fmac_f32 v37, v39, v30
	s_delay_alu instid0(VALU_DEP_3) | instskip(NEXT) | instid1(VALU_DEP_3)
	v_fmac_f32_e32 v38, v40, v31
	v_fma_f32 v39, -v32, v41, v34
	s_delay_alu instid0(VALU_DEP_2) | instskip(NEXT) | instid1(VALU_DEP_2)
	v_dual_fma_f32 v17, -v17, v37, v26 :: v_dual_fma_f32 v26, -v27, v38, v28
	v_dual_fmac_f32 v36, v42, v33 :: v_dual_fmac_f32 v41, v39, v35
	s_delay_alu instid0(VALU_DEP_1) | instskip(NEXT) | instid1(VALU_DEP_3)
	v_fma_f32 v27, -v14, v36, v15
	v_div_fmas_f32 v14, v17, v30, v37
	s_mov_b32 vcc_lo, s1
	v_div_fmas_f32 v26, v26, v31, v38
	s_mov_b32 vcc_lo, s3
	s_delay_alu instid0(VALU_DEP_2) | instskip(NEXT) | instid1(VALU_DEP_2)
	v_div_fixup_f32 v15, v14, v21, v20
	v_div_fixup_f32 v14, v26, v23, v22
	s_delay_alu instid0(VALU_DEP_1) | instskip(SKIP_1) | instid1(VALU_DEP_1)
	v_pk_add_f32 v[20:21], v[14:15], v[10:11]
	v_pk_fma_f32 v[10:11], v[4:5], v[14:15], v[10:11]
	v_dual_fma_f32 v17, -v32, v41, v34 :: v_dual_cndmask_b32 v20, v10, v20, s0
	s_delay_alu instid0(VALU_DEP_1) | instskip(SKIP_2) | instid1(VALU_DEP_3)
	v_div_fmas_f32 v17, v17, v35, v41
	s_mov_b32 vcc_lo, s2
	v_div_fmas_f32 v22, v27, v33, v36
	v_cmp_o_f32_e32 vcc_lo, v20, v20
	s_delay_alu instid0(VALU_DEP_3) | instskip(NEXT) | instid1(VALU_DEP_3)
	v_div_fixup_f32 v17, v17, v29, v24
	v_div_fixup_f32 v16, v22, v16, v25
	s_delay_alu instid0(VALU_DEP_1) | instskip(SKIP_3) | instid1(VALU_DEP_2)
	v_pk_fma_f32 v[14:15], v[4:5], v[16:17], v[18:19]
	v_cndmask_b32_e64 v21, v11, v21, s0
	v_pk_add_f32 v[10:11], v[16:17], v[18:19]
	v_bfe_u32 v17, v20, 16, 1
	v_cndmask_b32_e64 v10, v14, v10, s0
	s_delay_alu instid0(VALU_DEP_4) | instskip(SKIP_1) | instid1(VALU_DEP_2)
	v_bfe_u32 v16, v21, 16, 1
	v_cmp_o_f32_e64 s1, v21, v21
	v_add3_u32 v14, v21, v16, 0x7fff
	v_cndmask_b32_e64 v11, v15, v11, s0
	v_add3_u32 v15, v20, v17, 0x7fff
	v_bfe_u32 v17, v10, 16, 1
	s_delay_alu instid0(VALU_DEP_4) | instskip(NEXT) | instid1(VALU_DEP_4)
	v_lshrrev_b32_e32 v14, 16, v14
	v_bfe_u32 v16, v11, 16, 1
	s_delay_alu instid0(VALU_DEP_4) | instskip(NEXT) | instid1(VALU_DEP_4)
	v_and_b32_e32 v15, 0xffff0000, v15
	v_add3_u32 v17, v10, v17, 0x7fff
	s_delay_alu instid0(VALU_DEP_4) | instskip(NEXT) | instid1(VALU_DEP_4)
	v_cndmask_b32_e64 v14, 0x7fc0, v14, s1
	v_add3_u32 v16, v11, v16, 0x7fff
	s_delay_alu instid0(VALU_DEP_4) | instskip(NEXT) | instid1(VALU_DEP_4)
	v_cndmask_b32_e32 v15, 0x7fc00000, v15, vcc_lo
	v_and_b32_e32 v17, 0xffff0000, v17
	v_cmp_o_f32_e32 vcc_lo, v10, v10
	v_cmp_o_f32_e64 s1, v11, v11
	s_delay_alu instid0(VALU_DEP_4) | instskip(NEXT) | instid1(VALU_DEP_4)
	v_dual_lshrrev_b32 v16, 16, v16 :: v_dual_bitop2_b32 v14, v14, v15 bitop3:0x54
	v_cndmask_b32_e32 v11, 0x7fc00000, v17, vcc_lo
	v_cmp_ge_i64_e32 vcc_lo, v[8:9], v[2:3]
	s_delay_alu instid0(VALU_DEP_3) | instskip(NEXT) | instid1(VALU_DEP_4)
	v_cndmask_b32_e64 v10, 0x7fc0, v16, s1
	v_or3_b32 v8, v14, 0, 0
	s_delay_alu instid0(VALU_DEP_2)
	v_or3_b32 v9, 0, v10, v11
	s_or_b32 s14, vcc_lo, s14
	global_store_b64 v[12:13], v[8:9], off
	s_wait_xcnt 0x0
	s_and_not1_b32 exec_lo, exec_lo, s14
	s_cbranch_execnz .LBB76_32
.LBB76_33:
	s_endpgm
	.section	.rodata,"a",@progbits
	.p2align	6, 0x0
	.amdhsa_kernel _ZN2at6native12_GLOBAL__N_125multi_tensor_apply_kernelINS1_18TensorListMetadataILi3EEENS1_24PointwiseOpScalarFunctorIN3c108BFloat16ELi3ELi3ELi0EEEJSt7dividesIfEfEEEvT_T0_DpT1_
		.amdhsa_group_segment_fixed_size 0
		.amdhsa_private_segment_fixed_size 0
		.amdhsa_kernarg_size 3408
		.amdhsa_user_sgpr_count 2
		.amdhsa_user_sgpr_dispatch_ptr 0
		.amdhsa_user_sgpr_queue_ptr 0
		.amdhsa_user_sgpr_kernarg_segment_ptr 1
		.amdhsa_user_sgpr_dispatch_id 0
		.amdhsa_user_sgpr_kernarg_preload_length 0
		.amdhsa_user_sgpr_kernarg_preload_offset 0
		.amdhsa_user_sgpr_private_segment_size 0
		.amdhsa_wavefront_size32 1
		.amdhsa_uses_dynamic_stack 0
		.amdhsa_enable_private_segment 0
		.amdhsa_system_sgpr_workgroup_id_x 1
		.amdhsa_system_sgpr_workgroup_id_y 0
		.amdhsa_system_sgpr_workgroup_id_z 0
		.amdhsa_system_sgpr_workgroup_info 0
		.amdhsa_system_vgpr_workitem_id 0
		.amdhsa_next_free_vgpr 53
		.amdhsa_next_free_sgpr 24
		.amdhsa_named_barrier_count 0
		.amdhsa_reserve_vcc 1
		.amdhsa_float_round_mode_32 0
		.amdhsa_float_round_mode_16_64 0
		.amdhsa_float_denorm_mode_32 3
		.amdhsa_float_denorm_mode_16_64 3
		.amdhsa_fp16_overflow 0
		.amdhsa_memory_ordered 1
		.amdhsa_forward_progress 1
		.amdhsa_inst_pref_size 23
		.amdhsa_round_robin_scheduling 0
		.amdhsa_exception_fp_ieee_invalid_op 0
		.amdhsa_exception_fp_denorm_src 0
		.amdhsa_exception_fp_ieee_div_zero 0
		.amdhsa_exception_fp_ieee_overflow 0
		.amdhsa_exception_fp_ieee_underflow 0
		.amdhsa_exception_fp_ieee_inexact 0
		.amdhsa_exception_int_div_zero 0
	.end_amdhsa_kernel
	.section	.text._ZN2at6native12_GLOBAL__N_125multi_tensor_apply_kernelINS1_18TensorListMetadataILi3EEENS1_24PointwiseOpScalarFunctorIN3c108BFloat16ELi3ELi3ELi0EEEJSt7dividesIfEfEEEvT_T0_DpT1_,"axG",@progbits,_ZN2at6native12_GLOBAL__N_125multi_tensor_apply_kernelINS1_18TensorListMetadataILi3EEENS1_24PointwiseOpScalarFunctorIN3c108BFloat16ELi3ELi3ELi0EEEJSt7dividesIfEfEEEvT_T0_DpT1_,comdat
.Lfunc_end76:
	.size	_ZN2at6native12_GLOBAL__N_125multi_tensor_apply_kernelINS1_18TensorListMetadataILi3EEENS1_24PointwiseOpScalarFunctorIN3c108BFloat16ELi3ELi3ELi0EEEJSt7dividesIfEfEEEvT_T0_DpT1_, .Lfunc_end76-_ZN2at6native12_GLOBAL__N_125multi_tensor_apply_kernelINS1_18TensorListMetadataILi3EEENS1_24PointwiseOpScalarFunctorIN3c108BFloat16ELi3ELi3ELi0EEEJSt7dividesIfEfEEEvT_T0_DpT1_
                                        ; -- End function
	.set _ZN2at6native12_GLOBAL__N_125multi_tensor_apply_kernelINS1_18TensorListMetadataILi3EEENS1_24PointwiseOpScalarFunctorIN3c108BFloat16ELi3ELi3ELi0EEEJSt7dividesIfEfEEEvT_T0_DpT1_.num_vgpr, 53
	.set _ZN2at6native12_GLOBAL__N_125multi_tensor_apply_kernelINS1_18TensorListMetadataILi3EEENS1_24PointwiseOpScalarFunctorIN3c108BFloat16ELi3ELi3ELi0EEEJSt7dividesIfEfEEEvT_T0_DpT1_.num_agpr, 0
	.set _ZN2at6native12_GLOBAL__N_125multi_tensor_apply_kernelINS1_18TensorListMetadataILi3EEENS1_24PointwiseOpScalarFunctorIN3c108BFloat16ELi3ELi3ELi0EEEJSt7dividesIfEfEEEvT_T0_DpT1_.numbered_sgpr, 24
	.set _ZN2at6native12_GLOBAL__N_125multi_tensor_apply_kernelINS1_18TensorListMetadataILi3EEENS1_24PointwiseOpScalarFunctorIN3c108BFloat16ELi3ELi3ELi0EEEJSt7dividesIfEfEEEvT_T0_DpT1_.num_named_barrier, 0
	.set _ZN2at6native12_GLOBAL__N_125multi_tensor_apply_kernelINS1_18TensorListMetadataILi3EEENS1_24PointwiseOpScalarFunctorIN3c108BFloat16ELi3ELi3ELi0EEEJSt7dividesIfEfEEEvT_T0_DpT1_.private_seg_size, 0
	.set _ZN2at6native12_GLOBAL__N_125multi_tensor_apply_kernelINS1_18TensorListMetadataILi3EEENS1_24PointwiseOpScalarFunctorIN3c108BFloat16ELi3ELi3ELi0EEEJSt7dividesIfEfEEEvT_T0_DpT1_.uses_vcc, 1
	.set _ZN2at6native12_GLOBAL__N_125multi_tensor_apply_kernelINS1_18TensorListMetadataILi3EEENS1_24PointwiseOpScalarFunctorIN3c108BFloat16ELi3ELi3ELi0EEEJSt7dividesIfEfEEEvT_T0_DpT1_.uses_flat_scratch, 0
	.set _ZN2at6native12_GLOBAL__N_125multi_tensor_apply_kernelINS1_18TensorListMetadataILi3EEENS1_24PointwiseOpScalarFunctorIN3c108BFloat16ELi3ELi3ELi0EEEJSt7dividesIfEfEEEvT_T0_DpT1_.has_dyn_sized_stack, 0
	.set _ZN2at6native12_GLOBAL__N_125multi_tensor_apply_kernelINS1_18TensorListMetadataILi3EEENS1_24PointwiseOpScalarFunctorIN3c108BFloat16ELi3ELi3ELi0EEEJSt7dividesIfEfEEEvT_T0_DpT1_.has_recursion, 0
	.set _ZN2at6native12_GLOBAL__N_125multi_tensor_apply_kernelINS1_18TensorListMetadataILi3EEENS1_24PointwiseOpScalarFunctorIN3c108BFloat16ELi3ELi3ELi0EEEJSt7dividesIfEfEEEvT_T0_DpT1_.has_indirect_call, 0
	.section	.AMDGPU.csdata,"",@progbits
; Kernel info:
; codeLenInByte = 2876
; TotalNumSgprs: 26
; NumVgprs: 53
; ScratchSize: 0
; MemoryBound: 0
; FloatMode: 240
; IeeeMode: 1
; LDSByteSize: 0 bytes/workgroup (compile time only)
; SGPRBlocks: 0
; VGPRBlocks: 3
; NumSGPRsForWavesPerEU: 26
; NumVGPRsForWavesPerEU: 53
; NamedBarCnt: 0
; Occupancy: 16
; WaveLimiterHint : 0
; COMPUTE_PGM_RSRC2:SCRATCH_EN: 0
; COMPUTE_PGM_RSRC2:USER_SGPR: 2
; COMPUTE_PGM_RSRC2:TRAP_HANDLER: 0
; COMPUTE_PGM_RSRC2:TGID_X_EN: 1
; COMPUTE_PGM_RSRC2:TGID_Y_EN: 0
; COMPUTE_PGM_RSRC2:TGID_Z_EN: 0
; COMPUTE_PGM_RSRC2:TIDIG_COMP_CNT: 0
	.section	.text._ZN2at6native12_GLOBAL__N_125multi_tensor_apply_kernelINS1_18TensorListMetadataILi3EEENS1_32PointwiseOpScalar0dTensorFunctorIhLi3ELi2ELi0EEEJSt7dividesIhEhEEEvT_T0_DpT1_,"axG",@progbits,_ZN2at6native12_GLOBAL__N_125multi_tensor_apply_kernelINS1_18TensorListMetadataILi3EEENS1_32PointwiseOpScalar0dTensorFunctorIhLi3ELi2ELi0EEEJSt7dividesIhEhEEEvT_T0_DpT1_,comdat
	.globl	_ZN2at6native12_GLOBAL__N_125multi_tensor_apply_kernelINS1_18TensorListMetadataILi3EEENS1_32PointwiseOpScalar0dTensorFunctorIhLi3ELi2ELi0EEEJSt7dividesIhEhEEEvT_T0_DpT1_ ; -- Begin function _ZN2at6native12_GLOBAL__N_125multi_tensor_apply_kernelINS1_18TensorListMetadataILi3EEENS1_32PointwiseOpScalar0dTensorFunctorIhLi3ELi2ELi0EEEJSt7dividesIhEhEEEvT_T0_DpT1_
	.p2align	8
	.type	_ZN2at6native12_GLOBAL__N_125multi_tensor_apply_kernelINS1_18TensorListMetadataILi3EEENS1_32PointwiseOpScalar0dTensorFunctorIhLi3ELi2ELi0EEEJSt7dividesIhEhEEEvT_T0_DpT1_,@function
_ZN2at6native12_GLOBAL__N_125multi_tensor_apply_kernelINS1_18TensorListMetadataILi3EEENS1_32PointwiseOpScalar0dTensorFunctorIhLi3ELi2ELi0EEEJSt7dividesIhEhEEEvT_T0_DpT1_: ; @_ZN2at6native12_GLOBAL__N_125multi_tensor_apply_kernelINS1_18TensorListMetadataILi3EEENS1_32PointwiseOpScalar0dTensorFunctorIhLi3ELi2ELi0EEEJSt7dividesIhEhEEEvT_T0_DpT1_
; %bb.0:
	s_bfe_u32 s2, ttmp6, 0x4000c
	s_and_b32 s3, ttmp6, 15
	s_add_co_i32 s2, s2, 1
	s_getreg_b32 s4, hwreg(HW_REG_IB_STS2, 6, 4)
	s_mul_i32 s2, ttmp9, s2
	s_mov_b32 s9, 0
	s_add_co_i32 s3, s3, s2
	s_cmp_eq_u32 s4, 0
	v_mov_b32_e32 v5, 0
	s_cselect_b32 s8, ttmp9, s3
	s_load_b32 s14, s[0:1], 0xc48
	s_add_nc_u64 s[2:3], s[0:1], s[8:9]
	s_mul_u64 s[4:5], s[8:9], 3
	s_delay_alu instid0(SALU_CYCLE_1)
	s_add_nc_u64 s[2:3], s[2:3], s[4:5]
	s_clause 0x1
	s_load_b32 s6, s[2:3], 0x740
	s_load_u8 s7, s[0:1], s8 offset:0x600
	s_wait_kmcnt 0x0
	s_clause 0x1
	s_load_b64 s[10:11], s[0:1], s7 offset:0x180 scale_offset
	s_load_b64 s[2:3], s[0:1], s7 offset:0x300 scale_offset
	s_wait_kmcnt 0x0
	global_load_u8 v28, v5, s[10:11]
	s_clause 0x1
	s_load_b64 s[4:5], s[0:1], s7 offset:0x0 scale_offset
	s_load_b64 s[12:13], s[0:1], s7 offset:0x480 scale_offset
	s_wait_xcnt 0x0
	s_ashr_i32 s7, s6, 31
	s_delay_alu instid0(SALU_CYCLE_1) | instskip(NEXT) | instid1(SALU_CYCLE_1)
	s_lshl_b64 s[6:7], s[6:7], 16
	s_add_nc_u64 s[10:11], s[10:11], s[6:7]
	s_delay_alu instid0(SALU_CYCLE_1) | instskip(NEXT) | instid1(SALU_CYCLE_1)
	s_or_b32 s8, s2, s10
	s_and_b32 s8, s8, 3
	s_delay_alu instid0(SALU_CYCLE_1) | instskip(SKIP_3) | instid1(SALU_CYCLE_1)
	s_cmp_lg_u32 s8, 0
	s_cselect_b32 s15, -1, 0
	s_wait_kmcnt 0x0
	s_add_nc_u64 s[10:11], s[4:5], s[6:7]
	s_or_b64 s[10:11], s[12:13], s[10:11]
	s_delay_alu instid0(SALU_CYCLE_1) | instskip(NEXT) | instid1(SALU_CYCLE_1)
	s_and_b32 s8, s10, 3
	s_cmp_lg_u64 s[8:9], 0
	s_cselect_b32 s8, -1, 0
	s_delay_alu instid0(SALU_CYCLE_1)
	s_or_b32 s10, s15, s8
	s_sub_nc_u64 s[8:9], s[12:13], s[6:7]
	s_and_not1_b32 vcc_lo, exec_lo, s10
	s_mov_b32 s10, -1
	s_cbranch_vccz .LBB77_5
; %bb.1:
	v_min_i64 v[2:3], 0x10000, s[8:9]
	v_lshlrev_b32_e32 v4, 2, v0
	s_mov_b32 s15, exec_lo
	s_delay_alu instid0(VALU_DEP_1)
	v_cmpx_lt_i64_e64 v[4:5], v[2:3]
	s_cbranch_execz .LBB77_4
; %bb.2:
	s_load_b32 s10, s[0:1], 0xc5c
	v_mov_b32_e32 v1, v5
	v_add_nc_u64_e32 v[4:5], s[6:7], v[4:5]
	s_wait_loadcnt 0x0
	v_cvt_f32_ubyte0_e32 v8, v28
	s_mov_b32 s11, 0
	s_lshr_b32 s16, s14, 16
	v_mov_b64_e32 v[6:7], v[0:1]
	s_mov_b32 s13, s11
	s_mov_b32 s17, s11
	s_wait_kmcnt 0x0
	s_and_b32 s10, s10, 0xffff
	s_delay_alu instid0(SALU_CYCLE_1)
	s_lshl_b32 s12, s10, 2
.LBB77_3:                               ; =>This Inner Loop Header: Depth=1
	v_add_nc_u64_e32 v[10:11], s[2:3], v[4:5]
	v_add_nc_u64_e32 v[12:13], s[4:5], v[4:5]
	;; [unrolled: 1-line block ×4, first 2 shown]
	global_load_b32 v1, v[10:11], off
	global_load_b32 v9, v[12:13], off
	s_wait_loadcnt 0x1
	s_wait_xcnt 0x1
	v_cvt_f32_ubyte0_e32 v10, v1
	v_cvt_f32_ubyte1_e32 v14, v1
	v_cvt_f32_ubyte2_e32 v16, v1
	v_cvt_f32_ubyte3_e32 v1, v1
	s_wait_loadcnt 0x0
	v_dual_lshrrev_b32 v11, 8, v9 :: v_dual_lshrrev_b32 v15, 16, v9
	v_rcp_iflag_f32_e32 v18, v10
	v_rcp_iflag_f32_e32 v19, v14
	v_lshrrev_b32_e32 v17, 24, v9
	v_rcp_iflag_f32_e32 v20, v16
	v_rcp_iflag_f32_e32 v21, v1
	s_delay_alu instid0(TRANS32_DEP_3) | instskip(NEXT) | instid1(TRANS32_DEP_2)
	v_dual_mul_f32 v18, v8, v18 :: v_dual_mul_f32 v19, v8, v19
	v_mul_f32_e32 v20, v8, v20
	s_delay_alu instid0(VALU_DEP_2) | instskip(NEXT) | instid1(TRANS32_DEP_1)
	v_trunc_f32_e32 v18, v18
	v_mul_f32_e32 v21, v8, v21
	s_delay_alu instid0(VALU_DEP_4) | instskip(NEXT) | instid1(VALU_DEP_4)
	v_trunc_f32_e32 v19, v19
	v_trunc_f32_e32 v20, v20
	s_delay_alu instid0(VALU_DEP_4) | instskip(SKIP_1) | instid1(VALU_DEP_3)
	v_fma_f32 v22, -v18, v10, v8
	v_cvt_u32_f32_e32 v18, v18
	v_dual_fma_f32 v23, -v19, v14, v8 :: v_dual_fma_f32 v24, -v20, v16, v8
	v_trunc_f32_e32 v21, v21
	s_delay_alu instid0(VALU_DEP_4) | instskip(SKIP_2) | instid1(VALU_DEP_4)
	v_cmp_ge_f32_e64 vcc_lo, |v22|, v10
	v_cvt_u32_f32_e32 v19, v19
	v_cvt_u32_f32_e32 v20, v20
	v_fma_f32 v25, -v21, v1, v8
	s_delay_alu instid0(VALU_DEP_4) | instskip(SKIP_2) | instid1(VALU_DEP_3)
	v_add_co_ci_u32_e64 v18, null, 0, v18, vcc_lo
	v_cmp_ge_f32_e64 vcc_lo, |v23|, v14
	v_cvt_u32_f32_e32 v21, v21
	v_mad_u16 v9, v18, s16, v9
	s_delay_alu instid0(VALU_DEP_3) | instskip(SKIP_1) | instid1(VALU_DEP_2)
	v_add_co_ci_u32_e64 v10, null, 0, v19, vcc_lo
	v_cmp_ge_f32_e64 vcc_lo, |v24|, v16
	v_mad_u16 v16, v10, s16, v11
	v_lshlrev_b64_e32 v[10:11], 2, v[6:7]
	s_delay_alu instid0(VALU_DEP_3) | instskip(SKIP_1) | instid1(VALU_DEP_2)
	v_add_co_ci_u32_e64 v14, null, 0, v20, vcc_lo
	v_cmp_ge_f32_e64 vcc_lo, |v25|, v1
	v_mad_u16 v14, v14, s16, v15
	v_and_b32_e32 v15, 0xff, v16
	s_delay_alu instid0(VALU_DEP_3) | instskip(SKIP_1) | instid1(VALU_DEP_4)
	v_add_co_ci_u32_e64 v1, null, 0, v21, vcc_lo
	v_cmp_ge_i64_e32 vcc_lo, v[10:11], v[2:3]
	v_and_b32_e32 v14, 0xff, v14
	s_delay_alu instid0(VALU_DEP_4) | instskip(NEXT) | instid1(VALU_DEP_4)
	v_perm_b32 v9, v15, v9, 0x6050400
	v_mad_u16 v1, v1, s16, v17
	s_delay_alu instid0(VALU_DEP_3) | instskip(SKIP_1) | instid1(VALU_DEP_2)
	v_lshlrev_b32_e32 v14, 16, v14
	s_or_b32 s17, vcc_lo, s17
	v_lshlrev_b32_e32 v1, 24, v1
	s_delay_alu instid0(VALU_DEP_1)
	v_or3_b32 v1, v9, v14, v1
	global_store_b32 v[12:13], v1, off
	s_wait_xcnt 0x0
	s_and_not1_b32 exec_lo, exec_lo, s17
	s_cbranch_execnz .LBB77_3
.LBB77_4:
	s_or_b32 exec_lo, exec_lo, s15
	s_mov_b32 s10, 0
.LBB77_5:
	s_delay_alu instid0(SALU_CYCLE_1)
	s_and_not1_b32 vcc_lo, exec_lo, s10
	s_cbranch_vccnz .LBB77_25
; %bb.6:
	v_cmp_lt_i64_e64 s10, s[8:9], 1
	s_and_b32 vcc_lo, exec_lo, s10
	s_cbranch_vccnz .LBB77_25
; %bb.7:
	s_load_b32 s0, s[0:1], 0xc5c
	v_min_i64 v[2:3], 0x10000, s[8:9]
	v_min_u64 v[4:5], 0x10000, s[8:9]
	v_mov_b32_e32 v1, 0
	s_wait_xcnt 0x0
	s_mov_b32 s1, 0
	s_wait_loadcnt 0x0
	v_cvt_f32_ubyte0_e32 v36, v28
	s_mov_b32 s9, s1
	s_mov_b32 s11, s1
	v_add_nc_u64_e32 v[8:9], s[6:7], v[0:1]
	s_delay_alu instid0(VALU_DEP_1) | instskip(SKIP_2) | instid1(SALU_CYCLE_1)
	v_add_nc_u64_e32 v[6:7], s[4:5], v[8:9]
	s_wait_kmcnt 0x0
	s_and_b32 s0, s0, 0xffff
	s_lshl_b32 s8, s0, 1
	s_mul_i32 s10, s0, 3
	v_add_nc_u64_e32 v[16:17], s[0:1], v[8:9]
	s_add_nc_u64 s[12:13], s[6:7], s[10:11]
	s_add_nc_u64 s[6:7], s[6:7], s[8:9]
	v_add_nc_u64_e32 v[20:21], s[12:13], v[0:1]
	v_add_nc_u64_e32 v[24:25], s[6:7], v[0:1]
	;; [unrolled: 1-line block ×12, first 2 shown]
	s_lshl_b32 s0, s0, 2
	s_mov_b64 s[2:3], 0
	s_lshr_b32 s4, s14, 16
	s_branch .LBB77_9
.LBB77_8:                               ;   in Loop: Header=BB77_9 Depth=1
	s_wait_xcnt 0x0
	s_or_b32 exec_lo, exec_lo, s5
	s_add_nc_u64 s[2:3], s[2:3], s[0:1]
	s_delay_alu instid0(SALU_CYCLE_1)
	v_cmp_ge_i64_e32 vcc_lo, s[2:3], v[2:3]
	s_cbranch_vccnz .LBB77_25
.LBB77_9:                               ; =>This Inner Loop Header: Depth=1
	v_add_nc_u64_e32 v[28:29], s[2:3], v[0:1]
	s_wait_loadcnt 0x0
	v_dual_mov_b32 v38, 0 :: v_dual_mov_b32 v37, 0
	s_mov_b32 s5, exec_lo
	s_delay_alu instid0(VALU_DEP_2)
	v_cmpx_lt_i64_e64 v[28:29], v[2:3]
	s_cbranch_execz .LBB77_11
; %bb.10:                               ;   in Loop: Header=BB77_9 Depth=1
	v_add_nc_u64_e32 v[30:31], s[2:3], v[6:7]
	v_add_nc_u64_e32 v[32:33], s[2:3], v[8:9]
	global_load_u8 v37, v[30:31], off
	global_load_u8 v38, v[32:33], off
.LBB77_11:                              ;   in Loop: Header=BB77_9 Depth=1
	s_wait_xcnt 0x0
	s_or_b32 exec_lo, exec_lo, s5
	v_add_nc_u64_e32 v[30:31], s[2:3], v[26:27]
	s_mov_b32 s5, exec_lo
	s_delay_alu instid0(VALU_DEP_1)
	v_cmpx_lt_i64_e64 v[30:31], v[2:3]
	s_cbranch_execz .LBB77_13
; %bb.12:                               ;   in Loop: Header=BB77_9 Depth=1
	v_add_nc_u64_e32 v[32:33], s[2:3], v[14:15]
	v_add_nc_u64_e32 v[34:35], s[2:3], v[16:17]
	global_load_u8 v39, v[32:33], off
	global_load_u8 v40, v[34:35], off
	s_wait_loadcnt 0x1
	v_lshl_or_b32 v37, v39, 8, v37
	s_wait_loadcnt 0x0
	v_lshl_or_b32 v38, v40, 8, v38
.LBB77_13:                              ;   in Loop: Header=BB77_9 Depth=1
	s_wait_xcnt 0x0
	s_or_b32 exec_lo, exec_lo, s5
	v_add_nc_u64_e32 v[32:33], s[2:3], v[12:13]
	s_mov_b32 s5, exec_lo
	s_delay_alu instid0(VALU_DEP_1)
	v_cmpx_lt_i64_e64 v[32:33], v[2:3]
	s_cbranch_execz .LBB77_15
; %bb.14:                               ;   in Loop: Header=BB77_9 Depth=1
	v_add_nc_u64_e32 v[34:35], s[2:3], v[22:23]
	v_add_nc_u64_e32 v[40:41], s[2:3], v[24:25]
	global_load_u8 v39, v[34:35], off
	global_load_u8 v42, v[40:41], off
	s_wait_loadcnt 0x1
	v_lshl_or_b32 v37, v39, 16, v37
	s_wait_loadcnt 0x0
	v_lshl_or_b32 v38, v42, 16, v38
.LBB77_15:                              ;   in Loop: Header=BB77_9 Depth=1
	s_wait_xcnt 0x0
	s_or_b32 exec_lo, exec_lo, s5
	v_add_nc_u64_e32 v[34:35], s[2:3], v[10:11]
	s_mov_b32 s5, exec_lo
	s_delay_alu instid0(VALU_DEP_1)
	v_cmpx_lt_i64_e64 v[34:35], v[2:3]
	s_cbranch_execnz .LBB77_20
; %bb.16:                               ;   in Loop: Header=BB77_9 Depth=1
	s_or_b32 exec_lo, exec_lo, s5
	s_delay_alu instid0(SALU_CYCLE_1)
	s_mov_b32 s5, exec_lo
	v_cmpx_lt_u64_e64 v[28:29], v[4:5]
	s_cbranch_execnz .LBB77_21
.LBB77_17:                              ;   in Loop: Header=BB77_9 Depth=1
	s_or_b32 exec_lo, exec_lo, s5
	s_delay_alu instid0(SALU_CYCLE_1)
	s_mov_b32 s5, exec_lo
	v_cmpx_lt_u64_e64 v[30:31], v[4:5]
	s_cbranch_execnz .LBB77_22
.LBB77_18:                              ;   in Loop: Header=BB77_9 Depth=1
	s_or_b32 exec_lo, exec_lo, s5
	s_delay_alu instid0(SALU_CYCLE_1)
	s_mov_b32 s5, exec_lo
	v_cmpx_lt_u64_e64 v[32:33], v[4:5]
	s_cbranch_execnz .LBB77_23
.LBB77_19:                              ;   in Loop: Header=BB77_9 Depth=1
	s_or_b32 exec_lo, exec_lo, s5
	s_delay_alu instid0(SALU_CYCLE_1)
	s_mov_b32 s5, exec_lo
	v_cmpx_lt_u64_e64 v[34:35], v[4:5]
	s_cbranch_execz .LBB77_8
	s_branch .LBB77_24
.LBB77_20:                              ;   in Loop: Header=BB77_9 Depth=1
	v_add_nc_u64_e32 v[40:41], s[2:3], v[18:19]
	v_add_nc_u64_e32 v[42:43], s[2:3], v[20:21]
	global_load_u8 v39, v[40:41], off
	global_load_u8 v44, v[42:43], off
	s_wait_loadcnt 0x1
	v_lshl_or_b32 v37, v39, 24, v37
	s_wait_loadcnt 0x0
	v_lshl_or_b32 v38, v44, 24, v38
	s_wait_xcnt 0x0
	s_or_b32 exec_lo, exec_lo, s5
	s_delay_alu instid0(SALU_CYCLE_1)
	s_mov_b32 s5, exec_lo
	v_cmpx_lt_u64_e64 v[28:29], v[4:5]
	s_cbranch_execz .LBB77_17
.LBB77_21:                              ;   in Loop: Header=BB77_9 Depth=1
	s_wait_loadcnt 0x0
	v_cvt_f32_ubyte0_e32 v28, v38
	s_delay_alu instid0(VALU_DEP_1) | instskip(SKIP_1) | instid1(TRANS32_DEP_1)
	v_rcp_iflag_f32_e32 v29, v28
	v_nop
	v_mul_f32_e32 v29, v36, v29
	s_delay_alu instid0(VALU_DEP_1) | instskip(NEXT) | instid1(VALU_DEP_1)
	v_trunc_f32_e32 v29, v29
	v_fma_f32 v39, -v29, v28, v36
	v_cvt_u32_f32_e32 v29, v29
	s_delay_alu instid0(VALU_DEP_2) | instskip(NEXT) | instid1(VALU_DEP_1)
	v_cmp_ge_f32_e64 vcc_lo, |v39|, v28
	v_add_co_ci_u32_e64 v39, null, 0, v29, vcc_lo
	v_add_nc_u64_e32 v[28:29], s[2:3], v[6:7]
	s_delay_alu instid0(VALU_DEP_2) | instskip(SKIP_3) | instid1(SALU_CYCLE_1)
	v_mad_u16 v39, v39, s4, v37
	global_store_b8 v[28:29], v39, off
	s_wait_xcnt 0x0
	s_or_b32 exec_lo, exec_lo, s5
	s_mov_b32 s5, exec_lo
	v_cmpx_lt_u64_e64 v[30:31], v[4:5]
	s_cbranch_execz .LBB77_18
.LBB77_22:                              ;   in Loop: Header=BB77_9 Depth=1
	s_wait_loadcnt 0x0
	v_cvt_f32_ubyte1_e32 v28, v38
	v_lshrrev_b32_e32 v31, 8, v37
	s_delay_alu instid0(VALU_DEP_2) | instskip(SKIP_1) | instid1(TRANS32_DEP_1)
	v_rcp_iflag_f32_e32 v29, v28
	v_nop
	v_mul_f32_e32 v29, v36, v29
	s_delay_alu instid0(VALU_DEP_1) | instskip(NEXT) | instid1(VALU_DEP_1)
	v_trunc_f32_e32 v29, v29
	v_fma_f32 v30, -v29, v28, v36
	v_cvt_u32_f32_e32 v29, v29
	s_delay_alu instid0(VALU_DEP_2) | instskip(NEXT) | instid1(VALU_DEP_1)
	v_cmp_ge_f32_e64 vcc_lo, |v30|, v28
	v_add_co_ci_u32_e64 v30, null, 0, v29, vcc_lo
	v_add_nc_u64_e32 v[28:29], s[2:3], v[14:15]
	s_delay_alu instid0(VALU_DEP_2) | instskip(SKIP_3) | instid1(SALU_CYCLE_1)
	v_mad_u16 v30, v30, s4, v31
	global_store_b8 v[28:29], v30, off
	s_wait_xcnt 0x0
	s_or_b32 exec_lo, exec_lo, s5
	s_mov_b32 s5, exec_lo
	v_cmpx_lt_u64_e64 v[32:33], v[4:5]
	s_cbranch_execz .LBB77_19
.LBB77_23:                              ;   in Loop: Header=BB77_9 Depth=1
	s_wait_loadcnt 0x0
	v_cvt_f32_ubyte2_e32 v28, v38
	v_lshrrev_b32_e32 v31, 16, v37
	s_delay_alu instid0(VALU_DEP_2) | instskip(SKIP_1) | instid1(TRANS32_DEP_1)
	v_rcp_iflag_f32_e32 v29, v28
	v_nop
	v_mul_f32_e32 v29, v36, v29
	s_delay_alu instid0(VALU_DEP_1) | instskip(NEXT) | instid1(VALU_DEP_1)
	v_trunc_f32_e32 v29, v29
	v_fma_f32 v30, -v29, v28, v36
	v_cvt_u32_f32_e32 v29, v29
	s_delay_alu instid0(VALU_DEP_2) | instskip(NEXT) | instid1(VALU_DEP_1)
	v_cmp_ge_f32_e64 vcc_lo, |v30|, v28
	v_add_co_ci_u32_e64 v30, null, 0, v29, vcc_lo
	v_add_nc_u64_e32 v[28:29], s[2:3], v[22:23]
	s_delay_alu instid0(VALU_DEP_2) | instskip(SKIP_3) | instid1(SALU_CYCLE_1)
	v_mad_u16 v30, v30, s4, v31
	global_store_b8 v[28:29], v30, off
	s_wait_xcnt 0x0
	s_or_b32 exec_lo, exec_lo, s5
	s_mov_b32 s5, exec_lo
	v_cmpx_lt_u64_e64 v[34:35], v[4:5]
	s_cbranch_execz .LBB77_8
.LBB77_24:                              ;   in Loop: Header=BB77_9 Depth=1
	s_wait_loadcnt 0x0
	v_cvt_f32_ubyte3_e32 v28, v38
	v_lshrrev_b32_e32 v31, 24, v37
	s_delay_alu instid0(VALU_DEP_2) | instskip(SKIP_1) | instid1(TRANS32_DEP_1)
	v_rcp_iflag_f32_e32 v29, v28
	v_nop
	v_mul_f32_e32 v29, v36, v29
	s_delay_alu instid0(VALU_DEP_1) | instskip(NEXT) | instid1(VALU_DEP_1)
	v_trunc_f32_e32 v29, v29
	v_fma_f32 v30, -v29, v28, v36
	v_cvt_u32_f32_e32 v29, v29
	s_delay_alu instid0(VALU_DEP_2) | instskip(NEXT) | instid1(VALU_DEP_1)
	v_cmp_ge_f32_e64 vcc_lo, |v30|, v28
	v_add_co_ci_u32_e64 v30, null, 0, v29, vcc_lo
	v_add_nc_u64_e32 v[28:29], s[2:3], v[18:19]
	s_delay_alu instid0(VALU_DEP_2)
	v_mad_u16 v30, v30, s4, v31
	global_store_b8 v[28:29], v30, off
	s_branch .LBB77_8
.LBB77_25:
	s_endpgm
	.section	.rodata,"a",@progbits
	.p2align	6, 0x0
	.amdhsa_kernel _ZN2at6native12_GLOBAL__N_125multi_tensor_apply_kernelINS1_18TensorListMetadataILi3EEENS1_32PointwiseOpScalar0dTensorFunctorIhLi3ELi2ELi0EEEJSt7dividesIhEhEEEvT_T0_DpT1_
		.amdhsa_group_segment_fixed_size 0
		.amdhsa_private_segment_fixed_size 0
		.amdhsa_kernarg_size 3408
		.amdhsa_user_sgpr_count 2
		.amdhsa_user_sgpr_dispatch_ptr 0
		.amdhsa_user_sgpr_queue_ptr 0
		.amdhsa_user_sgpr_kernarg_segment_ptr 1
		.amdhsa_user_sgpr_dispatch_id 0
		.amdhsa_user_sgpr_kernarg_preload_length 0
		.amdhsa_user_sgpr_kernarg_preload_offset 0
		.amdhsa_user_sgpr_private_segment_size 0
		.amdhsa_wavefront_size32 1
		.amdhsa_uses_dynamic_stack 0
		.amdhsa_enable_private_segment 0
		.amdhsa_system_sgpr_workgroup_id_x 1
		.amdhsa_system_sgpr_workgroup_id_y 0
		.amdhsa_system_sgpr_workgroup_id_z 0
		.amdhsa_system_sgpr_workgroup_info 0
		.amdhsa_system_vgpr_workitem_id 0
		.amdhsa_next_free_vgpr 45
		.amdhsa_next_free_sgpr 18
		.amdhsa_named_barrier_count 0
		.amdhsa_reserve_vcc 1
		.amdhsa_float_round_mode_32 0
		.amdhsa_float_round_mode_16_64 0
		.amdhsa_float_denorm_mode_32 3
		.amdhsa_float_denorm_mode_16_64 3
		.amdhsa_fp16_overflow 0
		.amdhsa_memory_ordered 1
		.amdhsa_forward_progress 1
		.amdhsa_inst_pref_size 15
		.amdhsa_round_robin_scheduling 0
		.amdhsa_exception_fp_ieee_invalid_op 0
		.amdhsa_exception_fp_denorm_src 0
		.amdhsa_exception_fp_ieee_div_zero 0
		.amdhsa_exception_fp_ieee_overflow 0
		.amdhsa_exception_fp_ieee_underflow 0
		.amdhsa_exception_fp_ieee_inexact 0
		.amdhsa_exception_int_div_zero 0
	.end_amdhsa_kernel
	.section	.text._ZN2at6native12_GLOBAL__N_125multi_tensor_apply_kernelINS1_18TensorListMetadataILi3EEENS1_32PointwiseOpScalar0dTensorFunctorIhLi3ELi2ELi0EEEJSt7dividesIhEhEEEvT_T0_DpT1_,"axG",@progbits,_ZN2at6native12_GLOBAL__N_125multi_tensor_apply_kernelINS1_18TensorListMetadataILi3EEENS1_32PointwiseOpScalar0dTensorFunctorIhLi3ELi2ELi0EEEJSt7dividesIhEhEEEvT_T0_DpT1_,comdat
.Lfunc_end77:
	.size	_ZN2at6native12_GLOBAL__N_125multi_tensor_apply_kernelINS1_18TensorListMetadataILi3EEENS1_32PointwiseOpScalar0dTensorFunctorIhLi3ELi2ELi0EEEJSt7dividesIhEhEEEvT_T0_DpT1_, .Lfunc_end77-_ZN2at6native12_GLOBAL__N_125multi_tensor_apply_kernelINS1_18TensorListMetadataILi3EEENS1_32PointwiseOpScalar0dTensorFunctorIhLi3ELi2ELi0EEEJSt7dividesIhEhEEEvT_T0_DpT1_
                                        ; -- End function
	.set _ZN2at6native12_GLOBAL__N_125multi_tensor_apply_kernelINS1_18TensorListMetadataILi3EEENS1_32PointwiseOpScalar0dTensorFunctorIhLi3ELi2ELi0EEEJSt7dividesIhEhEEEvT_T0_DpT1_.num_vgpr, 45
	.set _ZN2at6native12_GLOBAL__N_125multi_tensor_apply_kernelINS1_18TensorListMetadataILi3EEENS1_32PointwiseOpScalar0dTensorFunctorIhLi3ELi2ELi0EEEJSt7dividesIhEhEEEvT_T0_DpT1_.num_agpr, 0
	.set _ZN2at6native12_GLOBAL__N_125multi_tensor_apply_kernelINS1_18TensorListMetadataILi3EEENS1_32PointwiseOpScalar0dTensorFunctorIhLi3ELi2ELi0EEEJSt7dividesIhEhEEEvT_T0_DpT1_.numbered_sgpr, 18
	.set _ZN2at6native12_GLOBAL__N_125multi_tensor_apply_kernelINS1_18TensorListMetadataILi3EEENS1_32PointwiseOpScalar0dTensorFunctorIhLi3ELi2ELi0EEEJSt7dividesIhEhEEEvT_T0_DpT1_.num_named_barrier, 0
	.set _ZN2at6native12_GLOBAL__N_125multi_tensor_apply_kernelINS1_18TensorListMetadataILi3EEENS1_32PointwiseOpScalar0dTensorFunctorIhLi3ELi2ELi0EEEJSt7dividesIhEhEEEvT_T0_DpT1_.private_seg_size, 0
	.set _ZN2at6native12_GLOBAL__N_125multi_tensor_apply_kernelINS1_18TensorListMetadataILi3EEENS1_32PointwiseOpScalar0dTensorFunctorIhLi3ELi2ELi0EEEJSt7dividesIhEhEEEvT_T0_DpT1_.uses_vcc, 1
	.set _ZN2at6native12_GLOBAL__N_125multi_tensor_apply_kernelINS1_18TensorListMetadataILi3EEENS1_32PointwiseOpScalar0dTensorFunctorIhLi3ELi2ELi0EEEJSt7dividesIhEhEEEvT_T0_DpT1_.uses_flat_scratch, 0
	.set _ZN2at6native12_GLOBAL__N_125multi_tensor_apply_kernelINS1_18TensorListMetadataILi3EEENS1_32PointwiseOpScalar0dTensorFunctorIhLi3ELi2ELi0EEEJSt7dividesIhEhEEEvT_T0_DpT1_.has_dyn_sized_stack, 0
	.set _ZN2at6native12_GLOBAL__N_125multi_tensor_apply_kernelINS1_18TensorListMetadataILi3EEENS1_32PointwiseOpScalar0dTensorFunctorIhLi3ELi2ELi0EEEJSt7dividesIhEhEEEvT_T0_DpT1_.has_recursion, 0
	.set _ZN2at6native12_GLOBAL__N_125multi_tensor_apply_kernelINS1_18TensorListMetadataILi3EEENS1_32PointwiseOpScalar0dTensorFunctorIhLi3ELi2ELi0EEEJSt7dividesIhEhEEEvT_T0_DpT1_.has_indirect_call, 0
	.section	.AMDGPU.csdata,"",@progbits
; Kernel info:
; codeLenInByte = 1892
; TotalNumSgprs: 20
; NumVgprs: 45
; ScratchSize: 0
; MemoryBound: 0
; FloatMode: 240
; IeeeMode: 1
; LDSByteSize: 0 bytes/workgroup (compile time only)
; SGPRBlocks: 0
; VGPRBlocks: 2
; NumSGPRsForWavesPerEU: 20
; NumVGPRsForWavesPerEU: 45
; NamedBarCnt: 0
; Occupancy: 16
; WaveLimiterHint : 0
; COMPUTE_PGM_RSRC2:SCRATCH_EN: 0
; COMPUTE_PGM_RSRC2:USER_SGPR: 2
; COMPUTE_PGM_RSRC2:TRAP_HANDLER: 0
; COMPUTE_PGM_RSRC2:TGID_X_EN: 1
; COMPUTE_PGM_RSRC2:TGID_Y_EN: 0
; COMPUTE_PGM_RSRC2:TGID_Z_EN: 0
; COMPUTE_PGM_RSRC2:TIDIG_COMP_CNT: 0
	.section	.text._ZN2at6native12_GLOBAL__N_125multi_tensor_apply_kernelINS1_18TensorListMetadataILi3EEENS1_32PointwiseOpScalar0dTensorFunctorIaLi3ELi2ELi0EEEJSt7dividesIaEaEEEvT_T0_DpT1_,"axG",@progbits,_ZN2at6native12_GLOBAL__N_125multi_tensor_apply_kernelINS1_18TensorListMetadataILi3EEENS1_32PointwiseOpScalar0dTensorFunctorIaLi3ELi2ELi0EEEJSt7dividesIaEaEEEvT_T0_DpT1_,comdat
	.globl	_ZN2at6native12_GLOBAL__N_125multi_tensor_apply_kernelINS1_18TensorListMetadataILi3EEENS1_32PointwiseOpScalar0dTensorFunctorIaLi3ELi2ELi0EEEJSt7dividesIaEaEEEvT_T0_DpT1_ ; -- Begin function _ZN2at6native12_GLOBAL__N_125multi_tensor_apply_kernelINS1_18TensorListMetadataILi3EEENS1_32PointwiseOpScalar0dTensorFunctorIaLi3ELi2ELi0EEEJSt7dividesIaEaEEEvT_T0_DpT1_
	.p2align	8
	.type	_ZN2at6native12_GLOBAL__N_125multi_tensor_apply_kernelINS1_18TensorListMetadataILi3EEENS1_32PointwiseOpScalar0dTensorFunctorIaLi3ELi2ELi0EEEJSt7dividesIaEaEEEvT_T0_DpT1_,@function
_ZN2at6native12_GLOBAL__N_125multi_tensor_apply_kernelINS1_18TensorListMetadataILi3EEENS1_32PointwiseOpScalar0dTensorFunctorIaLi3ELi2ELi0EEEJSt7dividesIaEaEEEvT_T0_DpT1_: ; @_ZN2at6native12_GLOBAL__N_125multi_tensor_apply_kernelINS1_18TensorListMetadataILi3EEENS1_32PointwiseOpScalar0dTensorFunctorIaLi3ELi2ELi0EEEJSt7dividesIaEaEEEvT_T0_DpT1_
; %bb.0:
	s_bfe_u32 s2, ttmp6, 0x4000c
	s_and_b32 s3, ttmp6, 15
	s_add_co_i32 s2, s2, 1
	s_getreg_b32 s4, hwreg(HW_REG_IB_STS2, 6, 4)
	s_mul_i32 s2, ttmp9, s2
	s_mov_b32 s9, 0
	s_add_co_i32 s3, s3, s2
	s_cmp_eq_u32 s4, 0
	v_mov_b32_e32 v5, 0
	s_cselect_b32 s8, ttmp9, s3
	s_load_b32 s14, s[0:1], 0xc48
	s_add_nc_u64 s[2:3], s[0:1], s[8:9]
	s_mul_u64 s[4:5], s[8:9], 3
	s_delay_alu instid0(SALU_CYCLE_1)
	s_add_nc_u64 s[2:3], s[2:3], s[4:5]
	s_clause 0x1
	s_load_b32 s6, s[2:3], 0x740
	s_load_u8 s7, s[0:1], s8 offset:0x600
	s_wait_kmcnt 0x0
	s_clause 0x1
	s_load_b64 s[10:11], s[0:1], s7 offset:0x180 scale_offset
	s_load_b64 s[2:3], s[0:1], s7 offset:0x300 scale_offset
	s_wait_kmcnt 0x0
	global_load_u8 v1, v5, s[10:11]
	s_clause 0x1
	s_load_b64 s[4:5], s[0:1], s7 offset:0x0 scale_offset
	s_load_b64 s[12:13], s[0:1], s7 offset:0x480 scale_offset
	s_wait_xcnt 0x0
	s_ashr_i32 s7, s6, 31
	s_delay_alu instid0(SALU_CYCLE_1) | instskip(NEXT) | instid1(SALU_CYCLE_1)
	s_lshl_b64 s[6:7], s[6:7], 16
	s_add_nc_u64 s[10:11], s[10:11], s[6:7]
	s_delay_alu instid0(SALU_CYCLE_1) | instskip(NEXT) | instid1(SALU_CYCLE_1)
	s_or_b32 s8, s2, s10
	s_and_b32 s8, s8, 3
	s_delay_alu instid0(SALU_CYCLE_1) | instskip(SKIP_3) | instid1(SALU_CYCLE_1)
	s_cmp_lg_u32 s8, 0
	s_cselect_b32 s15, -1, 0
	s_wait_kmcnt 0x0
	s_add_nc_u64 s[10:11], s[4:5], s[6:7]
	s_or_b64 s[10:11], s[12:13], s[10:11]
	s_delay_alu instid0(SALU_CYCLE_1) | instskip(NEXT) | instid1(SALU_CYCLE_1)
	s_and_b32 s8, s10, 3
	s_cmp_lg_u64 s[8:9], 0
	s_cselect_b32 s8, -1, 0
	s_delay_alu instid0(SALU_CYCLE_1)
	s_or_b32 s10, s15, s8
	s_sub_nc_u64 s[8:9], s[12:13], s[6:7]
	s_and_not1_b32 vcc_lo, exec_lo, s10
	s_mov_b32 s10, -1
	s_wait_loadcnt 0x0
	v_readfirstlane_b32 s15, v1
	s_cbranch_vccz .LBB78_5
; %bb.1:
	v_min_i64 v[2:3], 0x10000, s[8:9]
	v_lshlrev_b32_e32 v4, 2, v0
	s_mov_b32 s16, exec_lo
	s_delay_alu instid0(VALU_DEP_1)
	v_cmpx_lt_i64_e64 v[4:5], v[2:3]
	s_cbranch_execz .LBB78_4
; %bb.2:
	s_load_b32 s10, s[0:1], 0xc5c
	v_mov_b32_e32 v1, v5
	v_add_nc_u64_e32 v[4:5], s[6:7], v[4:5]
	s_sext_i32_i8 s17, s15
	s_mov_b32 s11, 0
	s_cvt_f32_i32 s19, s17
	v_mov_b64_e32 v[6:7], v[0:1]
	s_lshr_b32 s18, s14, 16
	s_mov_b32 s13, s11
	s_mov_b32 s20, s11
	s_wait_kmcnt 0x0
	s_and_b32 s10, s10, 0xffff
	s_delay_alu instid0(SALU_CYCLE_1)
	s_lshl_b32 s12, s10, 2
.LBB78_3:                               ; =>This Inner Loop Header: Depth=1
	v_add_nc_u64_e32 v[8:9], s[2:3], v[4:5]
	v_add_nc_u64_e32 v[10:11], s[4:5], v[4:5]
	;; [unrolled: 1-line block ×4, first 2 shown]
	global_load_b32 v1, v[8:9], off
	global_load_b32 v12, v[10:11], off
	s_wait_loadcnt 0x1
	s_wait_xcnt 0x1
	v_bfe_i32 v8, v1, 0, 8
	v_bfe_i32 v13, v1, 8, 8
	;; [unrolled: 1-line block ×3, first 2 shown]
	s_wait_loadcnt 0x0
	v_dual_ashrrev_i32 v1, 24, v1 :: v_dual_lshrrev_b32 v9, 8, v12
	v_lshrrev_b32_e32 v14, 16, v12
	v_xor_b32_e32 v16, s17, v8
	v_xor_b32_e32 v17, s17, v13
	v_cvt_f32_i32_e32 v13, v13
	v_cvt_f32_i32_e32 v8, v8
	s_delay_alu instid0(VALU_DEP_4) | instskip(NEXT) | instid1(VALU_DEP_4)
	v_dual_ashrrev_i32 v16, 30, v16 :: v_dual_bitop2_b32 v18, s17, v15 bitop3:0x14
	v_ashrrev_i32_e32 v17, 30, v17
	s_delay_alu instid0(VALU_DEP_4) | instskip(SKIP_4) | instid1(VALU_DEP_3)
	v_rcp_iflag_f32_e32 v21, v13
	v_xor_b32_e32 v19, s17, v1
	v_cvt_f32_i32_e32 v15, v15
	v_ashrrev_i32_e32 v18, 30, v18
	v_rcp_iflag_f32_e32 v20, v8
	v_dual_ashrrev_i32 v19, 30, v19 :: v_dual_bitop2_b32 v17, 1, v17 bitop3:0x54
	v_or_b32_e32 v16, 1, v16
	s_delay_alu instid0(VALU_DEP_3) | instskip(SKIP_1) | instid1(TRANS32_DEP_2)
	v_dual_mul_f32 v21, s19, v21 :: v_dual_bitop2_b32 v18, 1, v18 bitop3:0x54
	v_rcp_iflag_f32_e32 v22, v15
	v_mul_f32_e32 v20, s19, v20
	v_cvt_f32_i32_e32 v1, v1
	v_or_b32_e32 v19, 1, v19
	v_trunc_f32_e32 v21, v21
	s_delay_alu instid0(VALU_DEP_4) | instskip(NEXT) | instid1(TRANS32_DEP_1)
	v_trunc_f32_e32 v20, v20
	v_mul_f32_e32 v22, s19, v22
	v_rcp_iflag_f32_e32 v23, v1
	s_delay_alu instid0(VALU_DEP_3)
	v_fma_f32 v25, -v21, v13, s19
	v_cvt_i32_f32_e32 v21, v21
	v_fma_f32 v24, -v20, v8, s19
	v_trunc_f32_e32 v22, v22
	v_cvt_i32_f32_e32 v20, v20
	v_cmp_ge_f32_e64 vcc_lo, |v25|, |v13|
	v_mul_f32_e32 v23, s19, v23
	s_delay_alu instid0(VALU_DEP_4)
	v_fma_f32 v26, -v22, v15, s19
	v_cvt_i32_f32_e32 v22, v22
	v_cndmask_b32_e32 v13, 0, v17, vcc_lo
	v_cmp_ge_f32_e64 vcc_lo, |v24|, |v8|
	v_trunc_f32_e32 v23, v23
	v_cndmask_b32_e32 v8, 0, v16, vcc_lo
	v_cmp_ge_f32_e64 vcc_lo, |v26|, |v15|
	s_delay_alu instid0(VALU_DEP_3) | instskip(SKIP_1) | instid1(VALU_DEP_3)
	v_fma_f32 v16, -v23, v1, s19
	v_cvt_i32_f32_e32 v17, v23
	v_dual_cndmask_b32 v15, 0, v18, vcc_lo :: v_dual_add_nc_u32 v13, v21, v13
	v_add_nc_u32_e32 v8, v20, v8
	s_delay_alu instid0(VALU_DEP_4) | instskip(NEXT) | instid1(VALU_DEP_3)
	v_cmp_ge_f32_e64 vcc_lo, |v16|, |v1|
	v_add_nc_u32_e32 v15, v22, v15
	s_delay_alu instid0(VALU_DEP_4) | instskip(NEXT) | instid1(VALU_DEP_4)
	v_mad_u16 v9, s18, v13, v9
	v_mad_u16 v13, s18, v8, v12
	v_dual_cndmask_b32 v1, 0, v19 :: v_dual_lshrrev_b32 v12, 24, v12
	s_delay_alu instid0(VALU_DEP_4) | instskip(NEXT) | instid1(VALU_DEP_4)
	v_mad_u16 v14, s18, v15, v14
	v_and_b32_e32 v15, 0xff, v9
	v_lshlrev_b64_e32 v[8:9], 2, v[6:7]
	s_delay_alu instid0(VALU_DEP_4) | instskip(NEXT) | instid1(VALU_DEP_4)
	v_add_nc_u32_e32 v1, v17, v1
	v_and_b32_e32 v14, 0xff, v14
	s_delay_alu instid0(VALU_DEP_4) | instskip(NEXT) | instid1(VALU_DEP_3)
	v_perm_b32 v13, v15, v13, 0x6050400
	v_mad_u16 v1, s18, v1, v12
	v_cmp_ge_i64_e32 vcc_lo, v[8:9], v[2:3]
	s_delay_alu instid0(VALU_DEP_3) | instskip(NEXT) | instid1(VALU_DEP_1)
	v_lshl_or_b32 v12, v14, 16, v13
	v_lshl_or_b32 v1, v1, 24, v12
	s_or_b32 s20, vcc_lo, s20
	global_store_b32 v[10:11], v1, off
	s_wait_xcnt 0x0
	s_and_not1_b32 exec_lo, exec_lo, s20
	s_cbranch_execnz .LBB78_3
.LBB78_4:
	s_or_b32 exec_lo, exec_lo, s16
	s_mov_b32 s10, 0
.LBB78_5:
	s_delay_alu instid0(SALU_CYCLE_1)
	s_and_not1_b32 vcc_lo, exec_lo, s10
	s_cbranch_vccnz .LBB78_25
; %bb.6:
	v_cmp_lt_i64_e64 s10, s[8:9], 1
	s_and_b32 vcc_lo, exec_lo, s10
	s_cbranch_vccnz .LBB78_25
; %bb.7:
	s_load_b32 s0, s[0:1], 0xc5c
	v_min_i64 v[2:3], 0x10000, s[8:9]
	v_min_u64 v[4:5], 0x10000, s[8:9]
	v_mov_b32_e32 v1, 0
	s_mov_b32 s9, 0
	s_delay_alu instid0(SALU_CYCLE_1) | instskip(SKIP_1) | instid1(VALU_DEP_1)
	s_mov_b32 s11, s9
	s_mov_b32 s13, s9
	v_add_nc_u64_e32 v[10:11], s[6:7], v[0:1]
	s_delay_alu instid0(VALU_DEP_1) | instskip(SKIP_3) | instid1(SALU_CYCLE_1)
	v_add_nc_u64_e32 v[6:7], s[4:5], v[10:11]
	v_add_nc_u64_e32 v[8:9], s[2:3], v[10:11]
	s_wait_kmcnt 0x0
	s_and_b32 s8, s0, 0xffff
	s_lshl_b32 s10, s8, 1
	s_mul_i32 s12, s8, 3
	v_add_nc_u64_e32 v[16:17], s[8:9], v[10:11]
	s_add_nc_u64 s[0:1], s[6:7], s[12:13]
	s_add_nc_u64 s[6:7], s[6:7], s[10:11]
	v_add_nc_u64_e32 v[20:21], s[0:1], v[0:1]
	v_add_nc_u64_e32 v[24:25], s[6:7], v[0:1]
	;; [unrolled: 1-line block ×11, first 2 shown]
	s_sext_i32_i8 s4, s15
	s_lshl_b32 s0, s8, 2
	s_cvt_f32_i32 s5, s4
	s_mov_b32 s1, s9
	s_mov_b64 s[2:3], 0
	s_lshr_b32 s6, s14, 16
	s_branch .LBB78_9
.LBB78_8:                               ;   in Loop: Header=BB78_9 Depth=1
	s_wait_xcnt 0x0
	s_or_b32 exec_lo, exec_lo, s7
	s_add_nc_u64 s[2:3], s[2:3], s[0:1]
	s_delay_alu instid0(SALU_CYCLE_1)
	v_cmp_ge_i64_e32 vcc_lo, s[2:3], v[2:3]
	s_cbranch_vccnz .LBB78_25
.LBB78_9:                               ; =>This Inner Loop Header: Depth=1
	v_add_nc_u64_e32 v[34:35], s[2:3], v[0:1]
	s_wait_loadcnt 0x0
	v_dual_mov_b32 v37, 0 :: v_dual_mov_b32 v36, 0
	s_mov_b32 s7, exec_lo
	s_delay_alu instid0(VALU_DEP_2)
	v_cmpx_lt_i64_e64 v[34:35], v[2:3]
	s_cbranch_execz .LBB78_11
; %bb.10:                               ;   in Loop: Header=BB78_9 Depth=1
	v_add_nc_u64_e32 v[28:29], s[2:3], v[6:7]
	v_add_nc_u64_e32 v[30:31], s[2:3], v[8:9]
	global_load_u8 v36, v[28:29], off
	global_load_u8 v37, v[30:31], off
.LBB78_11:                              ;   in Loop: Header=BB78_9 Depth=1
	s_wait_xcnt 0x0
	s_or_b32 exec_lo, exec_lo, s7
	v_add_nc_u64_e32 v[32:33], s[2:3], v[26:27]
	s_mov_b32 s7, exec_lo
	s_delay_alu instid0(VALU_DEP_1)
	v_cmpx_lt_i64_e64 v[32:33], v[2:3]
	s_cbranch_execz .LBB78_13
; %bb.12:                               ;   in Loop: Header=BB78_9 Depth=1
	v_add_nc_u64_e32 v[28:29], s[2:3], v[14:15]
	v_add_nc_u64_e32 v[30:31], s[2:3], v[16:17]
	global_load_u8 v38, v[28:29], off
	global_load_u8 v39, v[30:31], off
	s_wait_loadcnt 0x1
	v_lshl_or_b32 v36, v38, 8, v36
	s_wait_loadcnt 0x0
	v_lshl_or_b32 v37, v39, 8, v37
.LBB78_13:                              ;   in Loop: Header=BB78_9 Depth=1
	s_wait_xcnt 0x0
	s_or_b32 exec_lo, exec_lo, s7
	v_add_nc_u64_e32 v[30:31], s[2:3], v[12:13]
	s_mov_b32 s7, exec_lo
	s_delay_alu instid0(VALU_DEP_1)
	v_cmpx_lt_i64_e64 v[30:31], v[2:3]
	s_cbranch_execz .LBB78_15
; %bb.14:                               ;   in Loop: Header=BB78_9 Depth=1
	v_add_nc_u64_e32 v[28:29], s[2:3], v[22:23]
	v_add_nc_u64_e32 v[38:39], s[2:3], v[24:25]
	global_load_u8 v40, v[28:29], off
	global_load_u8 v41, v[38:39], off
	s_wait_loadcnt 0x1
	v_lshl_or_b32 v36, v40, 16, v36
	s_wait_loadcnt 0x0
	v_lshl_or_b32 v37, v41, 16, v37
.LBB78_15:                              ;   in Loop: Header=BB78_9 Depth=1
	s_wait_xcnt 0x0
	s_or_b32 exec_lo, exec_lo, s7
	v_add_nc_u64_e32 v[28:29], s[2:3], v[10:11]
	s_mov_b32 s7, exec_lo
	s_delay_alu instid0(VALU_DEP_1)
	v_cmpx_lt_i64_e64 v[28:29], v[2:3]
	s_cbranch_execnz .LBB78_20
; %bb.16:                               ;   in Loop: Header=BB78_9 Depth=1
	s_or_b32 exec_lo, exec_lo, s7
	s_delay_alu instid0(SALU_CYCLE_1)
	s_mov_b32 s7, exec_lo
	v_cmpx_lt_u64_e64 v[34:35], v[4:5]
	s_cbranch_execnz .LBB78_21
.LBB78_17:                              ;   in Loop: Header=BB78_9 Depth=1
	s_or_b32 exec_lo, exec_lo, s7
	s_delay_alu instid0(SALU_CYCLE_1)
	s_mov_b32 s7, exec_lo
	v_cmpx_lt_u64_e64 v[32:33], v[4:5]
	s_cbranch_execnz .LBB78_22
.LBB78_18:                              ;   in Loop: Header=BB78_9 Depth=1
	s_or_b32 exec_lo, exec_lo, s7
	s_delay_alu instid0(SALU_CYCLE_1)
	s_mov_b32 s7, exec_lo
	v_cmpx_lt_u64_e64 v[30:31], v[4:5]
	s_cbranch_execnz .LBB78_23
.LBB78_19:                              ;   in Loop: Header=BB78_9 Depth=1
	s_or_b32 exec_lo, exec_lo, s7
	s_delay_alu instid0(SALU_CYCLE_1)
	s_mov_b32 s7, exec_lo
	v_cmpx_lt_u64_e64 v[28:29], v[4:5]
	s_cbranch_execz .LBB78_8
	s_branch .LBB78_24
.LBB78_20:                              ;   in Loop: Header=BB78_9 Depth=1
	v_add_nc_u64_e32 v[38:39], s[2:3], v[18:19]
	v_add_nc_u64_e32 v[40:41], s[2:3], v[20:21]
	global_load_u8 v42, v[38:39], off
	global_load_u8 v43, v[40:41], off
	s_wait_loadcnt 0x1
	v_lshl_or_b32 v36, v42, 24, v36
	s_wait_loadcnt 0x0
	v_lshl_or_b32 v37, v43, 24, v37
	s_wait_xcnt 0x0
	s_or_b32 exec_lo, exec_lo, s7
	s_delay_alu instid0(SALU_CYCLE_1)
	s_mov_b32 s7, exec_lo
	v_cmpx_lt_u64_e64 v[34:35], v[4:5]
	s_cbranch_execz .LBB78_17
.LBB78_21:                              ;   in Loop: Header=BB78_9 Depth=1
	s_wait_loadcnt 0x0
	v_bfe_i32 v34, v37, 0, 8
	s_delay_alu instid0(VALU_DEP_1) | instskip(SKIP_1) | instid1(VALU_DEP_2)
	v_cvt_f32_i32_e32 v35, v34
	v_xor_b32_e32 v34, s4, v34
	v_rcp_iflag_f32_e32 v38, v35
	s_delay_alu instid0(VALU_DEP_1) | instskip(NEXT) | instid1(VALU_DEP_1)
	v_ashrrev_i32_e32 v34, 30, v34
	v_or_b32_e32 v34, 1, v34
	s_delay_alu instid0(TRANS32_DEP_1) | instskip(NEXT) | instid1(VALU_DEP_1)
	v_mul_f32_e32 v38, s5, v38
	v_trunc_f32_e32 v38, v38
	s_delay_alu instid0(VALU_DEP_1) | instskip(SKIP_1) | instid1(VALU_DEP_2)
	v_fma_f32 v39, -v38, v35, s5
	v_cvt_i32_f32_e32 v38, v38
	v_cmp_ge_f32_e64 vcc_lo, |v39|, |v35|
	v_cndmask_b32_e32 v34, 0, v34, vcc_lo
	s_delay_alu instid0(VALU_DEP_1) | instskip(SKIP_1) | instid1(VALU_DEP_2)
	v_add_nc_u32_e32 v38, v38, v34
	v_add_nc_u64_e32 v[34:35], s[2:3], v[6:7]
	v_mad_u16 v38, s6, v38, v36
	global_store_b8 v[34:35], v38, off
	s_wait_xcnt 0x0
	s_or_b32 exec_lo, exec_lo, s7
	s_delay_alu instid0(SALU_CYCLE_1)
	s_mov_b32 s7, exec_lo
	v_cmpx_lt_u64_e64 v[32:33], v[4:5]
	s_cbranch_execz .LBB78_18
.LBB78_22:                              ;   in Loop: Header=BB78_9 Depth=1
	s_wait_loadcnt 0x0
	v_bfe_i32 v32, v37, 8, 8
	s_delay_alu instid0(VALU_DEP_1) | instskip(SKIP_1) | instid1(VALU_DEP_2)
	v_cvt_f32_i32_e32 v33, v32
	v_xor_b32_e32 v32, s4, v32
	v_rcp_iflag_f32_e32 v34, v33
	s_delay_alu instid0(VALU_DEP_1)
	v_ashrrev_i32_e32 v32, 30, v32
	s_delay_alu instid0(TRANS32_DEP_1) | instid1(VALU_DEP_1)
	v_dual_mul_f32 v34, s5, v34 :: v_dual_bitop2_b32 v32, 1, v32 bitop3:0x54
	s_delay_alu instid0(VALU_DEP_1) | instskip(NEXT) | instid1(VALU_DEP_1)
	v_trunc_f32_e32 v34, v34
	v_fma_f32 v35, -v34, v33, s5
	v_cvt_i32_f32_e32 v34, v34
	s_delay_alu instid0(VALU_DEP_2) | instskip(SKIP_2) | instid1(VALU_DEP_1)
	v_cmp_ge_f32_e64 vcc_lo, |v35|, |v33|
	v_lshrrev_b32_e32 v35, 8, v36
	v_cndmask_b32_e32 v32, 0, v32, vcc_lo
	v_add_nc_u32_e32 v34, v34, v32
	v_add_nc_u64_e32 v[32:33], s[2:3], v[14:15]
	s_delay_alu instid0(VALU_DEP_2) | instskip(SKIP_3) | instid1(SALU_CYCLE_1)
	v_mad_u16 v34, s6, v34, v35
	global_store_b8 v[32:33], v34, off
	s_wait_xcnt 0x0
	s_or_b32 exec_lo, exec_lo, s7
	s_mov_b32 s7, exec_lo
	v_cmpx_lt_u64_e64 v[30:31], v[4:5]
	s_cbranch_execz .LBB78_19
.LBB78_23:                              ;   in Loop: Header=BB78_9 Depth=1
	s_wait_loadcnt 0x0
	v_bfe_i32 v30, v37, 16, 8
	s_delay_alu instid0(VALU_DEP_1) | instskip(SKIP_1) | instid1(VALU_DEP_2)
	v_cvt_f32_i32_e32 v31, v30
	v_xor_b32_e32 v30, s4, v30
	v_rcp_iflag_f32_e32 v32, v31
	v_nop
	s_delay_alu instid0(TRANS32_DEP_1) | instskip(NEXT) | instid1(VALU_DEP_1)
	v_dual_ashrrev_i32 v30, 30, v30 :: v_dual_mul_f32 v32, s5, v32
	v_trunc_f32_e32 v32, v32
	s_delay_alu instid0(VALU_DEP_1) | instskip(SKIP_1) | instid1(VALU_DEP_2)
	v_fma_f32 v33, -v32, v31, s5
	v_cvt_i32_f32_e32 v32, v32
	v_cmp_ge_f32_e64 vcc_lo, |v33|, |v31|
	v_dual_lshrrev_b32 v33, 16, v36 :: v_dual_bitop2_b32 v30, 1, v30 bitop3:0x54
	s_delay_alu instid0(VALU_DEP_1) | instskip(NEXT) | instid1(VALU_DEP_1)
	v_cndmask_b32_e32 v30, 0, v30, vcc_lo
	v_add_nc_u32_e32 v32, v32, v30
	v_add_nc_u64_e32 v[30:31], s[2:3], v[22:23]
	s_delay_alu instid0(VALU_DEP_2) | instskip(SKIP_3) | instid1(SALU_CYCLE_1)
	v_mad_u16 v32, s6, v32, v33
	global_store_b8 v[30:31], v32, off
	s_wait_xcnt 0x0
	s_or_b32 exec_lo, exec_lo, s7
	s_mov_b32 s7, exec_lo
	v_cmpx_lt_u64_e64 v[28:29], v[4:5]
	s_cbranch_execz .LBB78_8
.LBB78_24:                              ;   in Loop: Header=BB78_9 Depth=1
	s_wait_loadcnt 0x0
	v_ashrrev_i32_e32 v28, 24, v37
	s_delay_alu instid0(VALU_DEP_1) | instskip(NEXT) | instid1(VALU_DEP_1)
	v_cvt_f32_i32_e32 v29, v28
	v_rcp_iflag_f32_e32 v30, v29
	v_nop
	s_delay_alu instid0(TRANS32_DEP_1) | instskip(NEXT) | instid1(VALU_DEP_1)
	v_dual_mul_f32 v30, s5, v30 :: v_dual_bitop2_b32 v28, s4, v28 bitop3:0x14
	v_trunc_f32_e32 v30, v30
	s_delay_alu instid0(VALU_DEP_2) | instskip(NEXT) | instid1(VALU_DEP_2)
	v_ashrrev_i32_e32 v28, 30, v28
	v_fma_f32 v31, -v30, v29, s5
	s_delay_alu instid0(VALU_DEP_2) | instskip(SKIP_1) | instid1(VALU_DEP_3)
	v_or_b32_e32 v28, 1, v28
	v_cvt_i32_f32_e32 v30, v30
	v_cmp_ge_f32_e64 vcc_lo, |v31|, |v29|
	v_lshrrev_b32_e32 v31, 24, v36
	s_delay_alu instid0(VALU_DEP_4) | instskip(NEXT) | instid1(VALU_DEP_1)
	v_cndmask_b32_e32 v28, 0, v28, vcc_lo
	v_add_nc_u32_e32 v30, v30, v28
	v_add_nc_u64_e32 v[28:29], s[2:3], v[18:19]
	s_delay_alu instid0(VALU_DEP_2)
	v_mad_u16 v30, s6, v30, v31
	global_store_b8 v[28:29], v30, off
	s_branch .LBB78_8
.LBB78_25:
	s_endpgm
	.section	.rodata,"a",@progbits
	.p2align	6, 0x0
	.amdhsa_kernel _ZN2at6native12_GLOBAL__N_125multi_tensor_apply_kernelINS1_18TensorListMetadataILi3EEENS1_32PointwiseOpScalar0dTensorFunctorIaLi3ELi2ELi0EEEJSt7dividesIaEaEEEvT_T0_DpT1_
		.amdhsa_group_segment_fixed_size 0
		.amdhsa_private_segment_fixed_size 0
		.amdhsa_kernarg_size 3408
		.amdhsa_user_sgpr_count 2
		.amdhsa_user_sgpr_dispatch_ptr 0
		.amdhsa_user_sgpr_queue_ptr 0
		.amdhsa_user_sgpr_kernarg_segment_ptr 1
		.amdhsa_user_sgpr_dispatch_id 0
		.amdhsa_user_sgpr_kernarg_preload_length 0
		.amdhsa_user_sgpr_kernarg_preload_offset 0
		.amdhsa_user_sgpr_private_segment_size 0
		.amdhsa_wavefront_size32 1
		.amdhsa_uses_dynamic_stack 0
		.amdhsa_enable_private_segment 0
		.amdhsa_system_sgpr_workgroup_id_x 1
		.amdhsa_system_sgpr_workgroup_id_y 0
		.amdhsa_system_sgpr_workgroup_id_z 0
		.amdhsa_system_sgpr_workgroup_info 0
		.amdhsa_system_vgpr_workitem_id 0
		.amdhsa_next_free_vgpr 44
		.amdhsa_next_free_sgpr 21
		.amdhsa_named_barrier_count 0
		.amdhsa_reserve_vcc 1
		.amdhsa_float_round_mode_32 0
		.amdhsa_float_round_mode_16_64 0
		.amdhsa_float_denorm_mode_32 3
		.amdhsa_float_denorm_mode_16_64 3
		.amdhsa_fp16_overflow 0
		.amdhsa_memory_ordered 1
		.amdhsa_forward_progress 1
		.amdhsa_inst_pref_size 17
		.amdhsa_round_robin_scheduling 0
		.amdhsa_exception_fp_ieee_invalid_op 0
		.amdhsa_exception_fp_denorm_src 0
		.amdhsa_exception_fp_ieee_div_zero 0
		.amdhsa_exception_fp_ieee_overflow 0
		.amdhsa_exception_fp_ieee_underflow 0
		.amdhsa_exception_fp_ieee_inexact 0
		.amdhsa_exception_int_div_zero 0
	.end_amdhsa_kernel
	.section	.text._ZN2at6native12_GLOBAL__N_125multi_tensor_apply_kernelINS1_18TensorListMetadataILi3EEENS1_32PointwiseOpScalar0dTensorFunctorIaLi3ELi2ELi0EEEJSt7dividesIaEaEEEvT_T0_DpT1_,"axG",@progbits,_ZN2at6native12_GLOBAL__N_125multi_tensor_apply_kernelINS1_18TensorListMetadataILi3EEENS1_32PointwiseOpScalar0dTensorFunctorIaLi3ELi2ELi0EEEJSt7dividesIaEaEEEvT_T0_DpT1_,comdat
.Lfunc_end78:
	.size	_ZN2at6native12_GLOBAL__N_125multi_tensor_apply_kernelINS1_18TensorListMetadataILi3EEENS1_32PointwiseOpScalar0dTensorFunctorIaLi3ELi2ELi0EEEJSt7dividesIaEaEEEvT_T0_DpT1_, .Lfunc_end78-_ZN2at6native12_GLOBAL__N_125multi_tensor_apply_kernelINS1_18TensorListMetadataILi3EEENS1_32PointwiseOpScalar0dTensorFunctorIaLi3ELi2ELi0EEEJSt7dividesIaEaEEEvT_T0_DpT1_
                                        ; -- End function
	.set _ZN2at6native12_GLOBAL__N_125multi_tensor_apply_kernelINS1_18TensorListMetadataILi3EEENS1_32PointwiseOpScalar0dTensorFunctorIaLi3ELi2ELi0EEEJSt7dividesIaEaEEEvT_T0_DpT1_.num_vgpr, 44
	.set _ZN2at6native12_GLOBAL__N_125multi_tensor_apply_kernelINS1_18TensorListMetadataILi3EEENS1_32PointwiseOpScalar0dTensorFunctorIaLi3ELi2ELi0EEEJSt7dividesIaEaEEEvT_T0_DpT1_.num_agpr, 0
	.set _ZN2at6native12_GLOBAL__N_125multi_tensor_apply_kernelINS1_18TensorListMetadataILi3EEENS1_32PointwiseOpScalar0dTensorFunctorIaLi3ELi2ELi0EEEJSt7dividesIaEaEEEvT_T0_DpT1_.numbered_sgpr, 21
	.set _ZN2at6native12_GLOBAL__N_125multi_tensor_apply_kernelINS1_18TensorListMetadataILi3EEENS1_32PointwiseOpScalar0dTensorFunctorIaLi3ELi2ELi0EEEJSt7dividesIaEaEEEvT_T0_DpT1_.num_named_barrier, 0
	.set _ZN2at6native12_GLOBAL__N_125multi_tensor_apply_kernelINS1_18TensorListMetadataILi3EEENS1_32PointwiseOpScalar0dTensorFunctorIaLi3ELi2ELi0EEEJSt7dividesIaEaEEEvT_T0_DpT1_.private_seg_size, 0
	.set _ZN2at6native12_GLOBAL__N_125multi_tensor_apply_kernelINS1_18TensorListMetadataILi3EEENS1_32PointwiseOpScalar0dTensorFunctorIaLi3ELi2ELi0EEEJSt7dividesIaEaEEEvT_T0_DpT1_.uses_vcc, 1
	.set _ZN2at6native12_GLOBAL__N_125multi_tensor_apply_kernelINS1_18TensorListMetadataILi3EEENS1_32PointwiseOpScalar0dTensorFunctorIaLi3ELi2ELi0EEEJSt7dividesIaEaEEEvT_T0_DpT1_.uses_flat_scratch, 0
	.set _ZN2at6native12_GLOBAL__N_125multi_tensor_apply_kernelINS1_18TensorListMetadataILi3EEENS1_32PointwiseOpScalar0dTensorFunctorIaLi3ELi2ELi0EEEJSt7dividesIaEaEEEvT_T0_DpT1_.has_dyn_sized_stack, 0
	.set _ZN2at6native12_GLOBAL__N_125multi_tensor_apply_kernelINS1_18TensorListMetadataILi3EEENS1_32PointwiseOpScalar0dTensorFunctorIaLi3ELi2ELi0EEEJSt7dividesIaEaEEEvT_T0_DpT1_.has_recursion, 0
	.set _ZN2at6native12_GLOBAL__N_125multi_tensor_apply_kernelINS1_18TensorListMetadataILi3EEENS1_32PointwiseOpScalar0dTensorFunctorIaLi3ELi2ELi0EEEJSt7dividesIaEaEEEvT_T0_DpT1_.has_indirect_call, 0
	.section	.AMDGPU.csdata,"",@progbits
; Kernel info:
; codeLenInByte = 2116
; TotalNumSgprs: 23
; NumVgprs: 44
; ScratchSize: 0
; MemoryBound: 0
; FloatMode: 240
; IeeeMode: 1
; LDSByteSize: 0 bytes/workgroup (compile time only)
; SGPRBlocks: 0
; VGPRBlocks: 2
; NumSGPRsForWavesPerEU: 23
; NumVGPRsForWavesPerEU: 44
; NamedBarCnt: 0
; Occupancy: 16
; WaveLimiterHint : 0
; COMPUTE_PGM_RSRC2:SCRATCH_EN: 0
; COMPUTE_PGM_RSRC2:USER_SGPR: 2
; COMPUTE_PGM_RSRC2:TRAP_HANDLER: 0
; COMPUTE_PGM_RSRC2:TGID_X_EN: 1
; COMPUTE_PGM_RSRC2:TGID_Y_EN: 0
; COMPUTE_PGM_RSRC2:TGID_Z_EN: 0
; COMPUTE_PGM_RSRC2:TIDIG_COMP_CNT: 0
	.section	.text._ZN2at6native12_GLOBAL__N_125multi_tensor_apply_kernelINS1_18TensorListMetadataILi3EEENS1_32PointwiseOpScalar0dTensorFunctorIiLi3ELi2ELi0EEEJSt7dividesIiEiEEEvT_T0_DpT1_,"axG",@progbits,_ZN2at6native12_GLOBAL__N_125multi_tensor_apply_kernelINS1_18TensorListMetadataILi3EEENS1_32PointwiseOpScalar0dTensorFunctorIiLi3ELi2ELi0EEEJSt7dividesIiEiEEEvT_T0_DpT1_,comdat
	.globl	_ZN2at6native12_GLOBAL__N_125multi_tensor_apply_kernelINS1_18TensorListMetadataILi3EEENS1_32PointwiseOpScalar0dTensorFunctorIiLi3ELi2ELi0EEEJSt7dividesIiEiEEEvT_T0_DpT1_ ; -- Begin function _ZN2at6native12_GLOBAL__N_125multi_tensor_apply_kernelINS1_18TensorListMetadataILi3EEENS1_32PointwiseOpScalar0dTensorFunctorIiLi3ELi2ELi0EEEJSt7dividesIiEiEEEvT_T0_DpT1_
	.p2align	8
	.type	_ZN2at6native12_GLOBAL__N_125multi_tensor_apply_kernelINS1_18TensorListMetadataILi3EEENS1_32PointwiseOpScalar0dTensorFunctorIiLi3ELi2ELi0EEEJSt7dividesIiEiEEEvT_T0_DpT1_,@function
_ZN2at6native12_GLOBAL__N_125multi_tensor_apply_kernelINS1_18TensorListMetadataILi3EEENS1_32PointwiseOpScalar0dTensorFunctorIiLi3ELi2ELi0EEEJSt7dividesIiEiEEEvT_T0_DpT1_: ; @_ZN2at6native12_GLOBAL__N_125multi_tensor_apply_kernelINS1_18TensorListMetadataILi3EEENS1_32PointwiseOpScalar0dTensorFunctorIiLi3ELi2ELi0EEEJSt7dividesIiEiEEEvT_T0_DpT1_
; %bb.0:
	s_bfe_u32 s2, ttmp6, 0x4000c
	s_and_b32 s3, ttmp6, 15
	s_add_co_i32 s2, s2, 1
	s_getreg_b32 s4, hwreg(HW_REG_IB_STS2, 6, 4)
	s_mul_i32 s2, ttmp9, s2
	s_mov_b32 s11, 0
	s_add_co_i32 s3, s3, s2
	s_cmp_eq_u32 s4, 0
	s_load_b32 s20, s[0:1], 0xc4c
	s_cselect_b32 s10, ttmp9, s3
	s_delay_alu instid0(SALU_CYCLE_1) | instskip(SKIP_1) | instid1(SALU_CYCLE_1)
	s_add_nc_u64 s[2:3], s[0:1], s[10:11]
	s_mul_u64 s[4:5], s[10:11], 3
	s_add_nc_u64 s[2:3], s[2:3], s[4:5]
	s_clause 0x1
	s_load_b32 s12, s[2:3], 0x740
	s_load_u8 s4, s[0:1], s10 offset:0x600
	s_wait_kmcnt 0x0
	s_clause 0x3
	s_load_b64 s[14:15], s[0:1], s4 offset:0x180 scale_offset
	s_load_b64 s[8:9], s[0:1], s4 offset:0x300 scale_offset
	;; [unrolled: 1-line block ×4, first 2 shown]
	s_ashr_i32 s13, s12, 31
	s_delay_alu instid0(SALU_CYCLE_1)
	s_lshl_b64 s[18:19], s[12:13], 18
	s_wait_kmcnt 0x0
	s_add_nc_u64 s[6:7], s[14:15], s[18:19]
	s_add_nc_u64 s[4:5], s[8:9], s[18:19]
	s_load_b32 s21, s[14:15], 0x0
	s_or_b32 s10, s4, s6
	s_add_nc_u64 s[6:7], s[2:3], s[18:19]
	s_and_b32 s10, s10, 15
	s_and_b64 s[22:23], s[6:7], 15
	s_cmp_lg_u32 s10, 0
	s_cselect_b32 s24, -1, 0
	s_and_b32 s10, s16, 3
	s_lshl_b64 s[12:13], s[12:13], 16
	s_or_b64 s[10:11], s[22:23], s[10:11]
	s_delay_alu instid0(SALU_CYCLE_1)
	s_cmp_lg_u64 s[10:11], 0
	s_cselect_b32 s10, -1, 0
	s_wait_xcnt 0x0
	s_or_b32 s14, s24, s10
	s_sub_nc_u64 s[10:11], s[16:17], s[12:13]
	s_and_not1_b32 vcc_lo, exec_lo, s14
	s_mov_b32 s12, -1
	s_cbranch_vccz .LBB79_5
; %bb.1:
	v_min_i64 v[2:3], 0x10000, s[10:11]
	v_dual_mov_b32 v5, 0 :: v_dual_lshlrev_b32 v4, 2, v0
	s_mov_b32 s22, exec_lo
	s_delay_alu instid0(VALU_DEP_1)
	v_cmpx_lt_i64_e64 v[4:5], v[2:3]
	s_cbranch_execz .LBB79_4
; %bb.2:
	s_load_b32 s12, s[0:1], 0xc5c
	v_dual_mov_b32 v1, v5 :: v_dual_lshlrev_b32 v4, 4, v0
	s_mov_b32 s13, 0
	s_mov_b32 s23, s20
	s_wait_kmcnt 0x0
	s_ashr_i32 s24, s21, 31
	v_mov_b64_e32 v[8:9], v[0:1]
	v_add_nc_u64_e32 v[6:7], s[18:19], v[4:5]
	s_abs_i32 s14, s21
	s_add_nc_u64 s[16:17], s[2:3], 8
	s_mov_b32 s15, s13
	s_mov_b32 s19, s13
	;; [unrolled: 1-line block ×3, first 2 shown]
	s_and_b32 s12, s12, 0xffff
	s_delay_alu instid0(SALU_CYCLE_1)
	s_lshl_b32 s18, s12, 4
.LBB79_3:                               ; =>This Inner Loop Header: Depth=1
	v_add_nc_u64_e32 v[10:11], s[8:9], v[6:7]
	v_add_nc_u64_e32 v[18:19], s[16:17], v[6:7]
	;; [unrolled: 1-line block ×4, first 2 shown]
	global_load_b128 v[10:13], v[10:11], off
	global_load_b128 v[14:17], v[18:19], off offset:-8
	s_wait_loadcnt 0x1
	v_dual_ashrrev_i32 v1, 31, v10 :: v_dual_sub_nc_u32 v4, 0, v10
	v_dual_ashrrev_i32 v27, 31, v12 :: v_dual_sub_nc_u32 v21, 0, v12
	v_dual_sub_nc_u32 v22, 0, v13 :: v_dual_ashrrev_i32 v26, 31, v11
	s_delay_alu instid0(VALU_DEP_3) | instskip(NEXT) | instid1(VALU_DEP_3)
	v_dual_sub_nc_u32 v20, 0, v11 :: v_dual_max_i32 v28, v10, v4
	v_max_i32_e32 v12, v12, v21
	s_delay_alu instid0(VALU_DEP_3) | instskip(SKIP_1) | instid1(VALU_DEP_4)
	v_max_i32_e32 v30, v13, v22
	v_xor_b32_e32 v1, s24, v1
	v_max_i32_e32 v29, v11, v20
	v_cvt_f32_u32_e32 v4, v28
	s_wait_xcnt 0x1
	v_sub_nc_u32_e32 v10, 0, v28
	v_cvt_f32_u32_e32 v21, v12
	v_sub_nc_u32_e32 v24, 0, v30
	v_cvt_f32_u32_e32 v11, v29
	v_rcp_iflag_f32_e32 v4, v4
	v_sub_nc_u32_e32 v20, 0, v29
	v_rcp_iflag_f32_e32 v21, v21
	v_cvt_f32_u32_e32 v23, v30
	v_rcp_iflag_f32_e32 v11, v11
	v_sub_nc_u32_e32 v22, 0, v12
	s_delay_alu instid0(TRANS32_DEP_3) | instskip(NEXT) | instid1(VALU_DEP_3)
	v_mul_f32_e32 v4, 0x4f7ffffe, v4
	v_rcp_iflag_f32_e32 v23, v23
	s_delay_alu instid0(TRANS32_DEP_3) | instskip(NEXT) | instid1(TRANS32_DEP_2)
	v_mul_f32_e32 v21, 0x4f7ffffe, v21
	v_mul_f32_e32 v11, 0x4f7ffffe, v11
	s_delay_alu instid0(VALU_DEP_3) | instskip(NEXT) | instid1(VALU_DEP_3)
	v_cvt_u32_f32_e32 v4, v4
	v_cvt_u32_f32_e32 v31, v21
	s_delay_alu instid0(VALU_DEP_3) | instskip(NEXT) | instid1(VALU_DEP_3)
	v_cvt_u32_f32_e32 v25, v11
	v_mul_lo_u32 v10, v10, v4
	s_delay_alu instid0(VALU_DEP_2) | instskip(NEXT) | instid1(VALU_DEP_4)
	v_mul_lo_u32 v11, v20, v25
	v_mul_lo_u32 v20, v22, v31
	s_delay_alu instid0(VALU_DEP_3) | instskip(SKIP_1) | instid1(VALU_DEP_4)
	v_mul_hi_u32 v10, v4, v10
	v_mul_f32_e32 v23, 0x4f7ffffe, v23
	v_mul_hi_u32 v22, v25, v11
	s_delay_alu instid0(VALU_DEP_3) | instskip(NEXT) | instid1(VALU_DEP_3)
	v_add_nc_u32_e32 v4, v4, v10
	v_cvt_u32_f32_e32 v32, v23
	v_mul_hi_u32 v23, v31, v20
	s_delay_alu instid0(VALU_DEP_3) | instskip(NEXT) | instid1(VALU_DEP_3)
	v_mul_u64_e32 v[10:11], s[14:15], v[4:5]
	v_mul_lo_u32 v21, v24, v32
	v_add_nc_u32_e32 v4, v25, v22
	v_xor_b32_e32 v10, s24, v26
	s_delay_alu instid0(VALU_DEP_3) | instskip(NEXT) | instid1(VALU_DEP_3)
	v_mul_hi_u32 v24, v32, v21
	v_mul_u64_e32 v[20:21], s[14:15], v[4:5]
	v_add_nc_u32_e32 v4, v31, v23
	s_delay_alu instid0(VALU_DEP_1) | instskip(NEXT) | instid1(VALU_DEP_4)
	v_mul_u64_e32 v[22:23], s[14:15], v[4:5]
	v_add_nc_u32_e32 v4, v32, v24
	s_delay_alu instid0(VALU_DEP_1) | instskip(SKIP_2) | instid1(VALU_DEP_2)
	v_mul_u64_e32 v[24:25], s[14:15], v[4:5]
	v_dual_ashrrev_i32 v4, 31, v13 :: v_dual_bitop2_b32 v13, s24, v27 bitop3:0x14
	v_mul_lo_u32 v20, v11, v28
	v_dual_add_nc_u32 v22, 1, v11 :: v_dual_bitop2_b32 v4, s24, v4 bitop3:0x14
	s_delay_alu instid0(VALU_DEP_2) | instskip(SKIP_2) | instid1(VALU_DEP_3)
	v_sub_nc_u32_e32 v20, s14, v20
	v_mul_lo_u32 v24, v21, v29
	v_add_nc_u32_e32 v26, 1, v21
	v_cmp_ge_u32_e32 vcc_lo, v20, v28
	v_dual_sub_nc_u32 v34, v20, v28 :: v_dual_add_nc_u32 v31, 1, v23
	v_mul_lo_u32 v27, v23, v12
	v_cndmask_b32_e32 v11, v11, v22, vcc_lo
	s_delay_alu instid0(VALU_DEP_3) | instskip(NEXT) | instid1(VALU_DEP_2)
	v_dual_cndmask_b32 v20, v20, v34, vcc_lo :: v_dual_sub_nc_u32 v22, s14, v24
	v_add_nc_u32_e32 v24, 1, v11
	s_delay_alu instid0(VALU_DEP_2) | instskip(SKIP_3) | instid1(VALU_DEP_4)
	v_cmp_ge_u32_e64 s2, v20, v28
	v_mul_lo_u32 v32, v25, v30
	v_add_nc_u32_e32 v33, 1, v25
	v_cmp_ge_u32_e32 vcc_lo, v22, v29
	v_dual_sub_nc_u32 v34, v22, v29 :: v_dual_cndmask_b32 v11, v11, v24, s2
	v_dual_cndmask_b32 v21, v21, v26 :: v_dual_sub_nc_u32 v26, s14, v27
	s_delay_alu instid0(VALU_DEP_2) | instskip(SKIP_1) | instid1(VALU_DEP_3)
	v_dual_cndmask_b32 v20, v22, v34, vcc_lo :: v_dual_bitop2_b32 v11, v11, v1 bitop3:0x14
	v_sub_nc_u32_e32 v22, s14, v32
	v_cmp_ge_u32_e32 vcc_lo, v26, v12
	s_delay_alu instid0(VALU_DEP_4) | instskip(NEXT) | instid1(VALU_DEP_4)
	v_add_nc_u32_e32 v24, 1, v21
	v_cmp_ge_u32_e64 s3, v20, v29
	s_delay_alu instid0(VALU_DEP_4) | instskip(SKIP_1) | instid1(VALU_DEP_3)
	v_cmp_ge_u32_e64 s2, v22, v30
	v_dual_sub_nc_u32 v27, v26, v12 :: v_dual_cndmask_b32 v23, v23, v31, vcc_lo
	v_dual_sub_nc_u32 v28, v22, v30 :: v_dual_cndmask_b32 v20, v21, v24, s3
	s_delay_alu instid0(VALU_DEP_2) | instskip(NEXT) | instid1(VALU_DEP_2)
	v_dual_cndmask_b32 v25, v25, v33, s2 :: v_dual_cndmask_b32 v21, v26, v27, vcc_lo
	v_dual_add_nc_u32 v24, 1, v23 :: v_dual_cndmask_b32 v22, v22, v28, s2
	v_sub_nc_u32_e32 v1, v11, v1
	s_delay_alu instid0(VALU_DEP_3) | instskip(NEXT) | instid1(VALU_DEP_4)
	v_add_nc_u32_e32 v26, 1, v25
	v_cmp_ge_u32_e32 vcc_lo, v21, v12
	s_delay_alu instid0(VALU_DEP_4) | instskip(SKIP_2) | instid1(VALU_DEP_3)
	v_cndmask_b32_e32 v12, v23, v24, vcc_lo
	v_cmp_ge_u32_e32 vcc_lo, v22, v30
	v_xor_b32_e32 v22, v20, v10
	v_dual_cndmask_b32 v21, v25, v26, vcc_lo :: v_dual_bitop2_b32 v12, v12, v13 bitop3:0x14
	s_delay_alu instid0(VALU_DEP_2) | instskip(SKIP_2) | instid1(VALU_DEP_3)
	v_sub_nc_u32_e32 v11, v22, v10
	s_wait_loadcnt 0x0
	v_mad_u32 v10, v1, s20, v14
	v_dual_sub_nc_u32 v12, v12, v13 :: v_dual_bitop2_b32 v23, v21, v4 bitop3:0x14
	v_lshlrev_b64_e32 v[20:21], 2, v[8:9]
	v_mad_u32 v11, v11, s23, v15
	s_delay_alu instid0(VALU_DEP_3) | instskip(NEXT) | instid1(VALU_DEP_4)
	v_sub_nc_u32_e32 v4, v23, v4
	v_mad_u32 v12, v12, s20, v16
	s_delay_alu instid0(VALU_DEP_4) | instskip(NEXT) | instid1(VALU_DEP_3)
	v_cmp_ge_i64_e32 vcc_lo, v[20:21], v[2:3]
	v_mad_u32 v13, v4, s23, v17
	s_or_b32 s25, vcc_lo, s25
	global_store_b128 v[18:19], v[10:13], off offset:-8
	s_wait_xcnt 0x0
	s_and_not1_b32 exec_lo, exec_lo, s25
	s_cbranch_execnz .LBB79_3
.LBB79_4:
	s_or_b32 exec_lo, exec_lo, s22
	s_mov_b32 s12, 0
.LBB79_5:
	s_delay_alu instid0(SALU_CYCLE_1)
	s_and_not1_b32 vcc_lo, exec_lo, s12
	s_cbranch_vccnz .LBB79_19
; %bb.6:
	v_cmp_lt_i64_e64 s2, s[10:11], 1
	s_and_b32 vcc_lo, exec_lo, s2
	s_cbranch_vccnz .LBB79_19
; %bb.7:
	v_min_i64 v[2:3], 0x10000, s[10:11]
	v_min_u64 v[4:5], 0x10000, s[10:11]
	s_load_b32 s0, s[0:1], 0xc5c
	v_mov_b32_e32 v7, 0
	s_wait_xcnt 0x0
	s_mov_b32 s1, 0
	s_wait_kmcnt 0x0
	s_ashr_i32 s16, s21, 31
	s_mov_b32 s3, s1
	s_mov_b32 s9, s1
	v_mov_b32_e32 v1, v7
	s_mov_b32 s11, s1
	s_abs_i32 s12, s21
	s_mov_b32 s13, s1
	s_mov_b64 s[14:15], 0
	s_and_b32 s0, s0, 0xffff
	s_delay_alu instid0(SALU_CYCLE_1)
	s_lshl_b32 s2, s0, 1
	s_mul_i32 s8, s0, 3
	s_lshl_b32 s10, s0, 2
	s_branch .LBB79_9
.LBB79_8:                               ;   in Loop: Header=BB79_9 Depth=1
	s_wait_xcnt 0x0
	s_or_b32 exec_lo, exec_lo, s17
	s_add_nc_u64 s[14:15], s[14:15], s[10:11]
	s_delay_alu instid0(SALU_CYCLE_1)
	v_cmp_ge_i64_e32 vcc_lo, s[14:15], v[2:3]
	s_cbranch_vccnz .LBB79_19
.LBB79_9:                               ; =>This Inner Loop Header: Depth=1
	v_add_nc_u64_e32 v[18:19], s[14:15], v[0:1]
	s_wait_loadcnt 0x6
	v_dual_mov_b32 v29, 0 :: v_dual_mov_b32 v27, 0
	s_mov_b32 s17, exec_lo
	s_delay_alu instid0(VALU_DEP_2)
	v_cmpx_lt_i64_e64 v[18:19], v[2:3]
	s_cbranch_execz .LBB79_11
; %bb.10:                               ;   in Loop: Header=BB79_9 Depth=1
	v_lshlrev_b64_e32 v[8:9], 2, v[18:19]
	s_delay_alu instid0(VALU_DEP_1)
	v_add_nc_u64_e32 v[10:11], s[6:7], v[8:9]
	v_add_nc_u64_e32 v[8:9], s[4:5], v[8:9]
	global_load_b32 v27, v[10:11], off
	global_load_b32 v29, v[8:9], off
.LBB79_11:                              ;   in Loop: Header=BB79_9 Depth=1
	s_wait_xcnt 0x0
	s_or_b32 exec_lo, exec_lo, s17
	v_add_nc_u64_e32 v[20:21], s[0:1], v[18:19]
	v_add_nc_u64_e32 v[14:15], s[2:3], v[18:19]
	;; [unrolled: 1-line block ×3, first 2 shown]
	s_mov_b32 s17, exec_lo
	s_wait_loadcnt 0x0
	s_delay_alu instid0(VALU_DEP_3) | instskip(NEXT) | instid1(VALU_DEP_3)
	v_lshlrev_b64_e32 v[22:23], 2, v[20:21]
	v_lshlrev_b64_e32 v[24:25], 2, v[14:15]
	s_delay_alu instid0(VALU_DEP_3) | instskip(NEXT) | instid1(VALU_DEP_3)
	v_lshlrev_b64_e32 v[30:31], 2, v[10:11]
	v_add_nc_u64_e32 v[16:17], s[6:7], v[22:23]
	s_delay_alu instid0(VALU_DEP_3) | instskip(NEXT) | instid1(VALU_DEP_3)
	v_add_nc_u64_e32 v[12:13], s[6:7], v[24:25]
	v_add_nc_u64_e32 v[8:9], s[6:7], v[30:31]
	;; [unrolled: 1-line block ×5, first 2 shown]
	s_clause 0x2
	global_load_b32 v26, v[16:17], off
	global_load_b32 v24, v[12:13], off
	;; [unrolled: 1-line block ×3, first 2 shown]
	s_clause 0x2
	global_load_b32 v28, v[32:33], off
	global_load_b32 v25, v[34:35], off
	;; [unrolled: 1-line block ×3, first 2 shown]
	s_wait_xcnt 0x0
	v_cmpx_lt_u64_e64 v[18:19], v[4:5]
	s_cbranch_execnz .LBB79_15
; %bb.12:                               ;   in Loop: Header=BB79_9 Depth=1
	s_or_b32 exec_lo, exec_lo, s17
	s_delay_alu instid0(SALU_CYCLE_1)
	s_mov_b32 s17, exec_lo
	v_cmpx_lt_u64_e64 v[20:21], v[4:5]
	s_cbranch_execnz .LBB79_16
.LBB79_13:                              ;   in Loop: Header=BB79_9 Depth=1
	s_or_b32 exec_lo, exec_lo, s17
	s_delay_alu instid0(SALU_CYCLE_1)
	s_mov_b32 s17, exec_lo
	v_cmpx_lt_u64_e64 v[14:15], v[4:5]
	s_cbranch_execnz .LBB79_17
.LBB79_14:                              ;   in Loop: Header=BB79_9 Depth=1
	s_or_b32 exec_lo, exec_lo, s17
	s_delay_alu instid0(SALU_CYCLE_1)
	s_mov_b32 s17, exec_lo
	v_cmpx_lt_u64_e64 v[10:11], v[4:5]
	s_cbranch_execz .LBB79_8
	s_branch .LBB79_18
.LBB79_15:                              ;   in Loop: Header=BB79_9 Depth=1
	s_wait_loadcnt 0x6
	v_sub_nc_u32_e32 v6, 0, v29
	v_lshl_add_u64 v[18:19], v[18:19], 2, s[6:7]
	s_delay_alu instid0(VALU_DEP_2) | instskip(NEXT) | instid1(VALU_DEP_1)
	v_dual_ashrrev_i32 v29, 31, v29 :: v_dual_max_i32 v32, v29, v6
	v_cvt_f32_u32_e32 v6, v32
	v_sub_nc_u32_e32 v30, 0, v32
	s_delay_alu instid0(VALU_DEP_2) | instskip(SKIP_1) | instid1(TRANS32_DEP_1)
	v_rcp_iflag_f32_e32 v6, v6
	v_nop
	v_mul_f32_e32 v6, 0x4f7ffffe, v6
	s_delay_alu instid0(VALU_DEP_1) | instskip(NEXT) | instid1(VALU_DEP_1)
	v_cvt_u32_f32_e32 v6, v6
	v_mul_lo_u32 v30, v30, v6
	s_delay_alu instid0(VALU_DEP_1) | instskip(NEXT) | instid1(VALU_DEP_1)
	v_mul_hi_u32 v30, v6, v30
	v_add_nc_u32_e32 v6, v6, v30
	s_delay_alu instid0(VALU_DEP_1) | instskip(NEXT) | instid1(VALU_DEP_1)
	v_mul_u64_e32 v[30:31], s[12:13], v[6:7]
	v_mul_lo_u32 v6, v31, v32
	s_delay_alu instid0(VALU_DEP_1) | instskip(NEXT) | instid1(VALU_DEP_1)
	v_dual_add_nc_u32 v30, 1, v31 :: v_dual_sub_nc_u32 v6, s12, v6
	v_cmp_ge_u32_e32 vcc_lo, v6, v32
	s_delay_alu instid0(VALU_DEP_2) | instskip(NEXT) | instid1(VALU_DEP_1)
	v_dual_cndmask_b32 v30, v31, v30 :: v_dual_sub_nc_u32 v33, v6, v32
	v_dual_cndmask_b32 v6, v6, v33 :: v_dual_add_nc_u32 v31, 1, v30
	s_delay_alu instid0(VALU_DEP_1) | instskip(NEXT) | instid1(VALU_DEP_2)
	v_cmp_ge_u32_e32 vcc_lo, v6, v32
	v_dual_cndmask_b32 v6, v30, v31, vcc_lo :: v_dual_bitop2_b32 v29, s16, v29 bitop3:0x14
	s_delay_alu instid0(VALU_DEP_1) | instskip(NEXT) | instid1(VALU_DEP_1)
	v_xor_b32_e32 v6, v6, v29
	v_sub_nc_u32_e32 v6, v6, v29
	s_delay_alu instid0(VALU_DEP_1) | instskip(SKIP_3) | instid1(SALU_CYCLE_1)
	v_mad_u32 v6, v6, s20, v27
	global_store_b32 v[18:19], v6, off
	s_wait_xcnt 0x0
	s_or_b32 exec_lo, exec_lo, s17
	s_mov_b32 s17, exec_lo
	v_cmpx_lt_u64_e64 v[20:21], v[4:5]
	s_cbranch_execz .LBB79_13
.LBB79_16:                              ;   in Loop: Header=BB79_9 Depth=1
	s_wait_loadcnt 0x2
	v_sub_nc_u32_e32 v6, 0, v28
	s_delay_alu instid0(VALU_DEP_1) | instskip(NEXT) | instid1(VALU_DEP_1)
	v_max_i32_e32 v20, v28, v6
	v_cvt_f32_u32_e32 v6, v20
	v_sub_nc_u32_e32 v18, 0, v20
	s_delay_alu instid0(VALU_DEP_2) | instskip(SKIP_1) | instid1(TRANS32_DEP_1)
	v_rcp_iflag_f32_e32 v6, v6
	v_nop
	v_mul_f32_e32 v6, 0x4f7ffffe, v6
	s_delay_alu instid0(VALU_DEP_1) | instskip(NEXT) | instid1(VALU_DEP_1)
	v_cvt_u32_f32_e32 v6, v6
	v_mul_lo_u32 v18, v18, v6
	s_delay_alu instid0(VALU_DEP_1) | instskip(NEXT) | instid1(VALU_DEP_1)
	v_mul_hi_u32 v18, v6, v18
	v_add_nc_u32_e32 v6, v6, v18
	s_delay_alu instid0(VALU_DEP_1) | instskip(NEXT) | instid1(VALU_DEP_1)
	v_mul_u64_e32 v[18:19], s[12:13], v[6:7]
	v_mul_lo_u32 v6, v19, v20
	s_delay_alu instid0(VALU_DEP_1) | instskip(NEXT) | instid1(VALU_DEP_1)
	v_dual_add_nc_u32 v18, 1, v19 :: v_dual_sub_nc_u32 v6, s12, v6
	v_sub_nc_u32_e32 v21, v6, v20
	v_cmp_ge_u32_e32 vcc_lo, v6, v20
	s_delay_alu instid0(VALU_DEP_2) | instskip(NEXT) | instid1(VALU_DEP_1)
	v_dual_cndmask_b32 v18, v19, v18, vcc_lo :: v_dual_cndmask_b32 v6, v6, v21, vcc_lo
	v_dual_ashrrev_i32 v19, 31, v28 :: v_dual_add_nc_u32 v21, 1, v18
	s_delay_alu instid0(VALU_DEP_2) | instskip(NEXT) | instid1(VALU_DEP_2)
	v_cmp_ge_u32_e32 vcc_lo, v6, v20
	v_dual_cndmask_b32 v6, v18, v21, vcc_lo :: v_dual_bitop2_b32 v19, s16, v19 bitop3:0x14
	s_delay_alu instid0(VALU_DEP_1) | instskip(NEXT) | instid1(VALU_DEP_1)
	v_xor_b32_e32 v6, v6, v19
	v_sub_nc_u32_e32 v6, v6, v19
	s_delay_alu instid0(VALU_DEP_1) | instskip(SKIP_3) | instid1(SALU_CYCLE_1)
	v_mad_u32 v6, v6, s20, v26
	global_store_b32 v[16:17], v6, off
	s_wait_xcnt 0x0
	s_or_b32 exec_lo, exec_lo, s17
	s_mov_b32 s17, exec_lo
	v_cmpx_lt_u64_e64 v[14:15], v[4:5]
	s_cbranch_execz .LBB79_14
.LBB79_17:                              ;   in Loop: Header=BB79_9 Depth=1
	s_wait_loadcnt 0x1
	v_sub_nc_u32_e32 v6, 0, v25
	s_delay_alu instid0(VALU_DEP_1) | instskip(NEXT) | instid1(VALU_DEP_1)
	v_max_i32_e32 v16, v25, v6
	v_cvt_f32_u32_e32 v6, v16
	v_sub_nc_u32_e32 v14, 0, v16
	s_delay_alu instid0(VALU_DEP_2) | instskip(SKIP_1) | instid1(TRANS32_DEP_1)
	v_rcp_iflag_f32_e32 v6, v6
	v_nop
	v_mul_f32_e32 v6, 0x4f7ffffe, v6
	s_delay_alu instid0(VALU_DEP_1) | instskip(NEXT) | instid1(VALU_DEP_1)
	v_cvt_u32_f32_e32 v6, v6
	v_mul_lo_u32 v14, v14, v6
	s_delay_alu instid0(VALU_DEP_1) | instskip(NEXT) | instid1(VALU_DEP_1)
	v_mul_hi_u32 v14, v6, v14
	v_add_nc_u32_e32 v6, v6, v14
	s_delay_alu instid0(VALU_DEP_1) | instskip(NEXT) | instid1(VALU_DEP_1)
	v_mul_u64_e32 v[14:15], s[12:13], v[6:7]
	v_mul_lo_u32 v6, v15, v16
	s_delay_alu instid0(VALU_DEP_1) | instskip(NEXT) | instid1(VALU_DEP_1)
	v_dual_add_nc_u32 v14, 1, v15 :: v_dual_sub_nc_u32 v6, s12, v6
	v_cmp_ge_u32_e32 vcc_lo, v6, v16
	s_delay_alu instid0(VALU_DEP_2) | instskip(NEXT) | instid1(VALU_DEP_1)
	v_dual_cndmask_b32 v14, v15, v14 :: v_dual_sub_nc_u32 v17, v6, v16
	v_cndmask_b32_e32 v6, v6, v17, vcc_lo
	s_delay_alu instid0(VALU_DEP_2) | instskip(NEXT) | instid1(VALU_DEP_2)
	v_dual_ashrrev_i32 v15, 31, v25 :: v_dual_add_nc_u32 v17, 1, v14
	v_cmp_ge_u32_e32 vcc_lo, v6, v16
	s_delay_alu instid0(VALU_DEP_2) | instskip(NEXT) | instid1(VALU_DEP_1)
	v_dual_cndmask_b32 v6, v14, v17, vcc_lo :: v_dual_bitop2_b32 v15, s16, v15 bitop3:0x14
	v_xor_b32_e32 v6, v6, v15
	s_delay_alu instid0(VALU_DEP_1) | instskip(NEXT) | instid1(VALU_DEP_1)
	v_sub_nc_u32_e32 v6, v6, v15
	v_mad_u32 v6, v6, s20, v24
	global_store_b32 v[12:13], v6, off
	s_wait_xcnt 0x0
	s_or_b32 exec_lo, exec_lo, s17
	s_delay_alu instid0(SALU_CYCLE_1)
	s_mov_b32 s17, exec_lo
	v_cmpx_lt_u64_e64 v[10:11], v[4:5]
	s_cbranch_execz .LBB79_8
.LBB79_18:                              ;   in Loop: Header=BB79_9 Depth=1
	s_wait_loadcnt 0x0
	v_sub_nc_u32_e32 v6, 0, v23
	s_delay_alu instid0(VALU_DEP_1) | instskip(NEXT) | instid1(VALU_DEP_1)
	v_max_i32_e32 v12, v23, v6
	v_cvt_f32_u32_e32 v6, v12
	v_sub_nc_u32_e32 v10, 0, v12
	s_delay_alu instid0(VALU_DEP_2) | instskip(SKIP_1) | instid1(TRANS32_DEP_1)
	v_rcp_iflag_f32_e32 v6, v6
	v_nop
	v_mul_f32_e32 v6, 0x4f7ffffe, v6
	s_delay_alu instid0(VALU_DEP_1) | instskip(NEXT) | instid1(VALU_DEP_1)
	v_cvt_u32_f32_e32 v6, v6
	v_mul_lo_u32 v10, v10, v6
	s_delay_alu instid0(VALU_DEP_1) | instskip(NEXT) | instid1(VALU_DEP_1)
	v_mul_hi_u32 v10, v6, v10
	v_add_nc_u32_e32 v6, v6, v10
	s_delay_alu instid0(VALU_DEP_1) | instskip(NEXT) | instid1(VALU_DEP_1)
	v_mul_u64_e32 v[10:11], s[12:13], v[6:7]
	v_mul_lo_u32 v6, v11, v12
	s_delay_alu instid0(VALU_DEP_1) | instskip(NEXT) | instid1(VALU_DEP_1)
	v_dual_add_nc_u32 v10, 1, v11 :: v_dual_sub_nc_u32 v6, s12, v6
	v_cmp_ge_u32_e32 vcc_lo, v6, v12
	s_delay_alu instid0(VALU_DEP_2) | instskip(NEXT) | instid1(VALU_DEP_1)
	v_dual_cndmask_b32 v10, v11, v10 :: v_dual_sub_nc_u32 v13, v6, v12
	v_dual_cndmask_b32 v6, v6, v13 :: v_dual_ashrrev_i32 v11, 31, v23
	s_delay_alu instid0(VALU_DEP_2) | instskip(NEXT) | instid1(VALU_DEP_2)
	v_add_nc_u32_e32 v13, 1, v10
	v_cmp_ge_u32_e32 vcc_lo, v6, v12
	s_delay_alu instid0(VALU_DEP_2) | instskip(NEXT) | instid1(VALU_DEP_1)
	v_dual_cndmask_b32 v6, v10, v13, vcc_lo :: v_dual_bitop2_b32 v11, s16, v11 bitop3:0x14
	v_xor_b32_e32 v6, v6, v11
	s_delay_alu instid0(VALU_DEP_1) | instskip(NEXT) | instid1(VALU_DEP_1)
	v_sub_nc_u32_e32 v6, v6, v11
	v_mad_u32 v6, v6, s20, v22
	global_store_b32 v[8:9], v6, off
	s_branch .LBB79_8
.LBB79_19:
	s_endpgm
	.section	.rodata,"a",@progbits
	.p2align	6, 0x0
	.amdhsa_kernel _ZN2at6native12_GLOBAL__N_125multi_tensor_apply_kernelINS1_18TensorListMetadataILi3EEENS1_32PointwiseOpScalar0dTensorFunctorIiLi3ELi2ELi0EEEJSt7dividesIiEiEEEvT_T0_DpT1_
		.amdhsa_group_segment_fixed_size 0
		.amdhsa_private_segment_fixed_size 0
		.amdhsa_kernarg_size 3408
		.amdhsa_user_sgpr_count 2
		.amdhsa_user_sgpr_dispatch_ptr 0
		.amdhsa_user_sgpr_queue_ptr 0
		.amdhsa_user_sgpr_kernarg_segment_ptr 1
		.amdhsa_user_sgpr_dispatch_id 0
		.amdhsa_user_sgpr_kernarg_preload_length 0
		.amdhsa_user_sgpr_kernarg_preload_offset 0
		.amdhsa_user_sgpr_private_segment_size 0
		.amdhsa_wavefront_size32 1
		.amdhsa_uses_dynamic_stack 0
		.amdhsa_enable_private_segment 0
		.amdhsa_system_sgpr_workgroup_id_x 1
		.amdhsa_system_sgpr_workgroup_id_y 0
		.amdhsa_system_sgpr_workgroup_id_z 0
		.amdhsa_system_sgpr_workgroup_info 0
		.amdhsa_system_vgpr_workitem_id 0
		.amdhsa_next_free_vgpr 36
		.amdhsa_next_free_sgpr 26
		.amdhsa_named_barrier_count 0
		.amdhsa_reserve_vcc 1
		.amdhsa_float_round_mode_32 0
		.amdhsa_float_round_mode_16_64 0
		.amdhsa_float_denorm_mode_32 3
		.amdhsa_float_denorm_mode_16_64 3
		.amdhsa_fp16_overflow 0
		.amdhsa_memory_ordered 1
		.amdhsa_forward_progress 1
		.amdhsa_inst_pref_size 20
		.amdhsa_round_robin_scheduling 0
		.amdhsa_exception_fp_ieee_invalid_op 0
		.amdhsa_exception_fp_denorm_src 0
		.amdhsa_exception_fp_ieee_div_zero 0
		.amdhsa_exception_fp_ieee_overflow 0
		.amdhsa_exception_fp_ieee_underflow 0
		.amdhsa_exception_fp_ieee_inexact 0
		.amdhsa_exception_int_div_zero 0
	.end_amdhsa_kernel
	.section	.text._ZN2at6native12_GLOBAL__N_125multi_tensor_apply_kernelINS1_18TensorListMetadataILi3EEENS1_32PointwiseOpScalar0dTensorFunctorIiLi3ELi2ELi0EEEJSt7dividesIiEiEEEvT_T0_DpT1_,"axG",@progbits,_ZN2at6native12_GLOBAL__N_125multi_tensor_apply_kernelINS1_18TensorListMetadataILi3EEENS1_32PointwiseOpScalar0dTensorFunctorIiLi3ELi2ELi0EEEJSt7dividesIiEiEEEvT_T0_DpT1_,comdat
.Lfunc_end79:
	.size	_ZN2at6native12_GLOBAL__N_125multi_tensor_apply_kernelINS1_18TensorListMetadataILi3EEENS1_32PointwiseOpScalar0dTensorFunctorIiLi3ELi2ELi0EEEJSt7dividesIiEiEEEvT_T0_DpT1_, .Lfunc_end79-_ZN2at6native12_GLOBAL__N_125multi_tensor_apply_kernelINS1_18TensorListMetadataILi3EEENS1_32PointwiseOpScalar0dTensorFunctorIiLi3ELi2ELi0EEEJSt7dividesIiEiEEEvT_T0_DpT1_
                                        ; -- End function
	.set _ZN2at6native12_GLOBAL__N_125multi_tensor_apply_kernelINS1_18TensorListMetadataILi3EEENS1_32PointwiseOpScalar0dTensorFunctorIiLi3ELi2ELi0EEEJSt7dividesIiEiEEEvT_T0_DpT1_.num_vgpr, 36
	.set _ZN2at6native12_GLOBAL__N_125multi_tensor_apply_kernelINS1_18TensorListMetadataILi3EEENS1_32PointwiseOpScalar0dTensorFunctorIiLi3ELi2ELi0EEEJSt7dividesIiEiEEEvT_T0_DpT1_.num_agpr, 0
	.set _ZN2at6native12_GLOBAL__N_125multi_tensor_apply_kernelINS1_18TensorListMetadataILi3EEENS1_32PointwiseOpScalar0dTensorFunctorIiLi3ELi2ELi0EEEJSt7dividesIiEiEEEvT_T0_DpT1_.numbered_sgpr, 26
	.set _ZN2at6native12_GLOBAL__N_125multi_tensor_apply_kernelINS1_18TensorListMetadataILi3EEENS1_32PointwiseOpScalar0dTensorFunctorIiLi3ELi2ELi0EEEJSt7dividesIiEiEEEvT_T0_DpT1_.num_named_barrier, 0
	.set _ZN2at6native12_GLOBAL__N_125multi_tensor_apply_kernelINS1_18TensorListMetadataILi3EEENS1_32PointwiseOpScalar0dTensorFunctorIiLi3ELi2ELi0EEEJSt7dividesIiEiEEEvT_T0_DpT1_.private_seg_size, 0
	.set _ZN2at6native12_GLOBAL__N_125multi_tensor_apply_kernelINS1_18TensorListMetadataILi3EEENS1_32PointwiseOpScalar0dTensorFunctorIiLi3ELi2ELi0EEEJSt7dividesIiEiEEEvT_T0_DpT1_.uses_vcc, 1
	.set _ZN2at6native12_GLOBAL__N_125multi_tensor_apply_kernelINS1_18TensorListMetadataILi3EEENS1_32PointwiseOpScalar0dTensorFunctorIiLi3ELi2ELi0EEEJSt7dividesIiEiEEEvT_T0_DpT1_.uses_flat_scratch, 0
	.set _ZN2at6native12_GLOBAL__N_125multi_tensor_apply_kernelINS1_18TensorListMetadataILi3EEENS1_32PointwiseOpScalar0dTensorFunctorIiLi3ELi2ELi0EEEJSt7dividesIiEiEEEvT_T0_DpT1_.has_dyn_sized_stack, 0
	.set _ZN2at6native12_GLOBAL__N_125multi_tensor_apply_kernelINS1_18TensorListMetadataILi3EEENS1_32PointwiseOpScalar0dTensorFunctorIiLi3ELi2ELi0EEEJSt7dividesIiEiEEEvT_T0_DpT1_.has_recursion, 0
	.set _ZN2at6native12_GLOBAL__N_125multi_tensor_apply_kernelINS1_18TensorListMetadataILi3EEENS1_32PointwiseOpScalar0dTensorFunctorIiLi3ELi2ELi0EEEJSt7dividesIiEiEEEvT_T0_DpT1_.has_indirect_call, 0
	.section	.AMDGPU.csdata,"",@progbits
; Kernel info:
; codeLenInByte = 2476
; TotalNumSgprs: 28
; NumVgprs: 36
; ScratchSize: 0
; MemoryBound: 0
; FloatMode: 240
; IeeeMode: 1
; LDSByteSize: 0 bytes/workgroup (compile time only)
; SGPRBlocks: 0
; VGPRBlocks: 2
; NumSGPRsForWavesPerEU: 28
; NumVGPRsForWavesPerEU: 36
; NamedBarCnt: 0
; Occupancy: 16
; WaveLimiterHint : 0
; COMPUTE_PGM_RSRC2:SCRATCH_EN: 0
; COMPUTE_PGM_RSRC2:USER_SGPR: 2
; COMPUTE_PGM_RSRC2:TRAP_HANDLER: 0
; COMPUTE_PGM_RSRC2:TGID_X_EN: 1
; COMPUTE_PGM_RSRC2:TGID_Y_EN: 0
; COMPUTE_PGM_RSRC2:TGID_Z_EN: 0
; COMPUTE_PGM_RSRC2:TIDIG_COMP_CNT: 0
	.section	.text._ZN2at6native12_GLOBAL__N_125multi_tensor_apply_kernelINS1_18TensorListMetadataILi3EEENS1_32PointwiseOpScalar0dTensorFunctorIlLi3ELi2ELi0EEEJSt7dividesIlElEEEvT_T0_DpT1_,"axG",@progbits,_ZN2at6native12_GLOBAL__N_125multi_tensor_apply_kernelINS1_18TensorListMetadataILi3EEENS1_32PointwiseOpScalar0dTensorFunctorIlLi3ELi2ELi0EEEJSt7dividesIlElEEEvT_T0_DpT1_,comdat
	.globl	_ZN2at6native12_GLOBAL__N_125multi_tensor_apply_kernelINS1_18TensorListMetadataILi3EEENS1_32PointwiseOpScalar0dTensorFunctorIlLi3ELi2ELi0EEEJSt7dividesIlElEEEvT_T0_DpT1_ ; -- Begin function _ZN2at6native12_GLOBAL__N_125multi_tensor_apply_kernelINS1_18TensorListMetadataILi3EEENS1_32PointwiseOpScalar0dTensorFunctorIlLi3ELi2ELi0EEEJSt7dividesIlElEEEvT_T0_DpT1_
	.p2align	8
	.type	_ZN2at6native12_GLOBAL__N_125multi_tensor_apply_kernelINS1_18TensorListMetadataILi3EEENS1_32PointwiseOpScalar0dTensorFunctorIlLi3ELi2ELi0EEEJSt7dividesIlElEEEvT_T0_DpT1_,@function
_ZN2at6native12_GLOBAL__N_125multi_tensor_apply_kernelINS1_18TensorListMetadataILi3EEENS1_32PointwiseOpScalar0dTensorFunctorIlLi3ELi2ELi0EEEJSt7dividesIlElEEEvT_T0_DpT1_: ; @_ZN2at6native12_GLOBAL__N_125multi_tensor_apply_kernelINS1_18TensorListMetadataILi3EEENS1_32PointwiseOpScalar0dTensorFunctorIlLi3ELi2ELi0EEEJSt7dividesIlElEEEvT_T0_DpT1_
; %bb.0:
	s_bfe_u32 s2, ttmp6, 0x4000c
	s_and_b32 s3, ttmp6, 15
	s_add_co_i32 s2, s2, 1
	s_getreg_b32 s4, hwreg(HW_REG_IB_STS2, 6, 4)
	s_mul_i32 s2, ttmp9, s2
	s_load_b64 s[8:9], s[0:1], 0xc50
	s_add_co_i32 s2, s3, s2
	s_cmp_eq_u32 s4, 0
	s_mov_b32 s3, 0
	s_cselect_b32 s2, ttmp9, s2
	s_delay_alu instid0(SALU_CYCLE_1) | instskip(SKIP_1) | instid1(SALU_CYCLE_1)
	s_add_nc_u64 s[4:5], s[0:1], s[2:3]
	s_mul_u64 s[6:7], s[2:3], 3
	s_add_nc_u64 s[4:5], s[4:5], s[6:7]
	s_clause 0x1
	s_load_b32 s16, s[4:5], 0x740
	s_load_u8 s6, s[0:1], s2 offset:0x600
	s_wait_kmcnt 0x0
	s_clause 0x3
	s_load_b64 s[10:11], s[0:1], s6 offset:0x180 scale_offset
	s_load_b64 s[12:13], s[0:1], s6 offset:0x300 scale_offset
	;; [unrolled: 1-line block ×4, first 2 shown]
	s_ashr_i32 s17, s16, 31
	s_delay_alu instid0(SALU_CYCLE_1)
	s_lshl_b64 s[24:25], s[16:17], 19
	s_wait_kmcnt 0x0
	s_add_nc_u64 s[6:7], s[10:11], s[24:25]
	s_add_nc_u64 s[4:5], s[12:13], s[24:25]
	s_load_b64 s[10:11], s[10:11], 0x0
	s_or_b32 s2, s4, s6
	s_add_nc_u64 s[6:7], s[14:15], s[24:25]
	s_and_b32 s2, s2, 31
	s_and_b64 s[20:21], s[6:7], 31
	s_cmp_lg_u32 s2, 0
	s_cselect_b32 s22, -1, 0
	s_and_b32 s2, s18, 3
	s_lshl_b64 s[16:17], s[16:17], 16
	s_or_b64 s[2:3], s[20:21], s[2:3]
	s_sub_nc_u64 s[16:17], s[18:19], s[16:17]
	s_cmp_lg_u64 s[2:3], 0
	s_cselect_b32 s2, -1, 0
	s_delay_alu instid0(SALU_CYCLE_1) | instskip(NEXT) | instid1(SALU_CYCLE_1)
	s_or_b32 s2, s22, s2
	s_and_not1_b32 vcc_lo, exec_lo, s2
	s_mov_b32 s2, -1
	s_cbranch_vccz .LBB80_21
; %bb.1:
	v_min_i64 v[18:19], 0x10000, s[16:17]
	v_dual_mov_b32 v20, 0 :: v_dual_lshlrev_b32 v2, 2, v0
	s_mov_b32 s26, exec_lo
	s_delay_alu instid0(VALU_DEP_1) | instskip(NEXT) | instid1(VALU_DEP_1)
	v_mov_b32_e32 v3, v20
	v_cmpx_lt_i64_e64 v[2:3], v[18:19]
	s_cbranch_execz .LBB80_20
; %bb.2:
	s_load_b32 s2, s[0:1], 0xc64
	v_dual_mov_b32 v1, v20 :: v_dual_lshlrev_b32 v2, 5, v0
	v_mov_b32_e32 v3, v20
	s_mov_b32 s3, 0
	s_wait_kmcnt 0x0
	s_ashr_i32 s18, s11, 31
	v_mov_b64_e32 v[24:25], v[0:1]
	s_mov_b64 s[20:21], 0xffffffff
	v_add_nc_u64_e32 v[22:23], s[24:25], v[2:3]
	s_mov_b32 s23, s3
	s_mov_b32 s25, s3
	;; [unrolled: 1-line block ×3, first 2 shown]
	s_and_b32 s22, s2, 0xffff
	s_delay_alu instid0(SALU_CYCLE_1)
	s_lshl_b32 s24, s22, 5
	s_branch .LBB80_4
.LBB80_3:                               ;   in Loop: Header=BB80_4 Depth=1
	s_or_b32 exec_lo, exec_lo, s2
	s_wait_loadcnt 0x0
	v_mad_nc_u64_u32 v[8:9], v14, s8, v[8:9]
	v_mad_nc_u64_u32 v[6:7], v28, s8, v[6:7]
	;; [unrolled: 1-line block ×4, first 2 shown]
	v_add_nc_u64_e32 v[24:25], s[22:23], v[24:25]
	v_add_nc_u64_e32 v[22:23], s[24:25], v[22:23]
	s_delay_alu instid0(VALU_DEP_2)
	v_lshlrev_b64_e32 v[12:13], 2, v[24:25]
	v_mad_u32 v9, v15, s8, v9
	v_mad_u32 v7, v29, s8, v7
	;; [unrolled: 1-line block ×4, first 2 shown]
	v_cmp_ge_i64_e32 vcc_lo, v[12:13], v[18:19]
	v_mad_u32 v9, v14, s9, v9
	v_mad_u32 v7, v28, s9, v7
	;; [unrolled: 1-line block ×4, first 2 shown]
	s_or_b32 s27, vcc_lo, s27
	s_clause 0x1
	global_store_b128 v[26:27], v[6:9], off
	global_store_b128 v[26:27], v[2:5], off offset:16
	s_wait_xcnt 0x0
	s_and_not1_b32 exec_lo, exec_lo, s27
	s_cbranch_execz .LBB80_20
.LBB80_4:                               ; =>This Inner Loop Header: Depth=1
	v_add_nc_u64_e32 v[28:29], s[12:13], v[22:23]
	v_add_nc_u64_e32 v[26:27], s[14:15], v[22:23]
	s_mov_b32 s2, exec_lo
	s_clause 0x1
	global_load_b128 v[14:17], v[28:29], off
	global_load_b128 v[10:13], v[28:29], off offset:16
	s_clause 0x1
	global_load_b128 v[2:5], v[26:27], off offset:16
	global_load_b128 v[6:9], v[26:27], off
                                        ; implicit-def: $vgpr28_vgpr29
	s_wait_loadcnt 0x3
	v_or_b32_e32 v21, s11, v15
	s_wait_xcnt 0x0
	s_delay_alu instid0(VALU_DEP_1)
	v_cmpx_ne_u64_e32 0, v[20:21]
	s_xor_b32 s28, exec_lo, s2
	s_cbranch_execz .LBB80_6
; %bb.5:                                ;   in Loop: Header=BB80_4 Depth=1
	v_dual_mov_b32 v31, v20 :: v_dual_ashrrev_i32 v28, 31, v15
	v_dual_mov_b32 v39, v20 :: v_dual_mov_b32 v41, v20
	s_mov_b32 s19, s18
	s_delay_alu instid0(VALU_DEP_2) | instskip(SKIP_1) | instid1(SALU_CYCLE_1)
	v_mov_b32_e32 v29, v28
	s_add_nc_u64 s[30:31], s[10:11], s[18:19]
	s_xor_b64 s[30:31], s[30:31], s[18:19]
	s_delay_alu instid0(SALU_CYCLE_1) | instskip(NEXT) | instid1(VALU_DEP_1)
	s_and_b64 s[34:35], s[30:31], s[20:21]
	v_add_nc_u64_e32 v[14:15], v[14:15], v[28:29]
	s_mov_b32 s2, s31
	s_delay_alu instid0(VALU_DEP_1) | instskip(NEXT) | instid1(VALU_DEP_2)
	v_xor_b32_e32 v14, v14, v28
	v_xor_b32_e32 v15, v15, v28
	s_delay_alu instid0(VALU_DEP_2) | instskip(NEXT) | instid1(VALU_DEP_2)
	v_cvt_f32_u32_e32 v1, v14
	v_cvt_f32_u32_e32 v21, v15
	s_delay_alu instid0(VALU_DEP_1) | instskip(NEXT) | instid1(VALU_DEP_1)
	v_fmac_f32_e32 v1, 0x4f800000, v21
	v_rcp_f32_e32 v1, v1
	v_nop
	s_delay_alu instid0(TRANS32_DEP_1) | instskip(NEXT) | instid1(VALU_DEP_1)
	v_mul_f32_e32 v1, 0x5f7ffffc, v1
	v_mul_f32_e32 v21, 0x2f800000, v1
	s_delay_alu instid0(VALU_DEP_1) | instskip(NEXT) | instid1(VALU_DEP_1)
	v_trunc_f32_e32 v21, v21
	v_fmac_f32_e32 v1, 0xcf800000, v21
	v_cvt_u32_f32_e32 v35, v21
	s_delay_alu instid0(VALU_DEP_2) | instskip(NEXT) | instid1(VALU_DEP_1)
	v_cvt_u32_f32_e32 v30, v1
	v_dual_mov_b32 v40, v35 :: v_dual_mov_b32 v34, v30
	v_sub_nc_u64_e32 v[32:33], 0, v[14:15]
	s_delay_alu instid0(VALU_DEP_1) | instskip(NEXT) | instid1(VALU_DEP_1)
	v_mul_u64_e32 v[36:37], v[32:33], v[34:35]
	v_dual_mov_b32 v38, v37 :: v_dual_mov_b32 v37, v20
	s_delay_alu instid0(VALU_DEP_1) | instskip(NEXT) | instid1(VALU_DEP_2)
	v_mul_u64_e32 v[42:43], v[30:31], v[38:39]
	v_mul_u64_e32 v[44:45], v[40:41], v[36:37]
	;; [unrolled: 1-line block ×3, first 2 shown]
	v_mul_hi_u32 v36, v30, v36
	s_delay_alu instid0(VALU_DEP_1) | instskip(NEXT) | instid1(VALU_DEP_1)
	v_add_nc_u64_e32 v[36:37], v[36:37], v[42:43]
	v_add_co_u32 v1, vcc_lo, v36, v44
	s_delay_alu instid0(VALU_DEP_2) | instskip(SKIP_1) | instid1(VALU_DEP_1)
	v_add_co_ci_u32_e32 v40, vcc_lo, v37, v45, vcc_lo
	v_add_co_ci_u32_e32 v39, vcc_lo, 0, v39, vcc_lo
	v_add_nc_u64_e32 v[36:37], v[40:41], v[38:39]
	s_delay_alu instid0(VALU_DEP_1) | instskip(NEXT) | instid1(VALU_DEP_1)
	v_add_co_u32 v30, vcc_lo, v30, v36
	v_add_co_ci_u32_e64 v34, null, v35, v37, vcc_lo
	v_dual_mov_b32 v37, v20 :: v_dual_mov_b32 v35, v20
	s_delay_alu instid0(VALU_DEP_2) | instskip(NEXT) | instid1(VALU_DEP_1)
	v_mov_b32_e32 v31, v34
	v_mul_u64_e32 v[32:33], v[32:33], v[30:31]
	s_delay_alu instid0(VALU_DEP_1) | instskip(NEXT) | instid1(VALU_DEP_2)
	v_dual_mov_b32 v31, v20 :: v_dual_mov_b32 v36, v33
	v_dual_mov_b32 v40, v32 :: v_dual_mov_b32 v33, v20
	v_mul_hi_u32 v32, v30, v32
	s_delay_alu instid0(VALU_DEP_3) | instskip(NEXT) | instid1(VALU_DEP_3)
	v_mul_u64_e32 v[38:39], v[30:31], v[36:37]
	v_mul_u64_e32 v[40:41], v[34:35], v[40:41]
	;; [unrolled: 1-line block ×3, first 2 shown]
	s_delay_alu instid0(VALU_DEP_3) | instskip(SKIP_1) | instid1(VALU_DEP_2)
	v_add_nc_u64_e32 v[32:33], v[32:33], v[38:39]
	v_mov_b32_e32 v39, v20
	v_add_co_u32 v1, vcc_lo, v32, v40
	s_delay_alu instid0(VALU_DEP_3) | instskip(SKIP_1) | instid1(VALU_DEP_1)
	v_add_co_ci_u32_e32 v38, vcc_lo, v33, v41, vcc_lo
	v_add_co_ci_u32_e32 v37, vcc_lo, 0, v37, vcc_lo
	v_add_nc_u64_e32 v[32:33], v[38:39], v[36:37]
	s_delay_alu instid0(VALU_DEP_1) | instskip(NEXT) | instid1(VALU_DEP_1)
	v_add_co_u32 v32, vcc_lo, v30, v32
	v_add_co_ci_u32_e64 v30, null, v34, v33, vcc_lo
	v_mov_b32_e32 v33, v20
	s_delay_alu instid0(VALU_DEP_2) | instskip(SKIP_1) | instid1(VALU_DEP_3)
	v_mul_u64_e32 v[34:35], s[34:35], v[30:31]
	v_mul_u64_e32 v[30:31], s[2:3], v[30:31]
	;; [unrolled: 1-line block ×3, first 2 shown]
	v_mul_hi_u32 v32, s30, v32
	s_delay_alu instid0(VALU_DEP_1) | instskip(SKIP_1) | instid1(VALU_DEP_2)
	v_add_nc_u64_e32 v[32:33], v[32:33], v[34:35]
	v_mov_b32_e32 v35, v20
	v_add_co_u32 v1, vcc_lo, v32, v36
	s_delay_alu instid0(VALU_DEP_3) | instskip(SKIP_1) | instid1(VALU_DEP_1)
	v_add_co_ci_u32_e32 v34, vcc_lo, v33, v37, vcc_lo
	v_add_co_ci_u32_e32 v31, vcc_lo, 0, v31, vcc_lo
	v_add_nc_u64_e32 v[30:31], v[34:35], v[30:31]
	s_delay_alu instid0(VALU_DEP_1) | instskip(SKIP_1) | instid1(VALU_DEP_2)
	v_mul_u64_e32 v[32:33], v[14:15], v[30:31]
	v_add_nc_u64_e32 v[34:35], 1, v[30:31]
	v_sub_nc_u32_e32 v1, s31, v33
	s_delay_alu instid0(VALU_DEP_3) | instskip(NEXT) | instid1(VALU_DEP_1)
	v_sub_co_u32 v21, vcc_lo, s30, v32
	v_sub_co_ci_u32_e64 v36, null, s31, v33, vcc_lo
	s_delay_alu instid0(VALU_DEP_3) | instskip(NEXT) | instid1(VALU_DEP_3)
	v_sub_co_ci_u32_e64 v1, null, v1, v15, vcc_lo
	v_sub_co_u32 v29, s2, v21, v14
	s_delay_alu instid0(VALU_DEP_1) | instskip(NEXT) | instid1(VALU_DEP_2)
	v_subrev_co_ci_u32_e64 v1, null, 0, v1, s2
	v_cmp_ge_u32_e32 vcc_lo, v29, v14
	v_cndmask_b32_e64 v29, 0, -1, vcc_lo
	s_delay_alu instid0(VALU_DEP_3)
	v_cmp_ge_u32_e32 vcc_lo, v1, v15
	v_cndmask_b32_e64 v32, 0, -1, vcc_lo
	v_cmp_ge_u32_e32 vcc_lo, v21, v14
	v_cndmask_b32_e64 v14, 0, -1, vcc_lo
	;; [unrolled: 2-line block ×3, first 2 shown]
	v_cmp_eq_u32_e32 vcc_lo, v1, v15
	v_cndmask_b32_e32 v1, v32, v29, vcc_lo
	v_cmp_eq_u32_e32 vcc_lo, v36, v15
	v_add_nc_u64_e32 v[32:33], 2, v[30:31]
	v_cndmask_b32_e32 v14, v21, v14, vcc_lo
	s_delay_alu instid0(VALU_DEP_4) | instskip(NEXT) | instid1(VALU_DEP_2)
	v_cmp_ne_u32_e32 vcc_lo, 0, v1
	v_cmp_ne_u32_e64 s2, 0, v14
	s_delay_alu instid0(VALU_DEP_4) | instskip(NEXT) | instid1(VALU_DEP_1)
	v_dual_cndmask_b32 v1, v35, v33, vcc_lo :: v_dual_cndmask_b32 v15, v34, v32, vcc_lo
	v_dual_cndmask_b32 v1, v31, v1, s2 :: v_dual_bitop2_b32 v14, s18, v28 bitop3:0x14
	s_delay_alu instid0(VALU_DEP_1) | instskip(NEXT) | instid1(VALU_DEP_1)
	v_dual_cndmask_b32 v21, v30, v15, s2 :: v_dual_bitop2_b32 v29, v1, v14 bitop3:0x14
	v_dual_mov_b32 v15, v14 :: v_dual_bitop2_b32 v28, v21, v14 bitop3:0x14
	s_delay_alu instid0(VALU_DEP_1)
	v_sub_nc_u64_e32 v[28:29], v[28:29], v[14:15]
.LBB80_6:                               ;   in Loop: Header=BB80_4 Depth=1
	s_and_not1_saveexec_b32 s2, s28
	s_cbranch_execz .LBB80_8
; %bb.7:                                ;   in Loop: Header=BB80_4 Depth=1
	v_cvt_f32_u32_e32 v1, v14
	v_dual_sub_nc_u32 v15, 0, v14 :: v_dual_mov_b32 v29, v20
	s_delay_alu instid0(VALU_DEP_2) | instskip(SKIP_1) | instid1(TRANS32_DEP_1)
	v_rcp_iflag_f32_e32 v1, v1
	v_nop
	v_mul_f32_e32 v1, 0x4f7ffffe, v1
	s_delay_alu instid0(VALU_DEP_1) | instskip(NEXT) | instid1(VALU_DEP_1)
	v_cvt_u32_f32_e32 v1, v1
	v_mul_lo_u32 v15, v15, v1
	s_delay_alu instid0(VALU_DEP_1) | instskip(NEXT) | instid1(VALU_DEP_1)
	v_mul_hi_u32 v15, v1, v15
	v_add_nc_u32_e32 v1, v1, v15
	s_delay_alu instid0(VALU_DEP_1) | instskip(NEXT) | instid1(VALU_DEP_1)
	v_mul_hi_u32 v1, s10, v1
	v_mul_lo_u32 v15, v1, v14
	s_delay_alu instid0(VALU_DEP_1) | instskip(NEXT) | instid1(VALU_DEP_1)
	v_dual_add_nc_u32 v21, 1, v1 :: v_dual_sub_nc_u32 v15, s10, v15
	v_sub_nc_u32_e32 v28, v15, v14
	v_cmp_ge_u32_e32 vcc_lo, v15, v14
	s_delay_alu instid0(VALU_DEP_2) | instskip(NEXT) | instid1(VALU_DEP_1)
	v_dual_cndmask_b32 v15, v15, v28, vcc_lo :: v_dual_cndmask_b32 v1, v1, v21, vcc_lo
	v_cmp_ge_u32_e32 vcc_lo, v15, v14
	s_delay_alu instid0(VALU_DEP_2) | instskip(NEXT) | instid1(VALU_DEP_1)
	v_add_nc_u32_e32 v21, 1, v1
	v_cndmask_b32_e32 v28, v1, v21, vcc_lo
.LBB80_8:                               ;   in Loop: Header=BB80_4 Depth=1
	s_or_b32 exec_lo, exec_lo, s2
	v_or_b32_e32 v21, s11, v17
                                        ; implicit-def: $vgpr14_vgpr15
	s_mov_b32 s2, exec_lo
	s_delay_alu instid0(VALU_DEP_1)
	v_cmpx_ne_u64_e32 0, v[20:21]
	s_xor_b32 s28, exec_lo, s2
	s_cbranch_execz .LBB80_10
; %bb.9:                                ;   in Loop: Header=BB80_4 Depth=1
	v_dual_mov_b32 v31, v20 :: v_dual_ashrrev_i32 v14, 31, v17
	v_dual_mov_b32 v39, v20 :: v_dual_mov_b32 v41, v20
	s_mov_b32 s19, s18
	s_delay_alu instid0(VALU_DEP_2) | instskip(SKIP_1) | instid1(SALU_CYCLE_1)
	v_mov_b32_e32 v15, v14
	s_add_nc_u64 s[30:31], s[10:11], s[18:19]
	s_xor_b64 s[30:31], s[30:31], s[18:19]
	s_delay_alu instid0(SALU_CYCLE_1) | instskip(NEXT) | instid1(VALU_DEP_1)
	s_and_b64 s[34:35], s[30:31], s[20:21]
	v_add_nc_u64_e32 v[16:17], v[16:17], v[14:15]
	s_mov_b32 s2, s31
	s_delay_alu instid0(VALU_DEP_1) | instskip(NEXT) | instid1(VALU_DEP_2)
	v_xor_b32_e32 v16, v16, v14
	v_xor_b32_e32 v17, v17, v14
	s_delay_alu instid0(VALU_DEP_2) | instskip(NEXT) | instid1(VALU_DEP_2)
	v_cvt_f32_u32_e32 v1, v16
	v_cvt_f32_u32_e32 v15, v17
	s_delay_alu instid0(VALU_DEP_1) | instskip(NEXT) | instid1(VALU_DEP_1)
	v_fmac_f32_e32 v1, 0x4f800000, v15
	v_rcp_f32_e32 v1, v1
	v_nop
	s_delay_alu instid0(TRANS32_DEP_1) | instskip(NEXT) | instid1(VALU_DEP_1)
	v_mul_f32_e32 v1, 0x5f7ffffc, v1
	v_mul_f32_e32 v15, 0x2f800000, v1
	s_delay_alu instid0(VALU_DEP_1) | instskip(NEXT) | instid1(VALU_DEP_1)
	v_trunc_f32_e32 v15, v15
	v_fmac_f32_e32 v1, 0xcf800000, v15
	v_cvt_u32_f32_e32 v35, v15
	s_delay_alu instid0(VALU_DEP_2) | instskip(NEXT) | instid1(VALU_DEP_1)
	v_cvt_u32_f32_e32 v30, v1
	v_dual_mov_b32 v40, v35 :: v_dual_mov_b32 v34, v30
	v_sub_nc_u64_e32 v[32:33], 0, v[16:17]
	s_delay_alu instid0(VALU_DEP_1) | instskip(NEXT) | instid1(VALU_DEP_1)
	v_mul_u64_e32 v[36:37], v[32:33], v[34:35]
	v_dual_mov_b32 v38, v37 :: v_dual_mov_b32 v37, v20
	s_delay_alu instid0(VALU_DEP_1) | instskip(NEXT) | instid1(VALU_DEP_2)
	v_mul_u64_e32 v[42:43], v[30:31], v[38:39]
	v_mul_u64_e32 v[44:45], v[40:41], v[36:37]
	;; [unrolled: 1-line block ×3, first 2 shown]
	v_mul_hi_u32 v36, v30, v36
	s_delay_alu instid0(VALU_DEP_1) | instskip(NEXT) | instid1(VALU_DEP_1)
	v_add_nc_u64_e32 v[36:37], v[36:37], v[42:43]
	v_add_co_u32 v1, vcc_lo, v36, v44
	s_delay_alu instid0(VALU_DEP_2) | instskip(SKIP_1) | instid1(VALU_DEP_1)
	v_add_co_ci_u32_e32 v40, vcc_lo, v37, v45, vcc_lo
	v_add_co_ci_u32_e32 v39, vcc_lo, 0, v39, vcc_lo
	v_add_nc_u64_e32 v[36:37], v[40:41], v[38:39]
	s_delay_alu instid0(VALU_DEP_1) | instskip(NEXT) | instid1(VALU_DEP_1)
	v_add_co_u32 v30, vcc_lo, v30, v36
	v_add_co_ci_u32_e64 v34, null, v35, v37, vcc_lo
	v_dual_mov_b32 v37, v20 :: v_dual_mov_b32 v35, v20
	s_delay_alu instid0(VALU_DEP_2) | instskip(NEXT) | instid1(VALU_DEP_1)
	v_mov_b32_e32 v31, v34
	v_mul_u64_e32 v[32:33], v[32:33], v[30:31]
	s_delay_alu instid0(VALU_DEP_1) | instskip(NEXT) | instid1(VALU_DEP_2)
	v_dual_mov_b32 v31, v20 :: v_dual_mov_b32 v36, v33
	v_dual_mov_b32 v40, v32 :: v_dual_mov_b32 v33, v20
	v_mul_hi_u32 v32, v30, v32
	s_delay_alu instid0(VALU_DEP_3) | instskip(NEXT) | instid1(VALU_DEP_3)
	v_mul_u64_e32 v[38:39], v[30:31], v[36:37]
	v_mul_u64_e32 v[40:41], v[34:35], v[40:41]
	;; [unrolled: 1-line block ×3, first 2 shown]
	s_delay_alu instid0(VALU_DEP_3) | instskip(SKIP_1) | instid1(VALU_DEP_2)
	v_add_nc_u64_e32 v[32:33], v[32:33], v[38:39]
	v_mov_b32_e32 v39, v20
	v_add_co_u32 v1, vcc_lo, v32, v40
	s_delay_alu instid0(VALU_DEP_3) | instskip(SKIP_1) | instid1(VALU_DEP_1)
	v_add_co_ci_u32_e32 v38, vcc_lo, v33, v41, vcc_lo
	v_add_co_ci_u32_e32 v37, vcc_lo, 0, v37, vcc_lo
	v_add_nc_u64_e32 v[32:33], v[38:39], v[36:37]
	s_delay_alu instid0(VALU_DEP_1) | instskip(NEXT) | instid1(VALU_DEP_1)
	v_add_co_u32 v32, vcc_lo, v30, v32
	v_add_co_ci_u32_e64 v30, null, v34, v33, vcc_lo
	v_mov_b32_e32 v33, v20
	s_delay_alu instid0(VALU_DEP_2) | instskip(SKIP_1) | instid1(VALU_DEP_3)
	v_mul_u64_e32 v[34:35], s[34:35], v[30:31]
	v_mul_u64_e32 v[30:31], s[2:3], v[30:31]
	;; [unrolled: 1-line block ×3, first 2 shown]
	v_mul_hi_u32 v32, s30, v32
	s_delay_alu instid0(VALU_DEP_1) | instskip(SKIP_1) | instid1(VALU_DEP_2)
	v_add_nc_u64_e32 v[32:33], v[32:33], v[34:35]
	v_mov_b32_e32 v35, v20
	v_add_co_u32 v1, vcc_lo, v32, v36
	s_delay_alu instid0(VALU_DEP_3) | instskip(SKIP_1) | instid1(VALU_DEP_1)
	v_add_co_ci_u32_e32 v34, vcc_lo, v33, v37, vcc_lo
	v_add_co_ci_u32_e32 v31, vcc_lo, 0, v31, vcc_lo
	v_add_nc_u64_e32 v[30:31], v[34:35], v[30:31]
	s_delay_alu instid0(VALU_DEP_1) | instskip(SKIP_1) | instid1(VALU_DEP_2)
	v_mul_u64_e32 v[32:33], v[16:17], v[30:31]
	v_add_nc_u64_e32 v[34:35], 1, v[30:31]
	v_sub_nc_u32_e32 v1, s31, v33
	s_delay_alu instid0(VALU_DEP_3) | instskip(NEXT) | instid1(VALU_DEP_1)
	v_sub_co_u32 v15, vcc_lo, s30, v32
	v_sub_co_ci_u32_e64 v36, null, s31, v33, vcc_lo
	s_delay_alu instid0(VALU_DEP_3) | instskip(NEXT) | instid1(VALU_DEP_3)
	v_sub_co_ci_u32_e64 v1, null, v1, v17, vcc_lo
	v_sub_co_u32 v21, s2, v15, v16
	s_delay_alu instid0(VALU_DEP_1) | instskip(NEXT) | instid1(VALU_DEP_2)
	v_subrev_co_ci_u32_e64 v1, null, 0, v1, s2
	v_cmp_ge_u32_e32 vcc_lo, v21, v16
	v_cndmask_b32_e64 v21, 0, -1, vcc_lo
	s_delay_alu instid0(VALU_DEP_3)
	v_cmp_ge_u32_e32 vcc_lo, v1, v17
	v_cndmask_b32_e64 v32, 0, -1, vcc_lo
	v_cmp_ge_u32_e32 vcc_lo, v15, v16
	v_cndmask_b32_e64 v15, 0, -1, vcc_lo
	;; [unrolled: 2-line block ×3, first 2 shown]
	v_cmp_eq_u32_e32 vcc_lo, v1, v17
	v_cndmask_b32_e32 v1, v32, v21, vcc_lo
	v_cmp_eq_u32_e32 vcc_lo, v36, v17
	v_add_nc_u64_e32 v[32:33], 2, v[30:31]
	v_cndmask_b32_e32 v15, v16, v15, vcc_lo
	s_delay_alu instid0(VALU_DEP_4) | instskip(NEXT) | instid1(VALU_DEP_3)
	v_cmp_ne_u32_e32 vcc_lo, 0, v1
	v_cndmask_b32_e32 v1, v35, v33, vcc_lo
	s_delay_alu instid0(VALU_DEP_3) | instskip(SKIP_1) | instid1(VALU_DEP_1)
	v_cmp_ne_u32_e64 s2, 0, v15
	v_dual_cndmask_b32 v15, v34, v32, vcc_lo :: v_dual_bitop2_b32 v14, s18, v14 bitop3:0x14
	v_dual_cndmask_b32 v1, v31, v1, s2 :: v_dual_cndmask_b32 v16, v30, v15, s2
	s_delay_alu instid0(VALU_DEP_1) | instskip(NEXT) | instid1(VALU_DEP_2)
	v_dual_mov_b32 v15, v14 :: v_dual_bitop2_b32 v17, v1, v14 bitop3:0x14
	v_xor_b32_e32 v16, v16, v14
	s_delay_alu instid0(VALU_DEP_1)
	v_sub_nc_u64_e32 v[14:15], v[16:17], v[14:15]
                                        ; implicit-def: $vgpr16_vgpr17
.LBB80_10:                              ;   in Loop: Header=BB80_4 Depth=1
	s_and_not1_saveexec_b32 s2, s28
	s_cbranch_execz .LBB80_12
; %bb.11:                               ;   in Loop: Header=BB80_4 Depth=1
	v_cvt_f32_u32_e32 v1, v16
	v_sub_nc_u32_e32 v14, 0, v16
	s_delay_alu instid0(VALU_DEP_2) | instskip(SKIP_1) | instid1(TRANS32_DEP_1)
	v_rcp_iflag_f32_e32 v1, v1
	v_nop
	v_mul_f32_e32 v1, 0x4f7ffffe, v1
	s_delay_alu instid0(VALU_DEP_1) | instskip(NEXT) | instid1(VALU_DEP_1)
	v_cvt_u32_f32_e32 v1, v1
	v_mul_lo_u32 v14, v14, v1
	s_delay_alu instid0(VALU_DEP_1) | instskip(NEXT) | instid1(VALU_DEP_1)
	v_mul_hi_u32 v14, v1, v14
	v_add_nc_u32_e32 v1, v1, v14
	s_delay_alu instid0(VALU_DEP_1) | instskip(NEXT) | instid1(VALU_DEP_1)
	v_mul_hi_u32 v1, s10, v1
	v_mul_lo_u32 v14, v1, v16
	s_delay_alu instid0(VALU_DEP_1) | instskip(NEXT) | instid1(VALU_DEP_1)
	v_dual_sub_nc_u32 v14, s10, v14 :: v_dual_add_nc_u32 v15, 1, v1
	v_sub_nc_u32_e32 v17, v14, v16
	v_cmp_ge_u32_e32 vcc_lo, v14, v16
	s_delay_alu instid0(VALU_DEP_2) | instskip(NEXT) | instid1(VALU_DEP_1)
	v_dual_cndmask_b32 v14, v14, v17 :: v_dual_cndmask_b32 v1, v1, v15
	v_cmp_ge_u32_e32 vcc_lo, v14, v16
	s_delay_alu instid0(VALU_DEP_2) | instskip(NEXT) | instid1(VALU_DEP_1)
	v_add_nc_u32_e32 v15, 1, v1
	v_dual_cndmask_b32 v14, v1, v15 :: v_dual_mov_b32 v15, v20
.LBB80_12:                              ;   in Loop: Header=BB80_4 Depth=1
	s_or_b32 exec_lo, exec_lo, s2
	s_wait_loadcnt 0x2
	v_or_b32_e32 v21, s11, v11
                                        ; implicit-def: $vgpr16_vgpr17
	s_mov_b32 s2, exec_lo
	s_delay_alu instid0(VALU_DEP_1)
	v_cmpx_ne_u64_e32 0, v[20:21]
	s_xor_b32 s28, exec_lo, s2
	s_cbranch_execz .LBB80_14
; %bb.13:                               ;   in Loop: Header=BB80_4 Depth=1
	v_dual_mov_b32 v33, v20 :: v_dual_ashrrev_i32 v16, 31, v11
	v_dual_mov_b32 v41, v20 :: v_dual_mov_b32 v43, v20
	s_mov_b32 s19, s18
	s_delay_alu instid0(VALU_DEP_2) | instskip(SKIP_1) | instid1(SALU_CYCLE_1)
	v_mov_b32_e32 v17, v16
	s_add_nc_u64 s[30:31], s[10:11], s[18:19]
	s_xor_b64 s[30:31], s[30:31], s[18:19]
	s_delay_alu instid0(SALU_CYCLE_1) | instskip(NEXT) | instid1(VALU_DEP_1)
	s_and_b64 s[34:35], s[30:31], s[20:21]
	v_add_nc_u64_e32 v[30:31], v[10:11], v[16:17]
	s_mov_b32 s2, s31
	s_delay_alu instid0(VALU_DEP_1) | instskip(NEXT) | instid1(VALU_DEP_2)
	v_xor_b32_e32 v30, v30, v16
	v_xor_b32_e32 v31, v31, v16
	s_delay_alu instid0(VALU_DEP_2) | instskip(NEXT) | instid1(VALU_DEP_2)
	v_cvt_f32_u32_e32 v1, v30
	v_cvt_f32_u32_e32 v11, v31
	s_delay_alu instid0(VALU_DEP_1) | instskip(SKIP_1) | instid1(VALU_DEP_2)
	v_fmac_f32_e32 v1, 0x4f800000, v11
	v_xor_b32_e32 v16, s18, v16
	v_rcp_f32_e32 v1, v1
	v_nop
	s_delay_alu instid0(TRANS32_DEP_1) | instskip(NEXT) | instid1(VALU_DEP_1)
	v_mul_f32_e32 v1, 0x5f7ffffc, v1
	v_mul_f32_e32 v11, 0x2f800000, v1
	s_delay_alu instid0(VALU_DEP_1) | instskip(NEXT) | instid1(VALU_DEP_1)
	v_trunc_f32_e32 v11, v11
	v_fmac_f32_e32 v1, 0xcf800000, v11
	v_cvt_u32_f32_e32 v37, v11
	s_delay_alu instid0(VALU_DEP_2) | instskip(NEXT) | instid1(VALU_DEP_1)
	v_cvt_u32_f32_e32 v32, v1
	v_dual_mov_b32 v42, v37 :: v_dual_mov_b32 v36, v32
	v_sub_nc_u64_e32 v[34:35], 0, v[30:31]
	s_delay_alu instid0(VALU_DEP_1) | instskip(NEXT) | instid1(VALU_DEP_1)
	v_mul_u64_e32 v[38:39], v[34:35], v[36:37]
	v_dual_mov_b32 v40, v39 :: v_dual_mov_b32 v39, v20
	s_delay_alu instid0(VALU_DEP_1) | instskip(NEXT) | instid1(VALU_DEP_2)
	v_mul_u64_e32 v[44:45], v[32:33], v[40:41]
	v_mul_u64_e32 v[46:47], v[42:43], v[38:39]
	;; [unrolled: 1-line block ×3, first 2 shown]
	v_mul_hi_u32 v38, v32, v38
	s_delay_alu instid0(VALU_DEP_1) | instskip(NEXT) | instid1(VALU_DEP_1)
	v_add_nc_u64_e32 v[38:39], v[38:39], v[44:45]
	v_add_co_u32 v1, vcc_lo, v38, v46
	s_delay_alu instid0(VALU_DEP_2) | instskip(SKIP_1) | instid1(VALU_DEP_1)
	v_add_co_ci_u32_e32 v42, vcc_lo, v39, v47, vcc_lo
	v_add_co_ci_u32_e32 v41, vcc_lo, 0, v41, vcc_lo
	v_add_nc_u64_e32 v[38:39], v[42:43], v[40:41]
	s_delay_alu instid0(VALU_DEP_1) | instskip(NEXT) | instid1(VALU_DEP_1)
	v_add_co_u32 v32, vcc_lo, v32, v38
	v_add_co_ci_u32_e64 v36, null, v37, v39, vcc_lo
	v_dual_mov_b32 v39, v20 :: v_dual_mov_b32 v37, v20
	s_delay_alu instid0(VALU_DEP_2) | instskip(NEXT) | instid1(VALU_DEP_1)
	v_mov_b32_e32 v33, v36
	v_mul_u64_e32 v[34:35], v[34:35], v[32:33]
	s_delay_alu instid0(VALU_DEP_1) | instskip(NEXT) | instid1(VALU_DEP_2)
	v_dual_mov_b32 v33, v20 :: v_dual_mov_b32 v38, v35
	v_dual_mov_b32 v42, v34 :: v_dual_mov_b32 v35, v20
	v_mul_hi_u32 v34, v32, v34
	s_delay_alu instid0(VALU_DEP_3) | instskip(NEXT) | instid1(VALU_DEP_3)
	v_mul_u64_e32 v[40:41], v[32:33], v[38:39]
	v_mul_u64_e32 v[42:43], v[36:37], v[42:43]
	;; [unrolled: 1-line block ×3, first 2 shown]
	s_delay_alu instid0(VALU_DEP_3) | instskip(SKIP_1) | instid1(VALU_DEP_2)
	v_add_nc_u64_e32 v[34:35], v[34:35], v[40:41]
	v_mov_b32_e32 v41, v20
	v_add_co_u32 v1, vcc_lo, v34, v42
	s_delay_alu instid0(VALU_DEP_3) | instskip(SKIP_1) | instid1(VALU_DEP_1)
	v_add_co_ci_u32_e32 v40, vcc_lo, v35, v43, vcc_lo
	v_add_co_ci_u32_e32 v39, vcc_lo, 0, v39, vcc_lo
	v_add_nc_u64_e32 v[34:35], v[40:41], v[38:39]
	s_delay_alu instid0(VALU_DEP_1) | instskip(NEXT) | instid1(VALU_DEP_1)
	v_add_co_u32 v34, vcc_lo, v32, v34
	v_add_co_ci_u32_e64 v32, null, v36, v35, vcc_lo
	v_mov_b32_e32 v35, v20
	s_delay_alu instid0(VALU_DEP_2) | instskip(SKIP_1) | instid1(VALU_DEP_3)
	v_mul_u64_e32 v[36:37], s[34:35], v[32:33]
	v_mul_u64_e32 v[32:33], s[2:3], v[32:33]
	;; [unrolled: 1-line block ×3, first 2 shown]
	v_mul_hi_u32 v34, s30, v34
	s_delay_alu instid0(VALU_DEP_1) | instskip(SKIP_1) | instid1(VALU_DEP_2)
	v_add_nc_u64_e32 v[34:35], v[34:35], v[36:37]
	v_mov_b32_e32 v37, v20
	v_add_co_u32 v1, vcc_lo, v34, v38
	s_delay_alu instid0(VALU_DEP_3) | instskip(SKIP_1) | instid1(VALU_DEP_1)
	v_add_co_ci_u32_e32 v36, vcc_lo, v35, v39, vcc_lo
	v_add_co_ci_u32_e32 v33, vcc_lo, 0, v33, vcc_lo
	v_add_nc_u64_e32 v[32:33], v[36:37], v[32:33]
	s_delay_alu instid0(VALU_DEP_1) | instskip(SKIP_1) | instid1(VALU_DEP_2)
	v_mul_u64_e32 v[34:35], v[30:31], v[32:33]
	v_add_nc_u64_e32 v[36:37], 1, v[32:33]
	v_sub_nc_u32_e32 v1, s31, v35
	s_delay_alu instid0(VALU_DEP_3) | instskip(NEXT) | instid1(VALU_DEP_1)
	v_sub_co_u32 v11, vcc_lo, s30, v34
	v_sub_co_ci_u32_e64 v21, null, s31, v35, vcc_lo
	s_delay_alu instid0(VALU_DEP_3) | instskip(NEXT) | instid1(VALU_DEP_3)
	v_sub_co_ci_u32_e64 v1, null, v1, v31, vcc_lo
	v_sub_co_u32 v17, s2, v11, v30
	s_delay_alu instid0(VALU_DEP_1) | instskip(NEXT) | instid1(VALU_DEP_2)
	v_subrev_co_ci_u32_e64 v1, null, 0, v1, s2
	v_cmp_ge_u32_e32 vcc_lo, v17, v30
	v_cndmask_b32_e64 v17, 0, -1, vcc_lo
	s_delay_alu instid0(VALU_DEP_3)
	v_cmp_ge_u32_e32 vcc_lo, v1, v31
	v_cndmask_b32_e64 v34, 0, -1, vcc_lo
	v_cmp_ge_u32_e32 vcc_lo, v11, v30
	v_cndmask_b32_e64 v11, 0, -1, vcc_lo
	;; [unrolled: 2-line block ×3, first 2 shown]
	v_cmp_eq_u32_e32 vcc_lo, v1, v31
	v_cndmask_b32_e32 v1, v34, v17, vcc_lo
	v_cmp_eq_u32_e32 vcc_lo, v21, v31
	v_add_nc_u64_e32 v[34:35], 2, v[32:33]
	v_dual_mov_b32 v17, v16 :: v_dual_cndmask_b32 v11, v30, v11, vcc_lo
	s_delay_alu instid0(VALU_DEP_4) | instskip(NEXT) | instid1(VALU_DEP_2)
	v_cmp_ne_u32_e32 vcc_lo, 0, v1
	v_cmp_ne_u32_e64 s2, 0, v11
	s_delay_alu instid0(VALU_DEP_4) | instskip(NEXT) | instid1(VALU_DEP_1)
	v_dual_cndmask_b32 v1, v37, v35, vcc_lo :: v_dual_cndmask_b32 v11, v36, v34, vcc_lo
	v_dual_cndmask_b32 v1, v33, v1, s2 :: v_dual_cndmask_b32 v11, v32, v11, s2
	s_delay_alu instid0(VALU_DEP_1) | instskip(NEXT) | instid1(VALU_DEP_2)
	v_xor_b32_e32 v31, v1, v16
	v_xor_b32_e32 v30, v11, v16
	s_delay_alu instid0(VALU_DEP_1)
	v_sub_nc_u64_e32 v[16:17], v[30:31], v[16:17]
.LBB80_14:                              ;   in Loop: Header=BB80_4 Depth=1
	s_and_not1_saveexec_b32 s2, s28
	s_cbranch_execz .LBB80_16
; %bb.15:                               ;   in Loop: Header=BB80_4 Depth=1
	v_cvt_f32_u32_e32 v1, v10
	v_sub_nc_u32_e32 v11, 0, v10
	s_delay_alu instid0(VALU_DEP_2) | instskip(SKIP_1) | instid1(TRANS32_DEP_1)
	v_rcp_iflag_f32_e32 v1, v1
	v_nop
	v_mul_f32_e32 v1, 0x4f7ffffe, v1
	s_delay_alu instid0(VALU_DEP_1) | instskip(NEXT) | instid1(VALU_DEP_1)
	v_cvt_u32_f32_e32 v1, v1
	v_mul_lo_u32 v11, v11, v1
	s_delay_alu instid0(VALU_DEP_1) | instskip(NEXT) | instid1(VALU_DEP_1)
	v_mul_hi_u32 v11, v1, v11
	v_add_nc_u32_e32 v1, v1, v11
	s_delay_alu instid0(VALU_DEP_1) | instskip(NEXT) | instid1(VALU_DEP_1)
	v_mul_hi_u32 v1, s10, v1
	v_mul_lo_u32 v11, v1, v10
	s_delay_alu instid0(VALU_DEP_1) | instskip(NEXT) | instid1(VALU_DEP_1)
	v_dual_add_nc_u32 v16, 1, v1 :: v_dual_sub_nc_u32 v11, s10, v11
	v_cmp_ge_u32_e32 vcc_lo, v11, v10
	s_delay_alu instid0(VALU_DEP_2) | instskip(NEXT) | instid1(VALU_DEP_1)
	v_dual_sub_nc_u32 v17, v11, v10 :: v_dual_cndmask_b32 v1, v1, v16, vcc_lo
	v_add_nc_u32_e32 v16, 1, v1
	s_delay_alu instid0(VALU_DEP_2) | instskip(NEXT) | instid1(VALU_DEP_1)
	v_dual_cndmask_b32 v11, v11, v17, vcc_lo :: v_dual_mov_b32 v17, v20
	v_cmp_ge_u32_e32 vcc_lo, v11, v10
	s_delay_alu instid0(VALU_DEP_3)
	v_cndmask_b32_e32 v16, v1, v16, vcc_lo
.LBB80_16:                              ;   in Loop: Header=BB80_4 Depth=1
	s_or_b32 exec_lo, exec_lo, s2
	v_or_b32_e32 v21, s11, v13
                                        ; implicit-def: $vgpr10_vgpr11
	s_mov_b32 s2, exec_lo
	s_delay_alu instid0(VALU_DEP_1)
	v_cmpx_ne_u64_e32 0, v[20:21]
	s_xor_b32 s28, exec_lo, s2
	s_cbranch_execz .LBB80_18
; %bb.17:                               ;   in Loop: Header=BB80_4 Depth=1
	v_dual_mov_b32 v31, v20 :: v_dual_ashrrev_i32 v10, 31, v13
	v_dual_mov_b32 v39, v20 :: v_dual_mov_b32 v41, v20
	s_mov_b32 s19, s18
	s_delay_alu instid0(VALU_DEP_2) | instskip(SKIP_1) | instid1(SALU_CYCLE_1)
	v_mov_b32_e32 v11, v10
	s_add_nc_u64 s[30:31], s[10:11], s[18:19]
	s_xor_b64 s[30:31], s[30:31], s[18:19]
	s_delay_alu instid0(SALU_CYCLE_1) | instskip(NEXT) | instid1(VALU_DEP_1)
	s_and_b64 s[34:35], s[30:31], s[20:21]
	v_add_nc_u64_e32 v[12:13], v[12:13], v[10:11]
	s_mov_b32 s2, s31
	s_delay_alu instid0(VALU_DEP_1) | instskip(NEXT) | instid1(VALU_DEP_2)
	v_xor_b32_e32 v12, v12, v10
	v_xor_b32_e32 v13, v13, v10
	s_delay_alu instid0(VALU_DEP_2) | instskip(NEXT) | instid1(VALU_DEP_2)
	v_cvt_f32_u32_e32 v1, v12
	v_cvt_f32_u32_e32 v11, v13
	s_delay_alu instid0(VALU_DEP_1) | instskip(NEXT) | instid1(VALU_DEP_1)
	v_fmac_f32_e32 v1, 0x4f800000, v11
	v_rcp_f32_e32 v1, v1
	v_nop
	s_delay_alu instid0(TRANS32_DEP_1) | instskip(NEXT) | instid1(VALU_DEP_1)
	v_mul_f32_e32 v1, 0x5f7ffffc, v1
	v_mul_f32_e32 v11, 0x2f800000, v1
	s_delay_alu instid0(VALU_DEP_1) | instskip(NEXT) | instid1(VALU_DEP_1)
	v_trunc_f32_e32 v11, v11
	v_fmac_f32_e32 v1, 0xcf800000, v11
	v_cvt_u32_f32_e32 v35, v11
	s_delay_alu instid0(VALU_DEP_2) | instskip(NEXT) | instid1(VALU_DEP_1)
	v_cvt_u32_f32_e32 v30, v1
	v_dual_mov_b32 v40, v35 :: v_dual_mov_b32 v34, v30
	v_sub_nc_u64_e32 v[32:33], 0, v[12:13]
	s_delay_alu instid0(VALU_DEP_1) | instskip(NEXT) | instid1(VALU_DEP_1)
	v_mul_u64_e32 v[36:37], v[32:33], v[34:35]
	v_dual_mov_b32 v38, v37 :: v_dual_mov_b32 v37, v20
	s_delay_alu instid0(VALU_DEP_1) | instskip(NEXT) | instid1(VALU_DEP_2)
	v_mul_u64_e32 v[42:43], v[30:31], v[38:39]
	v_mul_u64_e32 v[44:45], v[40:41], v[36:37]
	;; [unrolled: 1-line block ×3, first 2 shown]
	v_mul_hi_u32 v36, v30, v36
	s_delay_alu instid0(VALU_DEP_1) | instskip(NEXT) | instid1(VALU_DEP_1)
	v_add_nc_u64_e32 v[36:37], v[36:37], v[42:43]
	v_add_co_u32 v1, vcc_lo, v36, v44
	s_delay_alu instid0(VALU_DEP_2) | instskip(SKIP_1) | instid1(VALU_DEP_1)
	v_add_co_ci_u32_e32 v40, vcc_lo, v37, v45, vcc_lo
	v_add_co_ci_u32_e32 v39, vcc_lo, 0, v39, vcc_lo
	v_add_nc_u64_e32 v[36:37], v[40:41], v[38:39]
	s_delay_alu instid0(VALU_DEP_1) | instskip(NEXT) | instid1(VALU_DEP_1)
	v_add_co_u32 v30, vcc_lo, v30, v36
	v_add_co_ci_u32_e64 v34, null, v35, v37, vcc_lo
	v_dual_mov_b32 v37, v20 :: v_dual_mov_b32 v35, v20
	s_delay_alu instid0(VALU_DEP_2) | instskip(NEXT) | instid1(VALU_DEP_1)
	v_mov_b32_e32 v31, v34
	v_mul_u64_e32 v[32:33], v[32:33], v[30:31]
	s_delay_alu instid0(VALU_DEP_1) | instskip(NEXT) | instid1(VALU_DEP_2)
	v_dual_mov_b32 v31, v20 :: v_dual_mov_b32 v36, v33
	v_dual_mov_b32 v40, v32 :: v_dual_mov_b32 v33, v20
	v_mul_hi_u32 v32, v30, v32
	s_delay_alu instid0(VALU_DEP_3) | instskip(NEXT) | instid1(VALU_DEP_3)
	v_mul_u64_e32 v[38:39], v[30:31], v[36:37]
	v_mul_u64_e32 v[40:41], v[34:35], v[40:41]
	;; [unrolled: 1-line block ×3, first 2 shown]
	s_delay_alu instid0(VALU_DEP_3) | instskip(SKIP_1) | instid1(VALU_DEP_2)
	v_add_nc_u64_e32 v[32:33], v[32:33], v[38:39]
	v_mov_b32_e32 v39, v20
	v_add_co_u32 v1, vcc_lo, v32, v40
	s_delay_alu instid0(VALU_DEP_3) | instskip(SKIP_1) | instid1(VALU_DEP_1)
	v_add_co_ci_u32_e32 v38, vcc_lo, v33, v41, vcc_lo
	v_add_co_ci_u32_e32 v37, vcc_lo, 0, v37, vcc_lo
	v_add_nc_u64_e32 v[32:33], v[38:39], v[36:37]
	s_delay_alu instid0(VALU_DEP_1) | instskip(NEXT) | instid1(VALU_DEP_1)
	v_add_co_u32 v32, vcc_lo, v30, v32
	v_add_co_ci_u32_e64 v30, null, v34, v33, vcc_lo
	v_mov_b32_e32 v33, v20
	s_delay_alu instid0(VALU_DEP_2) | instskip(SKIP_1) | instid1(VALU_DEP_3)
	v_mul_u64_e32 v[34:35], s[34:35], v[30:31]
	v_mul_u64_e32 v[30:31], s[2:3], v[30:31]
	;; [unrolled: 1-line block ×3, first 2 shown]
	v_mul_hi_u32 v32, s30, v32
	s_delay_alu instid0(VALU_DEP_1) | instskip(SKIP_1) | instid1(VALU_DEP_2)
	v_add_nc_u64_e32 v[32:33], v[32:33], v[34:35]
	v_mov_b32_e32 v35, v20
	v_add_co_u32 v1, vcc_lo, v32, v36
	s_delay_alu instid0(VALU_DEP_3) | instskip(SKIP_1) | instid1(VALU_DEP_1)
	v_add_co_ci_u32_e32 v34, vcc_lo, v33, v37, vcc_lo
	v_add_co_ci_u32_e32 v31, vcc_lo, 0, v31, vcc_lo
	v_add_nc_u64_e32 v[30:31], v[34:35], v[30:31]
	s_delay_alu instid0(VALU_DEP_1) | instskip(SKIP_1) | instid1(VALU_DEP_2)
	v_mul_u64_e32 v[32:33], v[12:13], v[30:31]
	v_add_nc_u64_e32 v[34:35], 1, v[30:31]
	v_sub_nc_u32_e32 v1, s31, v33
	s_delay_alu instid0(VALU_DEP_3) | instskip(NEXT) | instid1(VALU_DEP_1)
	v_sub_co_u32 v11, vcc_lo, s30, v32
	v_sub_co_ci_u32_e64 v36, null, s31, v33, vcc_lo
	s_delay_alu instid0(VALU_DEP_3) | instskip(NEXT) | instid1(VALU_DEP_3)
	v_sub_co_ci_u32_e64 v1, null, v1, v13, vcc_lo
	v_sub_co_u32 v21, s2, v11, v12
	s_delay_alu instid0(VALU_DEP_1) | instskip(NEXT) | instid1(VALU_DEP_2)
	v_subrev_co_ci_u32_e64 v1, null, 0, v1, s2
	v_cmp_ge_u32_e32 vcc_lo, v21, v12
	v_cndmask_b32_e64 v21, 0, -1, vcc_lo
	s_delay_alu instid0(VALU_DEP_3)
	v_cmp_ge_u32_e32 vcc_lo, v1, v13
	v_cndmask_b32_e64 v32, 0, -1, vcc_lo
	v_cmp_ge_u32_e32 vcc_lo, v11, v12
	v_cndmask_b32_e64 v11, 0, -1, vcc_lo
	;; [unrolled: 2-line block ×3, first 2 shown]
	v_cmp_eq_u32_e32 vcc_lo, v1, v13
	v_cndmask_b32_e32 v1, v32, v21, vcc_lo
	v_cmp_eq_u32_e32 vcc_lo, v36, v13
	v_add_nc_u64_e32 v[32:33], 2, v[30:31]
	v_cndmask_b32_e32 v11, v12, v11, vcc_lo
	s_delay_alu instid0(VALU_DEP_4) | instskip(NEXT) | instid1(VALU_DEP_3)
	v_cmp_ne_u32_e32 vcc_lo, 0, v1
	v_cndmask_b32_e32 v1, v35, v33, vcc_lo
	s_delay_alu instid0(VALU_DEP_3) | instskip(SKIP_1) | instid1(VALU_DEP_1)
	v_cmp_ne_u32_e64 s2, 0, v11
	v_dual_cndmask_b32 v11, v34, v32, vcc_lo :: v_dual_bitop2_b32 v10, s18, v10 bitop3:0x14
	v_dual_cndmask_b32 v1, v31, v1, s2 :: v_dual_cndmask_b32 v12, v30, v11, s2
	s_delay_alu instid0(VALU_DEP_1) | instskip(NEXT) | instid1(VALU_DEP_2)
	v_dual_mov_b32 v11, v10 :: v_dual_bitop2_b32 v13, v1, v10 bitop3:0x14
	v_xor_b32_e32 v12, v12, v10
	s_delay_alu instid0(VALU_DEP_1)
	v_sub_nc_u64_e32 v[10:11], v[12:13], v[10:11]
                                        ; implicit-def: $vgpr12_vgpr13
.LBB80_18:                              ;   in Loop: Header=BB80_4 Depth=1
	s_and_not1_saveexec_b32 s2, s28
	s_cbranch_execz .LBB80_3
; %bb.19:                               ;   in Loop: Header=BB80_4 Depth=1
	v_cvt_f32_u32_e32 v1, v12
	v_sub_nc_u32_e32 v10, 0, v12
	s_delay_alu instid0(VALU_DEP_2) | instskip(SKIP_1) | instid1(TRANS32_DEP_1)
	v_rcp_iflag_f32_e32 v1, v1
	v_nop
	v_mul_f32_e32 v1, 0x4f7ffffe, v1
	s_delay_alu instid0(VALU_DEP_1) | instskip(NEXT) | instid1(VALU_DEP_1)
	v_cvt_u32_f32_e32 v1, v1
	v_mul_lo_u32 v10, v10, v1
	s_delay_alu instid0(VALU_DEP_1) | instskip(NEXT) | instid1(VALU_DEP_1)
	v_mul_hi_u32 v10, v1, v10
	v_add_nc_u32_e32 v1, v1, v10
	s_delay_alu instid0(VALU_DEP_1) | instskip(NEXT) | instid1(VALU_DEP_1)
	v_mul_hi_u32 v1, s10, v1
	v_mul_lo_u32 v10, v1, v12
	s_delay_alu instid0(VALU_DEP_1) | instskip(NEXT) | instid1(VALU_DEP_1)
	v_dual_sub_nc_u32 v10, s10, v10 :: v_dual_add_nc_u32 v11, 1, v1
	v_sub_nc_u32_e32 v13, v10, v12
	v_cmp_ge_u32_e32 vcc_lo, v10, v12
	s_delay_alu instid0(VALU_DEP_2) | instskip(NEXT) | instid1(VALU_DEP_1)
	v_dual_cndmask_b32 v10, v10, v13 :: v_dual_cndmask_b32 v1, v1, v11
	v_cmp_ge_u32_e32 vcc_lo, v10, v12
	s_delay_alu instid0(VALU_DEP_2) | instskip(NEXT) | instid1(VALU_DEP_1)
	v_add_nc_u32_e32 v11, 1, v1
	v_dual_cndmask_b32 v10, v1, v11 :: v_dual_mov_b32 v11, v20
	s_branch .LBB80_3
.LBB80_20:
	s_or_b32 exec_lo, exec_lo, s26
	s_mov_b32 s2, 0
.LBB80_21:
	s_delay_alu instid0(SALU_CYCLE_1)
	s_and_not1_b32 vcc_lo, exec_lo, s2
	s_cbranch_vccnz .LBB80_51
; %bb.22:
	v_cmp_lt_i64_e64 s2, s[16:17], 1
	s_and_b32 vcc_lo, exec_lo, s2
	s_cbranch_vccnz .LBB80_51
; %bb.23:
	v_min_i64 v[2:3], 0x10000, s[16:17]
	v_min_u64 v[4:5], 0x10000, s[16:17]
	s_load_b32 s0, s[0:1], 0xc64
	v_mov_b32_e32 v6, 0
	s_wait_xcnt 0x0
	s_mov_b32 s1, 0
	s_mov_b64 s[16:17], 0xffffffff
	s_mov_b32 s3, s1
	s_mov_b32 s13, s1
	v_mov_b32_e32 v1, v6
	s_mov_b32 s15, s1
	s_mov_b32 s19, s1
	s_mov_b64 s[20:21], 0
	s_wait_kmcnt 0x0
	s_ashr_i32 s22, s11, 31
	s_and_b32 s2, s0, 0xffff
	s_delay_alu instid0(SALU_CYCLE_1)
	s_lshl_b32 s12, s2, 1
	s_mul_i32 s14, s2, 3
	s_lshl_b32 s18, s2, 2
	s_branch .LBB80_25
.LBB80_24:                              ;   in Loop: Header=BB80_25 Depth=1
	s_wait_xcnt 0x0
	s_or_b32 exec_lo, exec_lo, s0
	s_add_nc_u64 s[20:21], s[20:21], s[18:19]
	s_delay_alu instid0(SALU_CYCLE_1)
	v_cmp_ge_i64_e32 vcc_lo, s[20:21], v[2:3]
	s_cbranch_vccnz .LBB80_51
.LBB80_25:                              ; =>This Inner Loop Header: Depth=1
	v_add_nc_u64_e32 v[12:13], s[20:21], v[0:1]
	v_mov_b64_e32 v[30:31], 0
	v_mov_b64_e32 v[20:21], 0
	s_mov_b32 s0, exec_lo
	s_delay_alu instid0(VALU_DEP_3)
	v_cmpx_lt_i64_e64 v[12:13], v[2:3]
	s_cbranch_execz .LBB80_27
; %bb.26:                               ;   in Loop: Header=BB80_25 Depth=1
	v_lshlrev_b64_e32 v[8:9], 3, v[12:13]
	s_delay_alu instid0(VALU_DEP_1)
	v_add_nc_u64_e32 v[10:11], s[6:7], v[8:9]
	v_add_nc_u64_e32 v[8:9], s[4:5], v[8:9]
	global_load_b64 v[20:21], v[10:11], off
	global_load_b64 v[30:31], v[8:9], off
.LBB80_27:                              ;   in Loop: Header=BB80_25 Depth=1
	s_wait_xcnt 0x0
	s_or_b32 exec_lo, exec_lo, s0
	v_add_nc_u64_e32 v[22:23], s[2:3], v[12:13]
	v_add_nc_u64_e32 v[16:17], s[12:13], v[12:13]
	;; [unrolled: 1-line block ×3, first 2 shown]
	s_mov_b32 s0, exec_lo
	s_delay_alu instid0(VALU_DEP_3) | instskip(NEXT) | instid1(VALU_DEP_3)
	v_lshlrev_b64_e32 v[8:9], 3, v[22:23]
	v_lshlrev_b64_e32 v[24:25], 3, v[16:17]
	s_delay_alu instid0(VALU_DEP_3) | instskip(NEXT) | instid1(VALU_DEP_3)
	v_lshlrev_b64_e32 v[28:29], 3, v[10:11]
	v_add_nc_u64_e32 v[14:15], s[4:5], v[8:9]
	v_add_nc_u64_e32 v[26:27], s[6:7], v[8:9]
	s_delay_alu instid0(VALU_DEP_4) | instskip(NEXT) | instid1(VALU_DEP_4)
	v_add_nc_u64_e32 v[18:19], s[6:7], v[24:25]
	v_add_nc_u64_e32 v[8:9], s[6:7], v[28:29]
	;; [unrolled: 1-line block ×4, first 2 shown]
	global_load_b64 v[34:35], v[14:15], off
	s_clause 0x2
	global_load_b64 v[28:29], v[26:27], off
	global_load_b64 v[24:25], v[18:19], off
	;; [unrolled: 1-line block ×3, first 2 shown]
	s_clause 0x1
	global_load_b64 v[38:39], v[32:33], off
	global_load_b64 v[36:37], v[40:41], off
                                        ; implicit-def: $vgpr32_vgpr33
	s_wait_loadcnt 0x5
	v_or_b32_e32 v7, s11, v35
	s_wait_xcnt 0x0
	s_delay_alu instid0(VALU_DEP_1)
	v_cmpx_ne_u64_e32 0, v[6:7]
	s_xor_b32 s24, exec_lo, s0
	s_cbranch_execz .LBB80_29
; %bb.28:                               ;   in Loop: Header=BB80_25 Depth=1
	v_dual_mov_b32 v41, v6 :: v_dual_ashrrev_i32 v32, 31, v35
	v_dual_mov_b32 v49, v6 :: v_dual_mov_b32 v51, v6
	s_mov_b32 s23, s22
	s_delay_alu instid0(VALU_DEP_2) | instskip(SKIP_1) | instid1(SALU_CYCLE_1)
	v_mov_b32_e32 v33, v32
	s_add_nc_u64 s[26:27], s[10:11], s[22:23]
	s_xor_b64 s[26:27], s[26:27], s[22:23]
	s_delay_alu instid0(SALU_CYCLE_1) | instskip(NEXT) | instid1(VALU_DEP_1)
	s_and_b64 s[28:29], s[26:27], s[16:17]
	v_add_nc_u64_e32 v[34:35], v[34:35], v[32:33]
	s_mov_b32 s0, s27
	s_delay_alu instid0(VALU_DEP_1) | instskip(NEXT) | instid1(VALU_DEP_2)
	v_xor_b32_e32 v34, v34, v32
	v_xor_b32_e32 v35, v35, v32
	s_delay_alu instid0(VALU_DEP_2) | instskip(NEXT) | instid1(VALU_DEP_2)
	v_cvt_f32_u32_e32 v7, v34
	v_cvt_f32_u32_e32 v33, v35
	s_delay_alu instid0(VALU_DEP_1) | instskip(NEXT) | instid1(VALU_DEP_1)
	v_fmac_f32_e32 v7, 0x4f800000, v33
	v_rcp_f32_e32 v7, v7
	v_nop
	s_delay_alu instid0(TRANS32_DEP_1) | instskip(NEXT) | instid1(VALU_DEP_1)
	v_mul_f32_e32 v7, 0x5f7ffffc, v7
	v_mul_f32_e32 v33, 0x2f800000, v7
	s_delay_alu instid0(VALU_DEP_1) | instskip(NEXT) | instid1(VALU_DEP_1)
	v_trunc_f32_e32 v33, v33
	v_fmac_f32_e32 v7, 0xcf800000, v33
	v_cvt_u32_f32_e32 v45, v33
	s_delay_alu instid0(VALU_DEP_2) | instskip(NEXT) | instid1(VALU_DEP_1)
	v_cvt_u32_f32_e32 v40, v7
	v_dual_mov_b32 v50, v45 :: v_dual_mov_b32 v44, v40
	v_sub_nc_u64_e32 v[42:43], 0, v[34:35]
	s_delay_alu instid0(VALU_DEP_1) | instskip(NEXT) | instid1(VALU_DEP_1)
	v_mul_u64_e32 v[46:47], v[42:43], v[44:45]
	v_dual_mov_b32 v48, v47 :: v_dual_mov_b32 v47, v6
	s_delay_alu instid0(VALU_DEP_1) | instskip(NEXT) | instid1(VALU_DEP_2)
	v_mul_u64_e32 v[52:53], v[40:41], v[48:49]
	v_mul_u64_e32 v[54:55], v[50:51], v[46:47]
	;; [unrolled: 1-line block ×3, first 2 shown]
	v_mul_hi_u32 v46, v40, v46
	s_delay_alu instid0(VALU_DEP_1) | instskip(NEXT) | instid1(VALU_DEP_1)
	v_add_nc_u64_e32 v[46:47], v[46:47], v[52:53]
	v_add_co_u32 v7, vcc_lo, v46, v54
	s_delay_alu instid0(VALU_DEP_2) | instskip(SKIP_1) | instid1(VALU_DEP_1)
	v_add_co_ci_u32_e32 v50, vcc_lo, v47, v55, vcc_lo
	v_add_co_ci_u32_e32 v49, vcc_lo, 0, v49, vcc_lo
	v_add_nc_u64_e32 v[46:47], v[50:51], v[48:49]
	s_delay_alu instid0(VALU_DEP_1) | instskip(NEXT) | instid1(VALU_DEP_1)
	v_add_co_u32 v40, vcc_lo, v40, v46
	v_add_co_ci_u32_e64 v44, null, v45, v47, vcc_lo
	v_dual_mov_b32 v47, v6 :: v_dual_mov_b32 v45, v6
	s_delay_alu instid0(VALU_DEP_2) | instskip(NEXT) | instid1(VALU_DEP_1)
	v_mov_b32_e32 v41, v44
	v_mul_u64_e32 v[42:43], v[42:43], v[40:41]
	s_delay_alu instid0(VALU_DEP_1) | instskip(NEXT) | instid1(VALU_DEP_2)
	v_dual_mov_b32 v41, v6 :: v_dual_mov_b32 v46, v43
	v_dual_mov_b32 v50, v42 :: v_dual_mov_b32 v43, v6
	v_mul_hi_u32 v42, v40, v42
	s_delay_alu instid0(VALU_DEP_3) | instskip(NEXT) | instid1(VALU_DEP_3)
	v_mul_u64_e32 v[48:49], v[40:41], v[46:47]
	v_mul_u64_e32 v[50:51], v[44:45], v[50:51]
	;; [unrolled: 1-line block ×3, first 2 shown]
	s_delay_alu instid0(VALU_DEP_3) | instskip(SKIP_1) | instid1(VALU_DEP_2)
	v_add_nc_u64_e32 v[42:43], v[42:43], v[48:49]
	v_mov_b32_e32 v49, v6
	v_add_co_u32 v7, vcc_lo, v42, v50
	s_delay_alu instid0(VALU_DEP_3) | instskip(SKIP_1) | instid1(VALU_DEP_1)
	v_add_co_ci_u32_e32 v48, vcc_lo, v43, v51, vcc_lo
	v_add_co_ci_u32_e32 v47, vcc_lo, 0, v47, vcc_lo
	v_add_nc_u64_e32 v[42:43], v[48:49], v[46:47]
	s_delay_alu instid0(VALU_DEP_1) | instskip(NEXT) | instid1(VALU_DEP_1)
	v_add_co_u32 v42, vcc_lo, v40, v42
	v_add_co_ci_u32_e64 v40, null, v44, v43, vcc_lo
	v_mov_b32_e32 v43, v6
	s_delay_alu instid0(VALU_DEP_2) | instskip(SKIP_1) | instid1(VALU_DEP_3)
	v_mul_u64_e32 v[44:45], s[28:29], v[40:41]
	v_mul_u64_e32 v[40:41], s[0:1], v[40:41]
	;; [unrolled: 1-line block ×3, first 2 shown]
	v_mul_hi_u32 v42, s26, v42
	s_delay_alu instid0(VALU_DEP_1) | instskip(SKIP_1) | instid1(VALU_DEP_2)
	v_add_nc_u64_e32 v[42:43], v[42:43], v[44:45]
	v_mov_b32_e32 v45, v6
	v_add_co_u32 v7, vcc_lo, v42, v46
	s_delay_alu instid0(VALU_DEP_3) | instskip(SKIP_1) | instid1(VALU_DEP_1)
	v_add_co_ci_u32_e32 v44, vcc_lo, v43, v47, vcc_lo
	v_add_co_ci_u32_e32 v41, vcc_lo, 0, v41, vcc_lo
	v_add_nc_u64_e32 v[40:41], v[44:45], v[40:41]
	s_delay_alu instid0(VALU_DEP_1) | instskip(SKIP_1) | instid1(VALU_DEP_2)
	v_mul_u64_e32 v[42:43], v[34:35], v[40:41]
	v_add_nc_u64_e32 v[44:45], 1, v[40:41]
	v_sub_nc_u32_e32 v7, s27, v43
	s_delay_alu instid0(VALU_DEP_3) | instskip(NEXT) | instid1(VALU_DEP_1)
	v_sub_co_u32 v33, vcc_lo, s26, v42
	v_sub_co_ci_u32_e64 v46, null, s27, v43, vcc_lo
	s_delay_alu instid0(VALU_DEP_3) | instskip(NEXT) | instid1(VALU_DEP_3)
	v_sub_co_ci_u32_e64 v7, null, v7, v35, vcc_lo
	v_sub_co_u32 v42, s0, v33, v34
	s_delay_alu instid0(VALU_DEP_1) | instskip(NEXT) | instid1(VALU_DEP_2)
	v_subrev_co_ci_u32_e64 v7, null, 0, v7, s0
	v_cmp_ge_u32_e32 vcc_lo, v42, v34
	v_cndmask_b32_e64 v42, 0, -1, vcc_lo
	s_delay_alu instid0(VALU_DEP_3)
	v_cmp_ge_u32_e32 vcc_lo, v7, v35
	v_cndmask_b32_e64 v43, 0, -1, vcc_lo
	v_cmp_ge_u32_e32 vcc_lo, v33, v34
	v_cndmask_b32_e64 v33, 0, -1, vcc_lo
	;; [unrolled: 2-line block ×3, first 2 shown]
	v_cmp_eq_u32_e32 vcc_lo, v7, v35
	v_cndmask_b32_e32 v7, v43, v42, vcc_lo
	v_cmp_eq_u32_e32 vcc_lo, v46, v35
	v_add_nc_u64_e32 v[42:43], 2, v[40:41]
	v_cndmask_b32_e32 v33, v34, v33, vcc_lo
	s_delay_alu instid0(VALU_DEP_4) | instskip(NEXT) | instid1(VALU_DEP_2)
	v_cmp_ne_u32_e32 vcc_lo, 0, v7
	v_cmp_ne_u32_e64 s0, 0, v33
	s_delay_alu instid0(VALU_DEP_4) | instskip(NEXT) | instid1(VALU_DEP_1)
	v_dual_cndmask_b32 v7, v45, v43, vcc_lo :: v_dual_cndmask_b32 v33, v44, v42, vcc_lo
	v_dual_cndmask_b32 v7, v41, v7, s0 :: v_dual_bitop2_b32 v32, s22, v32 bitop3:0x14
	s_delay_alu instid0(VALU_DEP_1) | instskip(NEXT) | instid1(VALU_DEP_1)
	v_dual_cndmask_b32 v34, v40, v33, s0 :: v_dual_bitop2_b32 v35, v7, v32 bitop3:0x14
	v_dual_mov_b32 v33, v32 :: v_dual_bitop2_b32 v34, v34, v32 bitop3:0x14
	s_delay_alu instid0(VALU_DEP_1)
	v_sub_nc_u64_e32 v[32:33], v[34:35], v[32:33]
                                        ; implicit-def: $vgpr34_vgpr35
.LBB80_29:                              ;   in Loop: Header=BB80_25 Depth=1
	s_and_not1_saveexec_b32 s0, s24
	s_cbranch_execz .LBB80_31
; %bb.30:                               ;   in Loop: Header=BB80_25 Depth=1
	v_cvt_f32_u32_e32 v7, v34
	v_sub_nc_u32_e32 v32, 0, v34
	s_delay_alu instid0(VALU_DEP_2) | instskip(SKIP_1) | instid1(TRANS32_DEP_1)
	v_rcp_iflag_f32_e32 v7, v7
	v_nop
	v_mul_f32_e32 v7, 0x4f7ffffe, v7
	s_delay_alu instid0(VALU_DEP_1) | instskip(NEXT) | instid1(VALU_DEP_1)
	v_cvt_u32_f32_e32 v7, v7
	v_mul_lo_u32 v32, v32, v7
	s_delay_alu instid0(VALU_DEP_1) | instskip(NEXT) | instid1(VALU_DEP_1)
	v_mul_hi_u32 v32, v7, v32
	v_add_nc_u32_e32 v7, v7, v32
	s_delay_alu instid0(VALU_DEP_1) | instskip(NEXT) | instid1(VALU_DEP_1)
	v_mul_hi_u32 v7, s10, v7
	v_mul_lo_u32 v32, v7, v34
	s_delay_alu instid0(VALU_DEP_1) | instskip(NEXT) | instid1(VALU_DEP_1)
	v_dual_sub_nc_u32 v32, s10, v32 :: v_dual_add_nc_u32 v33, 1, v7
	v_sub_nc_u32_e32 v35, v32, v34
	v_cmp_ge_u32_e32 vcc_lo, v32, v34
	s_delay_alu instid0(VALU_DEP_2) | instskip(NEXT) | instid1(VALU_DEP_1)
	v_dual_cndmask_b32 v32, v32, v35 :: v_dual_cndmask_b32 v7, v7, v33
	v_cmp_ge_u32_e32 vcc_lo, v32, v34
	s_delay_alu instid0(VALU_DEP_2) | instskip(NEXT) | instid1(VALU_DEP_1)
	v_add_nc_u32_e32 v33, 1, v7
	v_dual_cndmask_b32 v32, v7, v33 :: v_dual_mov_b32 v33, v6
.LBB80_31:                              ;   in Loop: Header=BB80_25 Depth=1
	s_or_b32 exec_lo, exec_lo, s0
	s_wait_loadcnt 0x1
	v_or_b32_e32 v7, s11, v39
                                        ; implicit-def: $vgpr34_vgpr35
	s_mov_b32 s0, exec_lo
	s_delay_alu instid0(VALU_DEP_1)
	v_cmpx_ne_u64_e32 0, v[6:7]
	s_xor_b32 s24, exec_lo, s0
	s_cbranch_execz .LBB80_33
; %bb.32:                               ;   in Loop: Header=BB80_25 Depth=1
	v_dual_mov_b32 v41, v6 :: v_dual_ashrrev_i32 v34, 31, v39
	v_dual_mov_b32 v49, v6 :: v_dual_mov_b32 v51, v6
	s_mov_b32 s23, s22
	s_delay_alu instid0(VALU_DEP_2) | instskip(SKIP_1) | instid1(SALU_CYCLE_1)
	v_mov_b32_e32 v35, v34
	s_add_nc_u64 s[26:27], s[10:11], s[22:23]
	s_xor_b64 s[26:27], s[26:27], s[22:23]
	s_delay_alu instid0(SALU_CYCLE_1) | instskip(NEXT) | instid1(VALU_DEP_1)
	s_and_b64 s[28:29], s[26:27], s[16:17]
	v_add_nc_u64_e32 v[38:39], v[38:39], v[34:35]
	s_mov_b32 s0, s27
	s_delay_alu instid0(VALU_DEP_1) | instskip(NEXT) | instid1(VALU_DEP_2)
	v_xor_b32_e32 v38, v38, v34
	v_xor_b32_e32 v39, v39, v34
	s_delay_alu instid0(VALU_DEP_2) | instskip(NEXT) | instid1(VALU_DEP_2)
	v_cvt_f32_u32_e32 v7, v38
	v_cvt_f32_u32_e32 v35, v39
	v_sub_nc_u64_e32 v[42:43], 0, v[38:39]
	s_delay_alu instid0(VALU_DEP_2) | instskip(NEXT) | instid1(VALU_DEP_1)
	v_fmac_f32_e32 v7, 0x4f800000, v35
	v_rcp_f32_e32 v7, v7
	v_nop
	s_delay_alu instid0(TRANS32_DEP_1) | instskip(NEXT) | instid1(VALU_DEP_1)
	v_mul_f32_e32 v7, 0x5f7ffffc, v7
	v_mul_f32_e32 v35, 0x2f800000, v7
	s_delay_alu instid0(VALU_DEP_1) | instskip(NEXT) | instid1(VALU_DEP_1)
	v_trunc_f32_e32 v35, v35
	v_fmac_f32_e32 v7, 0xcf800000, v35
	v_cvt_u32_f32_e32 v45, v35
	s_delay_alu instid0(VALU_DEP_2) | instskip(NEXT) | instid1(VALU_DEP_1)
	v_cvt_u32_f32_e32 v40, v7
	v_dual_mov_b32 v50, v45 :: v_dual_mov_b32 v44, v40
	v_xor_b32_e32 v34, s22, v34
	s_delay_alu instid0(VALU_DEP_2) | instskip(NEXT) | instid1(VALU_DEP_1)
	v_mul_u64_e32 v[46:47], v[42:43], v[44:45]
	v_dual_mov_b32 v48, v47 :: v_dual_mov_b32 v47, v6
	s_delay_alu instid0(VALU_DEP_1) | instskip(NEXT) | instid1(VALU_DEP_2)
	v_mul_u64_e32 v[52:53], v[40:41], v[48:49]
	v_mul_u64_e32 v[54:55], v[50:51], v[46:47]
	;; [unrolled: 1-line block ×3, first 2 shown]
	v_mul_hi_u32 v46, v40, v46
	s_delay_alu instid0(VALU_DEP_1) | instskip(NEXT) | instid1(VALU_DEP_1)
	v_add_nc_u64_e32 v[46:47], v[46:47], v[52:53]
	v_add_co_u32 v7, vcc_lo, v46, v54
	s_delay_alu instid0(VALU_DEP_2) | instskip(SKIP_1) | instid1(VALU_DEP_1)
	v_add_co_ci_u32_e32 v50, vcc_lo, v47, v55, vcc_lo
	v_add_co_ci_u32_e32 v49, vcc_lo, 0, v49, vcc_lo
	v_add_nc_u64_e32 v[46:47], v[50:51], v[48:49]
	s_delay_alu instid0(VALU_DEP_1) | instskip(NEXT) | instid1(VALU_DEP_1)
	v_add_co_u32 v40, vcc_lo, v40, v46
	v_add_co_ci_u32_e64 v44, null, v45, v47, vcc_lo
	v_dual_mov_b32 v47, v6 :: v_dual_mov_b32 v45, v6
	s_delay_alu instid0(VALU_DEP_2) | instskip(NEXT) | instid1(VALU_DEP_1)
	v_mov_b32_e32 v41, v44
	v_mul_u64_e32 v[42:43], v[42:43], v[40:41]
	s_delay_alu instid0(VALU_DEP_1) | instskip(NEXT) | instid1(VALU_DEP_2)
	v_dual_mov_b32 v41, v6 :: v_dual_mov_b32 v46, v43
	v_mov_b32_e32 v50, v42
	v_mul_hi_u32 v42, v40, v42
	v_mov_b32_e32 v43, v6
	s_delay_alu instid0(VALU_DEP_4) | instskip(NEXT) | instid1(VALU_DEP_4)
	v_mul_u64_e32 v[48:49], v[40:41], v[46:47]
	v_mul_u64_e32 v[50:51], v[44:45], v[50:51]
	;; [unrolled: 1-line block ×3, first 2 shown]
	s_delay_alu instid0(VALU_DEP_3) | instskip(SKIP_1) | instid1(VALU_DEP_2)
	v_add_nc_u64_e32 v[42:43], v[42:43], v[48:49]
	v_mov_b32_e32 v49, v6
	v_add_co_u32 v7, vcc_lo, v42, v50
	s_delay_alu instid0(VALU_DEP_3) | instskip(SKIP_1) | instid1(VALU_DEP_1)
	v_add_co_ci_u32_e32 v48, vcc_lo, v43, v51, vcc_lo
	v_add_co_ci_u32_e32 v47, vcc_lo, 0, v47, vcc_lo
	v_add_nc_u64_e32 v[42:43], v[48:49], v[46:47]
	s_delay_alu instid0(VALU_DEP_1) | instskip(NEXT) | instid1(VALU_DEP_1)
	v_add_co_u32 v42, vcc_lo, v40, v42
	v_add_co_ci_u32_e64 v40, null, v44, v43, vcc_lo
	v_mov_b32_e32 v43, v6
	s_delay_alu instid0(VALU_DEP_2) | instskip(SKIP_1) | instid1(VALU_DEP_3)
	v_mul_u64_e32 v[44:45], s[28:29], v[40:41]
	v_mul_u64_e32 v[40:41], s[0:1], v[40:41]
	;; [unrolled: 1-line block ×3, first 2 shown]
	v_mul_hi_u32 v42, s26, v42
	s_delay_alu instid0(VALU_DEP_1) | instskip(SKIP_1) | instid1(VALU_DEP_2)
	v_add_nc_u64_e32 v[42:43], v[42:43], v[44:45]
	v_mov_b32_e32 v45, v6
	v_add_co_u32 v7, vcc_lo, v42, v46
	s_delay_alu instid0(VALU_DEP_3) | instskip(SKIP_1) | instid1(VALU_DEP_1)
	v_add_co_ci_u32_e32 v44, vcc_lo, v43, v47, vcc_lo
	v_add_co_ci_u32_e32 v41, vcc_lo, 0, v41, vcc_lo
	v_add_nc_u64_e32 v[40:41], v[44:45], v[40:41]
	s_delay_alu instid0(VALU_DEP_1) | instskip(SKIP_1) | instid1(VALU_DEP_2)
	v_mul_u64_e32 v[42:43], v[38:39], v[40:41]
	v_add_nc_u64_e32 v[44:45], 1, v[40:41]
	v_sub_nc_u32_e32 v7, s27, v43
	s_delay_alu instid0(VALU_DEP_3) | instskip(NEXT) | instid1(VALU_DEP_1)
	v_sub_co_u32 v35, vcc_lo, s26, v42
	v_sub_co_ci_u32_e64 v46, null, s27, v43, vcc_lo
	s_delay_alu instid0(VALU_DEP_3) | instskip(NEXT) | instid1(VALU_DEP_3)
	v_sub_co_ci_u32_e64 v7, null, v7, v39, vcc_lo
	v_sub_co_u32 v42, s0, v35, v38
	s_delay_alu instid0(VALU_DEP_1) | instskip(NEXT) | instid1(VALU_DEP_2)
	v_subrev_co_ci_u32_e64 v7, null, 0, v7, s0
	v_cmp_ge_u32_e32 vcc_lo, v42, v38
	v_cndmask_b32_e64 v42, 0, -1, vcc_lo
	s_delay_alu instid0(VALU_DEP_3)
	v_cmp_ge_u32_e32 vcc_lo, v7, v39
	v_cndmask_b32_e64 v43, 0, -1, vcc_lo
	v_cmp_ge_u32_e32 vcc_lo, v35, v38
	v_cndmask_b32_e64 v35, 0, -1, vcc_lo
	;; [unrolled: 2-line block ×3, first 2 shown]
	v_cmp_eq_u32_e32 vcc_lo, v7, v39
	v_cndmask_b32_e32 v7, v43, v42, vcc_lo
	v_cmp_eq_u32_e32 vcc_lo, v46, v39
	v_add_nc_u64_e32 v[42:43], 2, v[40:41]
	v_cndmask_b32_e32 v35, v38, v35, vcc_lo
	s_delay_alu instid0(VALU_DEP_4) | instskip(NEXT) | instid1(VALU_DEP_2)
	v_cmp_ne_u32_e32 vcc_lo, 0, v7
	v_cmp_ne_u32_e64 s0, 0, v35
	s_delay_alu instid0(VALU_DEP_4) | instskip(NEXT) | instid1(VALU_DEP_1)
	v_dual_cndmask_b32 v7, v45, v43, vcc_lo :: v_dual_cndmask_b32 v35, v44, v42, vcc_lo
	v_cndmask_b32_e64 v7, v41, v7, s0
	s_delay_alu instid0(VALU_DEP_2) | instskip(NEXT) | instid1(VALU_DEP_2)
	v_dual_cndmask_b32 v38, v40, v35, s0 :: v_dual_mov_b32 v35, v34
	v_xor_b32_e32 v39, v7, v34
	s_delay_alu instid0(VALU_DEP_2) | instskip(NEXT) | instid1(VALU_DEP_1)
	v_xor_b32_e32 v38, v38, v34
	v_sub_nc_u64_e32 v[34:35], v[38:39], v[34:35]
                                        ; implicit-def: $vgpr38_vgpr39
.LBB80_33:                              ;   in Loop: Header=BB80_25 Depth=1
	s_and_not1_saveexec_b32 s0, s24
	s_cbranch_execz .LBB80_35
; %bb.34:                               ;   in Loop: Header=BB80_25 Depth=1
	v_cvt_f32_u32_e32 v7, v38
	v_sub_nc_u32_e32 v34, 0, v38
	s_delay_alu instid0(VALU_DEP_2) | instskip(SKIP_1) | instid1(TRANS32_DEP_1)
	v_rcp_iflag_f32_e32 v7, v7
	v_nop
	v_mul_f32_e32 v7, 0x4f7ffffe, v7
	s_delay_alu instid0(VALU_DEP_1) | instskip(NEXT) | instid1(VALU_DEP_1)
	v_cvt_u32_f32_e32 v7, v7
	v_mul_lo_u32 v34, v34, v7
	s_delay_alu instid0(VALU_DEP_1) | instskip(NEXT) | instid1(VALU_DEP_1)
	v_mul_hi_u32 v34, v7, v34
	v_add_nc_u32_e32 v7, v7, v34
	s_delay_alu instid0(VALU_DEP_1) | instskip(NEXT) | instid1(VALU_DEP_1)
	v_mul_hi_u32 v7, s10, v7
	v_mul_lo_u32 v34, v7, v38
	s_delay_alu instid0(VALU_DEP_1) | instskip(NEXT) | instid1(VALU_DEP_1)
	v_dual_sub_nc_u32 v34, s10, v34 :: v_dual_add_nc_u32 v35, 1, v7
	v_sub_nc_u32_e32 v39, v34, v38
	v_cmp_ge_u32_e32 vcc_lo, v34, v38
	s_delay_alu instid0(VALU_DEP_2) | instskip(NEXT) | instid1(VALU_DEP_4)
	v_cndmask_b32_e32 v34, v34, v39, vcc_lo
	v_cndmask_b32_e32 v7, v7, v35, vcc_lo
	s_delay_alu instid0(VALU_DEP_2) | instskip(NEXT) | instid1(VALU_DEP_2)
	v_cmp_ge_u32_e32 vcc_lo, v34, v38
	v_add_nc_u32_e32 v35, 1, v7
	s_delay_alu instid0(VALU_DEP_1)
	v_dual_cndmask_b32 v34, v7, v35 :: v_dual_mov_b32 v35, v6
.LBB80_35:                              ;   in Loop: Header=BB80_25 Depth=1
	s_or_b32 exec_lo, exec_lo, s0
	s_wait_loadcnt 0x0
	v_or_b32_e32 v7, s11, v37
                                        ; implicit-def: $vgpr38_vgpr39
	s_mov_b32 s0, exec_lo
	s_delay_alu instid0(VALU_DEP_1)
	v_cmpx_ne_u64_e32 0, v[6:7]
	s_xor_b32 s24, exec_lo, s0
	s_cbranch_execnz .LBB80_41
; %bb.36:                               ;   in Loop: Header=BB80_25 Depth=1
	s_and_not1_saveexec_b32 s0, s24
	s_cbranch_execnz .LBB80_42
.LBB80_37:                              ;   in Loop: Header=BB80_25 Depth=1
	s_or_b32 exec_lo, exec_lo, s0
	s_delay_alu instid0(SALU_CYCLE_1)
	s_mov_b32 s24, exec_lo
	v_cmpx_lt_u64_e64 v[12:13], v[4:5]
	s_cbranch_execnz .LBB80_43
.LBB80_38:                              ;   in Loop: Header=BB80_25 Depth=1
	s_or_b32 exec_lo, exec_lo, s24
	s_delay_alu instid0(SALU_CYCLE_1)
	s_mov_b32 s0, exec_lo
	v_cmpx_lt_u64_e64 v[22:23], v[4:5]
	s_cbranch_execnz .LBB80_48
.LBB80_39:                              ;   in Loop: Header=BB80_25 Depth=1
	s_or_b32 exec_lo, exec_lo, s0
	s_delay_alu instid0(SALU_CYCLE_1)
	s_mov_b32 s0, exec_lo
	v_cmpx_lt_u64_e64 v[16:17], v[4:5]
	s_cbranch_execnz .LBB80_49
.LBB80_40:                              ;   in Loop: Header=BB80_25 Depth=1
	s_or_b32 exec_lo, exec_lo, s0
	s_delay_alu instid0(SALU_CYCLE_1)
	s_mov_b32 s0, exec_lo
	v_cmpx_lt_u64_e64 v[10:11], v[4:5]
	s_cbranch_execz .LBB80_24
	s_branch .LBB80_50
.LBB80_41:                              ;   in Loop: Header=BB80_25 Depth=1
	v_dual_mov_b32 v41, v6 :: v_dual_ashrrev_i32 v38, 31, v37
	v_dual_mov_b32 v49, v6 :: v_dual_mov_b32 v51, v6
	s_mov_b32 s23, s22
	s_delay_alu instid0(VALU_DEP_2) | instskip(SKIP_1) | instid1(SALU_CYCLE_1)
	v_mov_b32_e32 v39, v38
	s_add_nc_u64 s[26:27], s[10:11], s[22:23]
	s_xor_b64 s[26:27], s[26:27], s[22:23]
	s_delay_alu instid0(SALU_CYCLE_1) | instskip(NEXT) | instid1(VALU_DEP_1)
	s_and_b64 s[28:29], s[26:27], s[16:17]
	v_add_nc_u64_e32 v[36:37], v[36:37], v[38:39]
	s_mov_b32 s0, s27
	s_delay_alu instid0(VALU_DEP_1) | instskip(NEXT) | instid1(VALU_DEP_2)
	v_xor_b32_e32 v36, v36, v38
	v_xor_b32_e32 v37, v37, v38
	s_delay_alu instid0(VALU_DEP_2) | instskip(NEXT) | instid1(VALU_DEP_2)
	v_cvt_f32_u32_e32 v7, v36
	v_cvt_f32_u32_e32 v39, v37
	s_delay_alu instid0(VALU_DEP_1) | instskip(NEXT) | instid1(VALU_DEP_1)
	v_fmac_f32_e32 v7, 0x4f800000, v39
	v_rcp_f32_e32 v7, v7
	v_nop
	s_delay_alu instid0(TRANS32_DEP_1) | instskip(NEXT) | instid1(VALU_DEP_1)
	v_mul_f32_e32 v7, 0x5f7ffffc, v7
	v_mul_f32_e32 v39, 0x2f800000, v7
	s_delay_alu instid0(VALU_DEP_1) | instskip(NEXT) | instid1(VALU_DEP_1)
	v_trunc_f32_e32 v39, v39
	v_fmac_f32_e32 v7, 0xcf800000, v39
	v_cvt_u32_f32_e32 v45, v39
	s_delay_alu instid0(VALU_DEP_2) | instskip(NEXT) | instid1(VALU_DEP_1)
	v_cvt_u32_f32_e32 v40, v7
	v_dual_mov_b32 v50, v45 :: v_dual_mov_b32 v44, v40
	v_sub_nc_u64_e32 v[42:43], 0, v[36:37]
	s_delay_alu instid0(VALU_DEP_1) | instskip(NEXT) | instid1(VALU_DEP_1)
	v_mul_u64_e32 v[46:47], v[42:43], v[44:45]
	v_dual_mov_b32 v48, v47 :: v_dual_mov_b32 v47, v6
	s_delay_alu instid0(VALU_DEP_1) | instskip(NEXT) | instid1(VALU_DEP_2)
	v_mul_u64_e32 v[52:53], v[40:41], v[48:49]
	v_mul_u64_e32 v[54:55], v[50:51], v[46:47]
	;; [unrolled: 1-line block ×3, first 2 shown]
	v_mul_hi_u32 v46, v40, v46
	s_delay_alu instid0(VALU_DEP_1) | instskip(NEXT) | instid1(VALU_DEP_1)
	v_add_nc_u64_e32 v[46:47], v[46:47], v[52:53]
	v_add_co_u32 v7, vcc_lo, v46, v54
	s_delay_alu instid0(VALU_DEP_2) | instskip(SKIP_1) | instid1(VALU_DEP_1)
	v_add_co_ci_u32_e32 v50, vcc_lo, v47, v55, vcc_lo
	v_add_co_ci_u32_e32 v49, vcc_lo, 0, v49, vcc_lo
	v_add_nc_u64_e32 v[46:47], v[50:51], v[48:49]
	s_delay_alu instid0(VALU_DEP_1) | instskip(NEXT) | instid1(VALU_DEP_1)
	v_add_co_u32 v40, vcc_lo, v40, v46
	v_add_co_ci_u32_e64 v44, null, v45, v47, vcc_lo
	v_dual_mov_b32 v47, v6 :: v_dual_mov_b32 v45, v6
	s_delay_alu instid0(VALU_DEP_2) | instskip(NEXT) | instid1(VALU_DEP_1)
	v_mov_b32_e32 v41, v44
	v_mul_u64_e32 v[42:43], v[42:43], v[40:41]
	s_delay_alu instid0(VALU_DEP_1) | instskip(NEXT) | instid1(VALU_DEP_2)
	v_dual_mov_b32 v41, v6 :: v_dual_mov_b32 v46, v43
	v_dual_mov_b32 v50, v42 :: v_dual_mov_b32 v43, v6
	v_mul_hi_u32 v42, v40, v42
	s_delay_alu instid0(VALU_DEP_3) | instskip(NEXT) | instid1(VALU_DEP_3)
	v_mul_u64_e32 v[48:49], v[40:41], v[46:47]
	v_mul_u64_e32 v[50:51], v[44:45], v[50:51]
	;; [unrolled: 1-line block ×3, first 2 shown]
	s_delay_alu instid0(VALU_DEP_3) | instskip(SKIP_1) | instid1(VALU_DEP_2)
	v_add_nc_u64_e32 v[42:43], v[42:43], v[48:49]
	v_mov_b32_e32 v49, v6
	v_add_co_u32 v7, vcc_lo, v42, v50
	s_delay_alu instid0(VALU_DEP_3) | instskip(SKIP_1) | instid1(VALU_DEP_1)
	v_add_co_ci_u32_e32 v48, vcc_lo, v43, v51, vcc_lo
	v_add_co_ci_u32_e32 v47, vcc_lo, 0, v47, vcc_lo
	v_add_nc_u64_e32 v[42:43], v[48:49], v[46:47]
	s_delay_alu instid0(VALU_DEP_1) | instskip(NEXT) | instid1(VALU_DEP_1)
	v_add_co_u32 v42, vcc_lo, v40, v42
	v_add_co_ci_u32_e64 v40, null, v44, v43, vcc_lo
	v_mov_b32_e32 v43, v6
	s_delay_alu instid0(VALU_DEP_2) | instskip(SKIP_1) | instid1(VALU_DEP_3)
	v_mul_u64_e32 v[44:45], s[28:29], v[40:41]
	v_mul_u64_e32 v[40:41], s[0:1], v[40:41]
	;; [unrolled: 1-line block ×3, first 2 shown]
	v_mul_hi_u32 v42, s26, v42
	s_delay_alu instid0(VALU_DEP_1) | instskip(SKIP_1) | instid1(VALU_DEP_2)
	v_add_nc_u64_e32 v[42:43], v[42:43], v[44:45]
	v_mov_b32_e32 v45, v6
	v_add_co_u32 v7, vcc_lo, v42, v46
	s_delay_alu instid0(VALU_DEP_3) | instskip(SKIP_1) | instid1(VALU_DEP_1)
	v_add_co_ci_u32_e32 v44, vcc_lo, v43, v47, vcc_lo
	v_add_co_ci_u32_e32 v41, vcc_lo, 0, v41, vcc_lo
	v_add_nc_u64_e32 v[40:41], v[44:45], v[40:41]
	s_delay_alu instid0(VALU_DEP_1) | instskip(SKIP_1) | instid1(VALU_DEP_2)
	v_mul_u64_e32 v[42:43], v[36:37], v[40:41]
	v_add_nc_u64_e32 v[44:45], 1, v[40:41]
	v_sub_nc_u32_e32 v7, s27, v43
	s_delay_alu instid0(VALU_DEP_3) | instskip(NEXT) | instid1(VALU_DEP_1)
	v_sub_co_u32 v39, vcc_lo, s26, v42
	v_sub_co_ci_u32_e64 v46, null, s27, v43, vcc_lo
	s_delay_alu instid0(VALU_DEP_3) | instskip(NEXT) | instid1(VALU_DEP_3)
	v_sub_co_ci_u32_e64 v7, null, v7, v37, vcc_lo
	v_sub_co_u32 v42, s0, v39, v36
	s_delay_alu instid0(VALU_DEP_1) | instskip(NEXT) | instid1(VALU_DEP_2)
	v_subrev_co_ci_u32_e64 v7, null, 0, v7, s0
	v_cmp_ge_u32_e32 vcc_lo, v42, v36
	v_cndmask_b32_e64 v42, 0, -1, vcc_lo
	s_delay_alu instid0(VALU_DEP_3)
	v_cmp_ge_u32_e32 vcc_lo, v7, v37
	v_cndmask_b32_e64 v43, 0, -1, vcc_lo
	v_cmp_ge_u32_e32 vcc_lo, v39, v36
	v_cndmask_b32_e64 v36, 0, -1, vcc_lo
	v_cmp_ge_u32_e32 vcc_lo, v46, v37
	v_cndmask_b32_e64 v39, 0, -1, vcc_lo
	v_cmp_eq_u32_e32 vcc_lo, v7, v37
	v_cndmask_b32_e32 v7, v43, v42, vcc_lo
	v_cmp_eq_u32_e32 vcc_lo, v46, v37
	v_add_nc_u64_e32 v[42:43], 2, v[40:41]
	v_cndmask_b32_e32 v36, v39, v36, vcc_lo
	s_delay_alu instid0(VALU_DEP_4) | instskip(NEXT) | instid1(VALU_DEP_3)
	v_cmp_ne_u32_e32 vcc_lo, 0, v7
	v_cndmask_b32_e32 v7, v45, v43, vcc_lo
	s_delay_alu instid0(VALU_DEP_3) | instskip(SKIP_1) | instid1(VALU_DEP_2)
	v_cmp_ne_u32_e64 s0, 0, v36
	v_cndmask_b32_e32 v37, v44, v42, vcc_lo
	v_dual_cndmask_b32 v7, v41, v7, s0 :: v_dual_bitop2_b32 v36, s22, v38 bitop3:0x14
	s_delay_alu instid0(VALU_DEP_1) | instskip(NEXT) | instid1(VALU_DEP_1)
	v_dual_cndmask_b32 v38, v40, v37, s0 :: v_dual_bitop2_b32 v39, v7, v36 bitop3:0x14
	v_dual_mov_b32 v37, v36 :: v_dual_bitop2_b32 v38, v38, v36 bitop3:0x14
	s_delay_alu instid0(VALU_DEP_1)
	v_sub_nc_u64_e32 v[38:39], v[38:39], v[36:37]
                                        ; implicit-def: $vgpr36_vgpr37
	s_and_not1_saveexec_b32 s0, s24
	s_cbranch_execz .LBB80_37
.LBB80_42:                              ;   in Loop: Header=BB80_25 Depth=1
	v_cvt_f32_u32_e32 v7, v36
	v_sub_nc_u32_e32 v37, 0, v36
	s_delay_alu instid0(VALU_DEP_2) | instskip(SKIP_1) | instid1(TRANS32_DEP_1)
	v_rcp_iflag_f32_e32 v7, v7
	v_nop
	v_mul_f32_e32 v7, 0x4f7ffffe, v7
	s_delay_alu instid0(VALU_DEP_1) | instskip(NEXT) | instid1(VALU_DEP_1)
	v_cvt_u32_f32_e32 v7, v7
	v_mul_lo_u32 v37, v37, v7
	s_delay_alu instid0(VALU_DEP_1) | instskip(NEXT) | instid1(VALU_DEP_1)
	v_mul_hi_u32 v37, v7, v37
	v_add_nc_u32_e32 v7, v7, v37
	s_delay_alu instid0(VALU_DEP_1) | instskip(NEXT) | instid1(VALU_DEP_1)
	v_mul_hi_u32 v7, s10, v7
	v_mul_lo_u32 v37, v7, v36
	s_delay_alu instid0(VALU_DEP_1) | instskip(NEXT) | instid1(VALU_DEP_1)
	v_dual_add_nc_u32 v38, 1, v7 :: v_dual_sub_nc_u32 v37, s10, v37
	v_cmp_ge_u32_e32 vcc_lo, v37, v36
	s_delay_alu instid0(VALU_DEP_2) | instskip(NEXT) | instid1(VALU_DEP_1)
	v_dual_sub_nc_u32 v39, v37, v36 :: v_dual_cndmask_b32 v7, v7, v38, vcc_lo
	v_add_nc_u32_e32 v38, 1, v7
	s_delay_alu instid0(VALU_DEP_2) | instskip(NEXT) | instid1(VALU_DEP_1)
	v_dual_cndmask_b32 v37, v37, v39, vcc_lo :: v_dual_mov_b32 v39, v6
	v_cmp_ge_u32_e32 vcc_lo, v37, v36
	s_delay_alu instid0(VALU_DEP_3) | instskip(SKIP_1) | instid1(SALU_CYCLE_1)
	v_cndmask_b32_e32 v38, v7, v38, vcc_lo
	s_or_b32 exec_lo, exec_lo, s0
	s_mov_b32 s24, exec_lo
	v_cmpx_lt_u64_e64 v[12:13], v[4:5]
	s_cbranch_execz .LBB80_38
.LBB80_43:                              ;   in Loop: Header=BB80_25 Depth=1
	v_or_b32_e32 v7, s11, v31
                                        ; implicit-def: $vgpr36_vgpr37
	s_mov_b32 s0, exec_lo
	s_delay_alu instid0(VALU_DEP_1)
	v_cmpx_ne_u64_e32 0, v[6:7]
	s_xor_b32 s25, exec_lo, s0
	s_cbranch_execz .LBB80_45
; %bb.44:                               ;   in Loop: Header=BB80_25 Depth=1
	v_dual_mov_b32 v41, v6 :: v_dual_ashrrev_i32 v36, 31, v31
	v_dual_mov_b32 v49, v6 :: v_dual_mov_b32 v51, v6
	s_mov_b32 s23, s22
	s_delay_alu instid0(VALU_DEP_2) | instskip(SKIP_1) | instid1(SALU_CYCLE_1)
	v_mov_b32_e32 v37, v36
	s_add_nc_u64 s[26:27], s[10:11], s[22:23]
	s_xor_b64 s[26:27], s[26:27], s[22:23]
	s_delay_alu instid0(SALU_CYCLE_1) | instskip(NEXT) | instid1(VALU_DEP_1)
	s_and_b64 s[28:29], s[26:27], s[16:17]
	v_add_nc_u64_e32 v[30:31], v[30:31], v[36:37]
	s_mov_b32 s0, s27
	s_delay_alu instid0(VALU_DEP_1) | instskip(NEXT) | instid1(VALU_DEP_2)
	v_xor_b32_e32 v30, v30, v36
	v_xor_b32_e32 v31, v31, v36
	s_delay_alu instid0(VALU_DEP_2) | instskip(NEXT) | instid1(VALU_DEP_2)
	v_cvt_f32_u32_e32 v7, v30
	v_cvt_f32_u32_e32 v37, v31
	s_delay_alu instid0(VALU_DEP_1) | instskip(NEXT) | instid1(VALU_DEP_1)
	v_fmac_f32_e32 v7, 0x4f800000, v37
	v_rcp_f32_e32 v7, v7
	v_nop
	s_delay_alu instid0(TRANS32_DEP_1) | instskip(NEXT) | instid1(VALU_DEP_1)
	v_mul_f32_e32 v7, 0x5f7ffffc, v7
	v_mul_f32_e32 v37, 0x2f800000, v7
	s_delay_alu instid0(VALU_DEP_1) | instskip(NEXT) | instid1(VALU_DEP_1)
	v_trunc_f32_e32 v37, v37
	v_fmac_f32_e32 v7, 0xcf800000, v37
	v_cvt_u32_f32_e32 v45, v37
	s_delay_alu instid0(VALU_DEP_2) | instskip(NEXT) | instid1(VALU_DEP_1)
	v_cvt_u32_f32_e32 v40, v7
	v_dual_mov_b32 v50, v45 :: v_dual_mov_b32 v44, v40
	v_sub_nc_u64_e32 v[42:43], 0, v[30:31]
	s_delay_alu instid0(VALU_DEP_1) | instskip(NEXT) | instid1(VALU_DEP_1)
	v_mul_u64_e32 v[46:47], v[42:43], v[44:45]
	v_dual_mov_b32 v48, v47 :: v_dual_mov_b32 v47, v6
	s_delay_alu instid0(VALU_DEP_1) | instskip(NEXT) | instid1(VALU_DEP_2)
	v_mul_u64_e32 v[52:53], v[40:41], v[48:49]
	v_mul_u64_e32 v[54:55], v[50:51], v[46:47]
	;; [unrolled: 1-line block ×3, first 2 shown]
	v_mul_hi_u32 v46, v40, v46
	s_delay_alu instid0(VALU_DEP_1) | instskip(NEXT) | instid1(VALU_DEP_1)
	v_add_nc_u64_e32 v[46:47], v[46:47], v[52:53]
	v_add_co_u32 v7, vcc_lo, v46, v54
	s_delay_alu instid0(VALU_DEP_2) | instskip(SKIP_1) | instid1(VALU_DEP_1)
	v_add_co_ci_u32_e32 v50, vcc_lo, v47, v55, vcc_lo
	v_add_co_ci_u32_e32 v49, vcc_lo, 0, v49, vcc_lo
	v_add_nc_u64_e32 v[46:47], v[50:51], v[48:49]
	s_delay_alu instid0(VALU_DEP_1) | instskip(NEXT) | instid1(VALU_DEP_1)
	v_add_co_u32 v40, vcc_lo, v40, v46
	v_add_co_ci_u32_e64 v44, null, v45, v47, vcc_lo
	v_dual_mov_b32 v47, v6 :: v_dual_mov_b32 v45, v6
	s_delay_alu instid0(VALU_DEP_2) | instskip(NEXT) | instid1(VALU_DEP_1)
	v_mov_b32_e32 v41, v44
	v_mul_u64_e32 v[42:43], v[42:43], v[40:41]
	s_delay_alu instid0(VALU_DEP_1) | instskip(NEXT) | instid1(VALU_DEP_2)
	v_dual_mov_b32 v41, v6 :: v_dual_mov_b32 v46, v43
	v_dual_mov_b32 v50, v42 :: v_dual_mov_b32 v43, v6
	v_mul_hi_u32 v42, v40, v42
	s_delay_alu instid0(VALU_DEP_3) | instskip(NEXT) | instid1(VALU_DEP_3)
	v_mul_u64_e32 v[48:49], v[40:41], v[46:47]
	v_mul_u64_e32 v[50:51], v[44:45], v[50:51]
	;; [unrolled: 1-line block ×3, first 2 shown]
	s_delay_alu instid0(VALU_DEP_3) | instskip(SKIP_1) | instid1(VALU_DEP_2)
	v_add_nc_u64_e32 v[42:43], v[42:43], v[48:49]
	v_mov_b32_e32 v49, v6
	v_add_co_u32 v7, vcc_lo, v42, v50
	s_delay_alu instid0(VALU_DEP_3) | instskip(SKIP_1) | instid1(VALU_DEP_1)
	v_add_co_ci_u32_e32 v48, vcc_lo, v43, v51, vcc_lo
	v_add_co_ci_u32_e32 v47, vcc_lo, 0, v47, vcc_lo
	v_add_nc_u64_e32 v[42:43], v[48:49], v[46:47]
	s_delay_alu instid0(VALU_DEP_1) | instskip(NEXT) | instid1(VALU_DEP_1)
	v_add_co_u32 v42, vcc_lo, v40, v42
	v_add_co_ci_u32_e64 v40, null, v44, v43, vcc_lo
	v_mov_b32_e32 v43, v6
	s_delay_alu instid0(VALU_DEP_2) | instskip(SKIP_1) | instid1(VALU_DEP_3)
	v_mul_u64_e32 v[44:45], s[28:29], v[40:41]
	v_mul_u64_e32 v[40:41], s[0:1], v[40:41]
	v_mul_u64_e32 v[46:47], s[0:1], v[42:43]
	v_mul_hi_u32 v42, s26, v42
	s_delay_alu instid0(VALU_DEP_1) | instskip(SKIP_1) | instid1(VALU_DEP_2)
	v_add_nc_u64_e32 v[42:43], v[42:43], v[44:45]
	v_mov_b32_e32 v45, v6
	v_add_co_u32 v7, vcc_lo, v42, v46
	s_delay_alu instid0(VALU_DEP_3) | instskip(SKIP_1) | instid1(VALU_DEP_1)
	v_add_co_ci_u32_e32 v44, vcc_lo, v43, v47, vcc_lo
	v_add_co_ci_u32_e32 v41, vcc_lo, 0, v41, vcc_lo
	v_add_nc_u64_e32 v[40:41], v[44:45], v[40:41]
	s_delay_alu instid0(VALU_DEP_1) | instskip(SKIP_1) | instid1(VALU_DEP_2)
	v_mul_u64_e32 v[42:43], v[30:31], v[40:41]
	v_add_nc_u64_e32 v[44:45], 1, v[40:41]
	v_sub_nc_u32_e32 v7, s27, v43
	s_delay_alu instid0(VALU_DEP_3) | instskip(NEXT) | instid1(VALU_DEP_1)
	v_sub_co_u32 v37, vcc_lo, s26, v42
	v_sub_co_ci_u32_e64 v46, null, s27, v43, vcc_lo
	s_delay_alu instid0(VALU_DEP_3) | instskip(NEXT) | instid1(VALU_DEP_3)
	v_sub_co_ci_u32_e64 v7, null, v7, v31, vcc_lo
	v_sub_co_u32 v42, s0, v37, v30
	s_delay_alu instid0(VALU_DEP_1) | instskip(NEXT) | instid1(VALU_DEP_2)
	v_subrev_co_ci_u32_e64 v7, null, 0, v7, s0
	v_cmp_ge_u32_e32 vcc_lo, v42, v30
	v_cndmask_b32_e64 v42, 0, -1, vcc_lo
	s_delay_alu instid0(VALU_DEP_3)
	v_cmp_ge_u32_e32 vcc_lo, v7, v31
	v_cndmask_b32_e64 v43, 0, -1, vcc_lo
	v_cmp_ge_u32_e32 vcc_lo, v37, v30
	v_cndmask_b32_e64 v30, 0, -1, vcc_lo
	;; [unrolled: 2-line block ×3, first 2 shown]
	v_cmp_eq_u32_e32 vcc_lo, v7, v31
	v_cndmask_b32_e32 v7, v43, v42, vcc_lo
	v_cmp_eq_u32_e32 vcc_lo, v46, v31
	v_add_nc_u64_e32 v[42:43], 2, v[40:41]
	v_cndmask_b32_e32 v30, v37, v30, vcc_lo
	s_delay_alu instid0(VALU_DEP_4) | instskip(NEXT) | instid1(VALU_DEP_2)
	v_cmp_ne_u32_e32 vcc_lo, 0, v7
	v_cmp_ne_u32_e64 s0, 0, v30
	s_delay_alu instid0(VALU_DEP_4) | instskip(NEXT) | instid1(VALU_DEP_1)
	v_dual_cndmask_b32 v7, v45, v43, vcc_lo :: v_dual_bitop2_b32 v30, s22, v36 bitop3:0x14
	v_dual_cndmask_b32 v31, v44, v42, vcc_lo :: v_dual_cndmask_b32 v7, v41, v7, s0
	s_delay_alu instid0(VALU_DEP_1) | instskip(NEXT) | instid1(VALU_DEP_2)
	v_dual_cndmask_b32 v36, v40, v31, s0 :: v_dual_mov_b32 v31, v30
	v_xor_b32_e32 v37, v7, v30
	s_delay_alu instid0(VALU_DEP_2) | instskip(NEXT) | instid1(VALU_DEP_1)
	v_xor_b32_e32 v36, v36, v30
	v_sub_nc_u64_e32 v[36:37], v[36:37], v[30:31]
                                        ; implicit-def: $vgpr30_vgpr31
.LBB80_45:                              ;   in Loop: Header=BB80_25 Depth=1
	s_and_not1_saveexec_b32 s0, s25
	s_cbranch_execz .LBB80_47
; %bb.46:                               ;   in Loop: Header=BB80_25 Depth=1
	v_cvt_f32_u32_e32 v7, v30
	v_sub_nc_u32_e32 v31, 0, v30
	s_delay_alu instid0(VALU_DEP_2) | instskip(SKIP_1) | instid1(TRANS32_DEP_1)
	v_rcp_iflag_f32_e32 v7, v7
	v_nop
	v_mul_f32_e32 v7, 0x4f7ffffe, v7
	s_delay_alu instid0(VALU_DEP_1) | instskip(NEXT) | instid1(VALU_DEP_1)
	v_cvt_u32_f32_e32 v7, v7
	v_mul_lo_u32 v31, v31, v7
	s_delay_alu instid0(VALU_DEP_1) | instskip(NEXT) | instid1(VALU_DEP_1)
	v_mul_hi_u32 v31, v7, v31
	v_add_nc_u32_e32 v7, v7, v31
	s_delay_alu instid0(VALU_DEP_1) | instskip(NEXT) | instid1(VALU_DEP_1)
	v_mul_hi_u32 v7, s10, v7
	v_mul_lo_u32 v31, v7, v30
	v_add_nc_u32_e32 v36, 1, v7
	s_delay_alu instid0(VALU_DEP_2) | instskip(NEXT) | instid1(VALU_DEP_1)
	v_sub_nc_u32_e32 v31, s10, v31
	v_cmp_ge_u32_e32 vcc_lo, v31, v30
	s_delay_alu instid0(VALU_DEP_3) | instskip(NEXT) | instid1(VALU_DEP_1)
	v_cndmask_b32_e32 v7, v7, v36, vcc_lo
	v_dual_sub_nc_u32 v37, v31, v30 :: v_dual_add_nc_u32 v36, 1, v7
	s_delay_alu instid0(VALU_DEP_1) | instskip(NEXT) | instid1(VALU_DEP_1)
	v_dual_cndmask_b32 v31, v31, v37, vcc_lo :: v_dual_mov_b32 v37, v6
	v_cmp_ge_u32_e32 vcc_lo, v31, v30
	s_delay_alu instid0(VALU_DEP_3)
	v_cndmask_b32_e32 v36, v7, v36, vcc_lo
.LBB80_47:                              ;   in Loop: Header=BB80_25 Depth=1
	s_or_b32 exec_lo, exec_lo, s0
	s_delay_alu instid0(VALU_DEP_1) | instskip(SKIP_1) | instid1(VALU_DEP_2)
	v_mad_nc_u64_u32 v[20:21], v36, s8, v[20:21]
	v_lshl_add_u64 v[12:13], v[12:13], 3, s[6:7]
	v_mad_u32 v7, v37, s8, v21
	s_delay_alu instid0(VALU_DEP_1) | instskip(SKIP_3) | instid1(SALU_CYCLE_1)
	v_mad_u32 v21, v36, s9, v7
	global_store_b64 v[12:13], v[20:21], off
	s_wait_xcnt 0x0
	s_or_b32 exec_lo, exec_lo, s24
	s_mov_b32 s0, exec_lo
	v_cmpx_lt_u64_e64 v[22:23], v[4:5]
	s_cbranch_execz .LBB80_39
.LBB80_48:                              ;   in Loop: Header=BB80_25 Depth=1
	v_mad_nc_u64_u32 v[12:13], v32, s8, v[28:29]
	s_delay_alu instid0(VALU_DEP_1) | instskip(NEXT) | instid1(VALU_DEP_1)
	v_mad_u32 v7, v33, s8, v13
	v_mad_u32 v13, v32, s9, v7
	global_store_b64 v[26:27], v[12:13], off
	s_wait_xcnt 0x0
	s_or_b32 exec_lo, exec_lo, s0
	s_delay_alu instid0(SALU_CYCLE_1)
	s_mov_b32 s0, exec_lo
	v_cmpx_lt_u64_e64 v[16:17], v[4:5]
	s_cbranch_execz .LBB80_40
.LBB80_49:                              ;   in Loop: Header=BB80_25 Depth=1
	v_mad_nc_u64_u32 v[12:13], v34, s8, v[24:25]
	s_delay_alu instid0(VALU_DEP_1) | instskip(NEXT) | instid1(VALU_DEP_1)
	v_mad_u32 v7, v35, s8, v13
	v_mad_u32 v13, v34, s9, v7
	global_store_b64 v[18:19], v[12:13], off
	s_wait_xcnt 0x0
	s_or_b32 exec_lo, exec_lo, s0
	s_delay_alu instid0(SALU_CYCLE_1)
	s_mov_b32 s0, exec_lo
	v_cmpx_lt_u64_e64 v[10:11], v[4:5]
	s_cbranch_execz .LBB80_24
.LBB80_50:                              ;   in Loop: Header=BB80_25 Depth=1
	v_mad_nc_u64_u32 v[10:11], v38, s8, v[14:15]
	s_delay_alu instid0(VALU_DEP_1) | instskip(NEXT) | instid1(VALU_DEP_1)
	v_mad_u32 v7, v39, s8, v11
	v_mad_u32 v11, v38, s9, v7
	global_store_b64 v[8:9], v[10:11], off
	s_branch .LBB80_24
.LBB80_51:
	s_endpgm
	.section	.rodata,"a",@progbits
	.p2align	6, 0x0
	.amdhsa_kernel _ZN2at6native12_GLOBAL__N_125multi_tensor_apply_kernelINS1_18TensorListMetadataILi3EEENS1_32PointwiseOpScalar0dTensorFunctorIlLi3ELi2ELi0EEEJSt7dividesIlElEEEvT_T0_DpT1_
		.amdhsa_group_segment_fixed_size 0
		.amdhsa_private_segment_fixed_size 0
		.amdhsa_kernarg_size 3416
		.amdhsa_user_sgpr_count 2
		.amdhsa_user_sgpr_dispatch_ptr 0
		.amdhsa_user_sgpr_queue_ptr 0
		.amdhsa_user_sgpr_kernarg_segment_ptr 1
		.amdhsa_user_sgpr_dispatch_id 0
		.amdhsa_user_sgpr_kernarg_preload_length 0
		.amdhsa_user_sgpr_kernarg_preload_offset 0
		.amdhsa_user_sgpr_private_segment_size 0
		.amdhsa_wavefront_size32 1
		.amdhsa_uses_dynamic_stack 0
		.amdhsa_enable_private_segment 0
		.amdhsa_system_sgpr_workgroup_id_x 1
		.amdhsa_system_sgpr_workgroup_id_y 0
		.amdhsa_system_sgpr_workgroup_id_z 0
		.amdhsa_system_sgpr_workgroup_info 0
		.amdhsa_system_vgpr_workitem_id 0
		.amdhsa_next_free_vgpr 56
		.amdhsa_next_free_sgpr 36
		.amdhsa_named_barrier_count 0
		.amdhsa_reserve_vcc 1
		.amdhsa_float_round_mode_32 0
		.amdhsa_float_round_mode_16_64 0
		.amdhsa_float_denorm_mode_32 3
		.amdhsa_float_denorm_mode_16_64 3
		.amdhsa_fp16_overflow 0
		.amdhsa_memory_ordered 1
		.amdhsa_forward_progress 1
		.amdhsa_inst_pref_size 64
		.amdhsa_round_robin_scheduling 0
		.amdhsa_exception_fp_ieee_invalid_op 0
		.amdhsa_exception_fp_denorm_src 0
		.amdhsa_exception_fp_ieee_div_zero 0
		.amdhsa_exception_fp_ieee_overflow 0
		.amdhsa_exception_fp_ieee_underflow 0
		.amdhsa_exception_fp_ieee_inexact 0
		.amdhsa_exception_int_div_zero 0
	.end_amdhsa_kernel
	.section	.text._ZN2at6native12_GLOBAL__N_125multi_tensor_apply_kernelINS1_18TensorListMetadataILi3EEENS1_32PointwiseOpScalar0dTensorFunctorIlLi3ELi2ELi0EEEJSt7dividesIlElEEEvT_T0_DpT1_,"axG",@progbits,_ZN2at6native12_GLOBAL__N_125multi_tensor_apply_kernelINS1_18TensorListMetadataILi3EEENS1_32PointwiseOpScalar0dTensorFunctorIlLi3ELi2ELi0EEEJSt7dividesIlElEEEvT_T0_DpT1_,comdat
.Lfunc_end80:
	.size	_ZN2at6native12_GLOBAL__N_125multi_tensor_apply_kernelINS1_18TensorListMetadataILi3EEENS1_32PointwiseOpScalar0dTensorFunctorIlLi3ELi2ELi0EEEJSt7dividesIlElEEEvT_T0_DpT1_, .Lfunc_end80-_ZN2at6native12_GLOBAL__N_125multi_tensor_apply_kernelINS1_18TensorListMetadataILi3EEENS1_32PointwiseOpScalar0dTensorFunctorIlLi3ELi2ELi0EEEJSt7dividesIlElEEEvT_T0_DpT1_
                                        ; -- End function
	.set _ZN2at6native12_GLOBAL__N_125multi_tensor_apply_kernelINS1_18TensorListMetadataILi3EEENS1_32PointwiseOpScalar0dTensorFunctorIlLi3ELi2ELi0EEEJSt7dividesIlElEEEvT_T0_DpT1_.num_vgpr, 56
	.set _ZN2at6native12_GLOBAL__N_125multi_tensor_apply_kernelINS1_18TensorListMetadataILi3EEENS1_32PointwiseOpScalar0dTensorFunctorIlLi3ELi2ELi0EEEJSt7dividesIlElEEEvT_T0_DpT1_.num_agpr, 0
	.set _ZN2at6native12_GLOBAL__N_125multi_tensor_apply_kernelINS1_18TensorListMetadataILi3EEENS1_32PointwiseOpScalar0dTensorFunctorIlLi3ELi2ELi0EEEJSt7dividesIlElEEEvT_T0_DpT1_.numbered_sgpr, 36
	.set _ZN2at6native12_GLOBAL__N_125multi_tensor_apply_kernelINS1_18TensorListMetadataILi3EEENS1_32PointwiseOpScalar0dTensorFunctorIlLi3ELi2ELi0EEEJSt7dividesIlElEEEvT_T0_DpT1_.num_named_barrier, 0
	.set _ZN2at6native12_GLOBAL__N_125multi_tensor_apply_kernelINS1_18TensorListMetadataILi3EEENS1_32PointwiseOpScalar0dTensorFunctorIlLi3ELi2ELi0EEEJSt7dividesIlElEEEvT_T0_DpT1_.private_seg_size, 0
	.set _ZN2at6native12_GLOBAL__N_125multi_tensor_apply_kernelINS1_18TensorListMetadataILi3EEENS1_32PointwiseOpScalar0dTensorFunctorIlLi3ELi2ELi0EEEJSt7dividesIlElEEEvT_T0_DpT1_.uses_vcc, 1
	.set _ZN2at6native12_GLOBAL__N_125multi_tensor_apply_kernelINS1_18TensorListMetadataILi3EEENS1_32PointwiseOpScalar0dTensorFunctorIlLi3ELi2ELi0EEEJSt7dividesIlElEEEvT_T0_DpT1_.uses_flat_scratch, 0
	.set _ZN2at6native12_GLOBAL__N_125multi_tensor_apply_kernelINS1_18TensorListMetadataILi3EEENS1_32PointwiseOpScalar0dTensorFunctorIlLi3ELi2ELi0EEEJSt7dividesIlElEEEvT_T0_DpT1_.has_dyn_sized_stack, 0
	.set _ZN2at6native12_GLOBAL__N_125multi_tensor_apply_kernelINS1_18TensorListMetadataILi3EEENS1_32PointwiseOpScalar0dTensorFunctorIlLi3ELi2ELi0EEEJSt7dividesIlElEEEvT_T0_DpT1_.has_recursion, 0
	.set _ZN2at6native12_GLOBAL__N_125multi_tensor_apply_kernelINS1_18TensorListMetadataILi3EEENS1_32PointwiseOpScalar0dTensorFunctorIlLi3ELi2ELi0EEEJSt7dividesIlElEEEvT_T0_DpT1_.has_indirect_call, 0
	.section	.AMDGPU.csdata,"",@progbits
; Kernel info:
; codeLenInByte = 8096
; TotalNumSgprs: 38
; NumVgprs: 56
; ScratchSize: 0
; MemoryBound: 0
; FloatMode: 240
; IeeeMode: 1
; LDSByteSize: 0 bytes/workgroup (compile time only)
; SGPRBlocks: 0
; VGPRBlocks: 3
; NumSGPRsForWavesPerEU: 38
; NumVGPRsForWavesPerEU: 56
; NamedBarCnt: 0
; Occupancy: 16
; WaveLimiterHint : 0
; COMPUTE_PGM_RSRC2:SCRATCH_EN: 0
; COMPUTE_PGM_RSRC2:USER_SGPR: 2
; COMPUTE_PGM_RSRC2:TRAP_HANDLER: 0
; COMPUTE_PGM_RSRC2:TGID_X_EN: 1
; COMPUTE_PGM_RSRC2:TGID_Y_EN: 0
; COMPUTE_PGM_RSRC2:TGID_Z_EN: 0
; COMPUTE_PGM_RSRC2:TIDIG_COMP_CNT: 0
	.section	.text._ZN2at6native12_GLOBAL__N_125multi_tensor_apply_kernelINS1_18TensorListMetadataILi3EEENS1_32PointwiseOpScalar0dTensorFunctorIsLi3ELi2ELi0EEEJSt7dividesIsEsEEEvT_T0_DpT1_,"axG",@progbits,_ZN2at6native12_GLOBAL__N_125multi_tensor_apply_kernelINS1_18TensorListMetadataILi3EEENS1_32PointwiseOpScalar0dTensorFunctorIsLi3ELi2ELi0EEEJSt7dividesIsEsEEEvT_T0_DpT1_,comdat
	.globl	_ZN2at6native12_GLOBAL__N_125multi_tensor_apply_kernelINS1_18TensorListMetadataILi3EEENS1_32PointwiseOpScalar0dTensorFunctorIsLi3ELi2ELi0EEEJSt7dividesIsEsEEEvT_T0_DpT1_ ; -- Begin function _ZN2at6native12_GLOBAL__N_125multi_tensor_apply_kernelINS1_18TensorListMetadataILi3EEENS1_32PointwiseOpScalar0dTensorFunctorIsLi3ELi2ELi0EEEJSt7dividesIsEsEEEvT_T0_DpT1_
	.p2align	8
	.type	_ZN2at6native12_GLOBAL__N_125multi_tensor_apply_kernelINS1_18TensorListMetadataILi3EEENS1_32PointwiseOpScalar0dTensorFunctorIsLi3ELi2ELi0EEEJSt7dividesIsEsEEEvT_T0_DpT1_,@function
_ZN2at6native12_GLOBAL__N_125multi_tensor_apply_kernelINS1_18TensorListMetadataILi3EEENS1_32PointwiseOpScalar0dTensorFunctorIsLi3ELi2ELi0EEEJSt7dividesIsEsEEEvT_T0_DpT1_: ; @_ZN2at6native12_GLOBAL__N_125multi_tensor_apply_kernelINS1_18TensorListMetadataILi3EEENS1_32PointwiseOpScalar0dTensorFunctorIsLi3ELi2ELi0EEEJSt7dividesIsEsEEEvT_T0_DpT1_
; %bb.0:
	s_load_b32 s2, s[0:1], 0xc48
	s_bfe_u32 s3, ttmp6, 0x4000c
	s_and_b32 s4, ttmp6, 15
	s_add_co_i32 s3, s3, 1
	s_getreg_b32 s5, hwreg(HW_REG_IB_STS2, 6, 4)
	s_mul_i32 s3, ttmp9, s3
	s_mov_b32 s11, 0
	s_add_co_i32 s4, s4, s3
	s_wait_kmcnt 0x0
	s_lshr_b32 s16, s2, 16
	s_cmp_eq_u32 s5, 0
	s_cselect_b32 s10, ttmp9, s4
	s_load_u8 s13, s[0:1], s10 offset:0x600
	s_add_nc_u64 s[2:3], s[0:1], s[10:11]
	s_mul_u64 s[4:5], s[10:11], 3
	s_delay_alu instid0(SALU_CYCLE_1)
	s_add_nc_u64 s[2:3], s[2:3], s[4:5]
	s_load_b32 s12, s[2:3], 0x740
	s_wait_kmcnt 0x0
	s_clause 0x3
	s_load_b64 s[18:19], s[0:1], s13 offset:0x180 scale_offset
	s_load_b64 s[6:7], s[0:1], s13 offset:0x300 scale_offset
	;; [unrolled: 1-line block ×4, first 2 shown]
	s_wait_xcnt 0x0
	s_ashr_i32 s13, s12, 31
	s_wait_kmcnt 0x0
	s_load_i16 s17, s[18:19], 0x0
	s_lshl_b64 s[14:15], s[12:13], 17
	s_delay_alu instid0(SALU_CYCLE_1) | instskip(SKIP_1) | instid1(SALU_CYCLE_1)
	s_add_nc_u64 s[4:5], s[18:19], s[14:15]
	s_add_nc_u64 s[2:3], s[6:7], s[14:15]
	s_or_b32 s10, s2, s4
	s_add_nc_u64 s[4:5], s[8:9], s[14:15]
	s_and_b32 s10, s10, 7
	s_and_b64 s[22:23], s[4:5], 7
	s_cmp_lg_u32 s10, 0
	s_cselect_b32 s24, -1, 0
	s_and_b32 s10, s20, 3
	s_lshl_b64 s[12:13], s[12:13], 16
	s_or_b64 s[10:11], s[22:23], s[10:11]
	s_delay_alu instid0(SALU_CYCLE_1)
	s_cmp_lg_u64 s[10:11], 0
	s_cselect_b32 s10, -1, 0
	s_wait_xcnt 0x0
	s_or_b32 s18, s24, s10
	s_sub_nc_u64 s[10:11], s[20:21], s[12:13]
	s_and_not1_b32 vcc_lo, exec_lo, s18
	s_mov_b32 s12, -1
	s_cbranch_vccz .LBB81_5
; %bb.1:
	v_min_i64 v[2:3], 0x10000, s[10:11]
	v_dual_mov_b32 v5, 0 :: v_dual_lshlrev_b32 v4, 2, v0
	s_mov_b32 s18, exec_lo
	s_delay_alu instid0(VALU_DEP_1)
	v_cmpx_lt_i64_e64 v[4:5], v[2:3]
	s_cbranch_execz .LBB81_4
; %bb.2:
	s_load_b32 s12, s[0:1], 0xc5c
	v_dual_mov_b32 v1, v5 :: v_dual_lshlrev_b32 v4, 3, v0
	s_mov_b32 s13, 0
	s_wait_kmcnt 0x0
	s_cvt_f32_i32 s19, s17
	s_mov_b32 s20, s13
	v_add_nc_u64_e32 v[4:5], s[14:15], v[4:5]
	v_mov_b64_e32 v[6:7], v[0:1]
	s_mov_b32 s15, s13
	s_and_b32 s12, s12, 0xffff
	s_delay_alu instid0(SALU_CYCLE_1)
	s_lshl_b32 s14, s12, 3
.LBB81_3:                               ; =>This Inner Loop Header: Depth=1
	s_delay_alu instid0(VALU_DEP_2) | instskip(SKIP_1) | instid1(VALU_DEP_3)
	v_add_nc_u64_e32 v[8:9], s[6:7], v[4:5]
	v_add_nc_u64_e32 v[10:11], s[8:9], v[4:5]
	;; [unrolled: 1-line block ×4, first 2 shown]
	global_load_b64 v[12:13], v[8:9], off
	global_load_b64 v[14:15], v[10:11], off
	s_wait_loadcnt 0x1
	v_bfe_i32 v1, v12, 0, 16
	s_wait_loadcnt 0x0
	s_wait_xcnt 0x1
	v_dual_lshrrev_b32 v8, 16, v14 :: v_dual_ashrrev_i32 v9, 16, v12
	v_alignbit_b32 v12, v13, v12, 16
	s_delay_alu instid0(VALU_DEP_1) | instskip(NEXT) | instid1(VALU_DEP_1)
	v_dual_ashrrev_i32 v13, 16, v13 :: v_dual_ashrrev_i32 v12, 16, v12
	v_xor_b32_e32 v18, s17, v13
	v_xor_b32_e32 v16, s17, v1
	v_cvt_f32_i32_e32 v1, v1
	v_cvt_f32_i32_e32 v13, v13
	v_xor_b32_e32 v21, s17, v12
	v_cvt_f32_i32_e32 v12, v12
	s_delay_alu instid0(VALU_DEP_4) | instskip(NEXT) | instid1(VALU_DEP_3)
	v_rcp_iflag_f32_e32 v19, v1
	v_rcp_iflag_f32_e32 v22, v13
	s_delay_alu instid0(VALU_DEP_2) | instskip(NEXT) | instid1(VALU_DEP_2)
	v_ashrrev_i32_e32 v21, 30, v21
	v_rcp_iflag_f32_e32 v23, v12
	s_delay_alu instid0(TRANS32_DEP_3) | instskip(SKIP_2) | instid1(VALU_DEP_3)
	v_dual_mul_f32 v19, s19, v19 :: v_dual_ashrrev_i32 v18, 30, v18
	v_dual_ashrrev_i32 v16, 30, v16 :: v_dual_bitop2_b32 v17, s17, v9 bitop3:0x14
	v_cvt_f32_i32_e32 v9, v9
	v_trunc_f32_e32 v19, v19
	v_dual_mul_f32 v22, s19, v22 :: v_dual_bitop2_b32 v21, 1, v21 bitop3:0x54
	s_delay_alu instid0(VALU_DEP_4) | instskip(NEXT) | instid1(VALU_DEP_4)
	v_ashrrev_i32_e32 v17, 30, v17
	v_rcp_iflag_f32_e32 v20, v9
	v_or_b32_e32 v16, 1, v16
	v_fma_f32 v24, -v19, v1, s19
	v_dual_mul_f32 v23, s19, v23 :: v_dual_bitop2_b32 v18, 1, v18 bitop3:0x54
	v_or_b32_e32 v17, 1, v17
	v_trunc_f32_e32 v22, v22
	s_delay_alu instid0(TRANS32_DEP_1)
	v_mul_f32_e32 v20, s19, v20
	v_cmp_ge_f32_e64 vcc_lo, |v24|, |v1|
	v_trunc_f32_e32 v23, v23
	v_cvt_i32_f32_e32 v19, v19
	v_fma_f32 v26, -v22, v13, s19
	v_trunc_f32_e32 v20, v20
	v_cndmask_b32_e32 v1, 0, v16, vcc_lo
	v_fma_f32 v16, -v23, v12, s19
	v_cvt_i32_f32_e32 v22, v22
	s_delay_alu instid0(VALU_DEP_4) | instskip(SKIP_1) | instid1(VALU_DEP_2)
	v_fma_f32 v25, -v20, v9, s19
	v_cvt_i32_f32_e32 v20, v20
	v_cmp_ge_f32_e64 vcc_lo, |v25|, |v9|
	v_cndmask_b32_e32 v9, 0, v17, vcc_lo
	v_cmp_ge_f32_e64 vcc_lo, |v26|, |v13|
	v_cvt_i32_f32_e32 v17, v23
	s_delay_alu instid0(VALU_DEP_2) | instskip(SKIP_2) | instid1(VALU_DEP_3)
	v_dual_add_nc_u32 v1, v19, v1 :: v_dual_cndmask_b32 v13, 0, v18, vcc_lo
	v_cmp_ge_f32_e64 vcc_lo, |v16|, |v12|
	v_lshrrev_b32_e32 v16, 16, v15
	v_mad_u16 v1, s16, v1, v14
	v_cndmask_b32_e32 v12, 0, v21, vcc_lo
	v_add_nc_u32_e32 v9, v20, v9
	s_delay_alu instid0(VALU_DEP_3) | instskip(NEXT) | instid1(VALU_DEP_3)
	v_and_b32_e32 v1, 0xffff, v1
	v_add_nc_u32_e32 v12, v17, v12
	s_delay_alu instid0(VALU_DEP_3) | instskip(SKIP_2) | instid1(VALU_DEP_4)
	v_mad_u16 v14, s16, v9, v8
	v_add_nc_u32_e32 v13, v22, v13
	v_lshlrev_b64_e32 v[8:9], 2, v[6:7]
	v_mad_u16 v12, s16, v12, v15
	s_delay_alu instid0(VALU_DEP_4) | instskip(NEXT) | instid1(VALU_DEP_4)
	v_lshlrev_b32_e32 v14, 16, v14
	v_mad_u16 v13, s16, v13, v16
	s_delay_alu instid0(VALU_DEP_3) | instskip(NEXT) | instid1(VALU_DEP_3)
	v_and_b32_e32 v12, 0xffff, v12
	v_or_b32_e32 v1, v14, v1
	s_delay_alu instid0(VALU_DEP_3) | instskip(SKIP_1) | instid1(VALU_DEP_3)
	v_lshlrev_b32_e32 v13, 16, v13
	v_cmp_ge_i64_e32 vcc_lo, v[8:9], v[2:3]
	v_or3_b32 v8, 0, v1, 0
	s_delay_alu instid0(VALU_DEP_3)
	v_or3_b32 v9, v12, 0, v13
	s_or_b32 s20, vcc_lo, s20
	global_store_b64 v[10:11], v[8:9], off
	s_wait_xcnt 0x0
	s_and_not1_b32 exec_lo, exec_lo, s20
	s_cbranch_execnz .LBB81_3
.LBB81_4:
	s_or_b32 exec_lo, exec_lo, s18
	s_mov_b32 s12, 0
.LBB81_5:
	s_delay_alu instid0(SALU_CYCLE_1)
	s_and_not1_b32 vcc_lo, exec_lo, s12
	s_cbranch_vccnz .LBB81_25
; %bb.6:
	v_cmp_lt_i64_e64 s6, s[10:11], 1
	s_and_b32 vcc_lo, exec_lo, s6
	s_cbranch_vccnz .LBB81_25
; %bb.7:
	v_min_i64 v[2:3], 0x10000, s[10:11]
	v_min_u64 v[4:5], 0x10000, s[10:11]
	s_load_b32 s0, s[0:1], 0xc5c
	v_mov_b32_e32 v1, 0
	s_wait_xcnt 0x0
	s_mov_b32 s1, 0
	s_wait_kmcnt 0x0
	s_cvt_f32_i32 s14, s17
	s_mov_b32 s7, s1
	s_mov_b32 s9, s1
	;; [unrolled: 1-line block ×3, first 2 shown]
	s_mov_b64 s[12:13], 0
	s_and_b32 s0, s0, 0xffff
	s_delay_alu instid0(SALU_CYCLE_1)
	s_lshl_b32 s6, s0, 1
	s_mul_i32 s8, s0, 3
	s_lshl_b32 s10, s0, 2
	s_branch .LBB81_9
.LBB81_8:                               ;   in Loop: Header=BB81_9 Depth=1
	s_wait_xcnt 0x0
	s_or_b32 exec_lo, exec_lo, s15
	s_add_nc_u64 s[12:13], s[12:13], s[10:11]
	s_delay_alu instid0(SALU_CYCLE_1)
	v_cmp_ge_i64_e32 vcc_lo, s[12:13], v[2:3]
	s_cbranch_vccnz .LBB81_25
.LBB81_9:                               ; =>This Inner Loop Header: Depth=1
	v_add_nc_u64_e32 v[10:11], s[12:13], v[0:1]
	v_mov_b64_e32 v[8:9], 0
	v_mov_b64_e32 v[6:7], 0
	s_mov_b32 s15, exec_lo
	s_delay_alu instid0(VALU_DEP_3)
	v_cmpx_lt_i64_e64 v[10:11], v[2:3]
	s_cbranch_execz .LBB81_11
; %bb.10:                               ;   in Loop: Header=BB81_9 Depth=1
	v_lshlrev_b64_e32 v[6:7], 1, v[10:11]
	s_delay_alu instid0(VALU_DEP_1)
	v_add_nc_u64_e32 v[8:9], s[4:5], v[6:7]
	v_add_nc_u64_e32 v[6:7], s[2:3], v[6:7]
	global_load_u16 v12, v[8:9], off
	global_load_u16 v13, v[6:7], off
	s_wait_xcnt 0x0
	v_dual_mov_b32 v7, s1 :: v_dual_mov_b32 v9, s1
	s_wait_loadcnt 0x1
	v_and_b32_e32 v6, 0xffff, v12
	s_wait_loadcnt 0x0
	v_and_b32_e32 v8, 0xffff, v13
.LBB81_11:                              ;   in Loop: Header=BB81_9 Depth=1
	s_or_b32 exec_lo, exec_lo, s15
	v_add_nc_u64_e32 v[12:13], s[0:1], v[10:11]
	s_mov_b32 s15, exec_lo
	s_delay_alu instid0(VALU_DEP_1)
	v_cmpx_lt_i64_e64 v[12:13], v[2:3]
	s_cbranch_execz .LBB81_13
; %bb.12:                               ;   in Loop: Header=BB81_9 Depth=1
	v_lshlrev_b64_e32 v[14:15], 1, v[12:13]
	s_delay_alu instid0(VALU_DEP_1)
	v_add_nc_u64_e32 v[16:17], s[4:5], v[14:15]
	v_add_nc_u64_e32 v[14:15], s[2:3], v[14:15]
	global_load_u16 v18, v[16:17], off
	global_load_u16 v19, v[14:15], off
	s_wait_loadcnt 0x1
	v_lshl_or_b32 v6, v18, 16, v6
	s_wait_loadcnt 0x0
	v_lshl_or_b32 v8, v19, 16, v8
.LBB81_13:                              ;   in Loop: Header=BB81_9 Depth=1
	s_wait_xcnt 0x0
	s_or_b32 exec_lo, exec_lo, s15
	v_add_nc_u64_e32 v[14:15], s[6:7], v[10:11]
	s_mov_b32 s15, exec_lo
	s_delay_alu instid0(VALU_DEP_1)
	v_cmpx_lt_i64_e64 v[14:15], v[2:3]
	s_cbranch_execz .LBB81_15
; %bb.14:                               ;   in Loop: Header=BB81_9 Depth=1
	v_lshlrev_b64_e32 v[16:17], 1, v[14:15]
	s_delay_alu instid0(VALU_DEP_1)
	v_add_nc_u64_e32 v[18:19], s[4:5], v[16:17]
	v_add_nc_u64_e32 v[16:17], s[2:3], v[16:17]
	global_load_u16 v20, v[18:19], off
	global_load_u16 v21, v[16:17], off
	s_wait_loadcnt 0x1
	v_or_b32_e32 v7, v20, v7
	s_wait_loadcnt 0x0
	v_or_b32_e32 v9, v21, v9
.LBB81_15:                              ;   in Loop: Header=BB81_9 Depth=1
	s_wait_xcnt 0x0
	s_or_b32 exec_lo, exec_lo, s15
	v_add_nc_u64_e32 v[16:17], s[8:9], v[10:11]
	s_mov_b32 s15, exec_lo
	s_delay_alu instid0(VALU_DEP_1)
	v_cmpx_lt_i64_e64 v[16:17], v[2:3]
	s_cbranch_execnz .LBB81_20
; %bb.16:                               ;   in Loop: Header=BB81_9 Depth=1
	s_or_b32 exec_lo, exec_lo, s15
	s_delay_alu instid0(SALU_CYCLE_1)
	s_mov_b32 s15, exec_lo
	v_cmpx_lt_u64_e64 v[10:11], v[4:5]
	s_cbranch_execnz .LBB81_21
.LBB81_17:                              ;   in Loop: Header=BB81_9 Depth=1
	s_or_b32 exec_lo, exec_lo, s15
	s_delay_alu instid0(SALU_CYCLE_1)
	s_mov_b32 s15, exec_lo
	v_cmpx_lt_u64_e64 v[12:13], v[4:5]
	s_cbranch_execnz .LBB81_22
.LBB81_18:                              ;   in Loop: Header=BB81_9 Depth=1
	s_or_b32 exec_lo, exec_lo, s15
	s_delay_alu instid0(SALU_CYCLE_1)
	s_mov_b32 s15, exec_lo
	v_cmpx_lt_u64_e64 v[14:15], v[4:5]
	s_cbranch_execnz .LBB81_23
.LBB81_19:                              ;   in Loop: Header=BB81_9 Depth=1
	s_or_b32 exec_lo, exec_lo, s15
	s_delay_alu instid0(SALU_CYCLE_1)
	s_mov_b32 s15, exec_lo
	v_cmpx_lt_u64_e64 v[16:17], v[4:5]
	s_cbranch_execz .LBB81_8
	s_branch .LBB81_24
.LBB81_20:                              ;   in Loop: Header=BB81_9 Depth=1
	v_lshlrev_b64_e32 v[18:19], 1, v[16:17]
	s_delay_alu instid0(VALU_DEP_1)
	v_add_nc_u64_e32 v[20:21], s[4:5], v[18:19]
	v_add_nc_u64_e32 v[18:19], s[2:3], v[18:19]
	global_load_u16 v22, v[20:21], off
	global_load_u16 v23, v[18:19], off
	s_wait_loadcnt 0x0
	v_dual_lshlrev_b32 v18, 16, v22 :: v_dual_lshlrev_b32 v19, 16, v23
	s_delay_alu instid0(VALU_DEP_1) | instskip(NEXT) | instid1(VALU_DEP_2)
	v_or_b32_e32 v7, v18, v7
	v_or_b32_e32 v9, v19, v9
	s_or_b32 exec_lo, exec_lo, s15
	s_delay_alu instid0(SALU_CYCLE_1)
	s_mov_b32 s15, exec_lo
	v_cmpx_lt_u64_e64 v[10:11], v[4:5]
	s_cbranch_execz .LBB81_17
.LBB81_21:                              ;   in Loop: Header=BB81_9 Depth=1
	v_bfe_i32 v18, v8, 0, 16
	v_lshl_add_u64 v[10:11], v[10:11], 1, s[4:5]
	s_delay_alu instid0(VALU_DEP_2) | instskip(SKIP_1) | instid1(VALU_DEP_2)
	v_cvt_f32_i32_e32 v19, v18
	v_xor_b32_e32 v18, s17, v18
	v_rcp_iflag_f32_e32 v20, v19
	s_delay_alu instid0(VALU_DEP_1)
	v_ashrrev_i32_e32 v18, 30, v18
	s_delay_alu instid0(TRANS32_DEP_1) | instid1(VALU_DEP_1)
	v_dual_mul_f32 v20, s14, v20 :: v_dual_bitop2_b32 v18, 1, v18 bitop3:0x54
	s_delay_alu instid0(VALU_DEP_1) | instskip(NEXT) | instid1(VALU_DEP_1)
	v_trunc_f32_e32 v20, v20
	v_fma_f32 v21, -v20, v19, s14
	v_cvt_i32_f32_e32 v20, v20
	s_delay_alu instid0(VALU_DEP_2) | instskip(SKIP_1) | instid1(VALU_DEP_1)
	v_cmp_ge_f32_e64 vcc_lo, |v21|, |v19|
	v_cndmask_b32_e32 v18, 0, v18, vcc_lo
	v_add_nc_u32_e32 v18, v20, v18
	s_delay_alu instid0(VALU_DEP_1) | instskip(SKIP_3) | instid1(SALU_CYCLE_1)
	v_mad_u16 v18, s16, v18, v6
	global_store_b16 v[10:11], v18, off
	s_wait_xcnt 0x0
	s_or_b32 exec_lo, exec_lo, s15
	s_mov_b32 s15, exec_lo
	v_cmpx_lt_u64_e64 v[12:13], v[4:5]
	s_cbranch_execz .LBB81_18
.LBB81_22:                              ;   in Loop: Header=BB81_9 Depth=1
	v_dual_ashrrev_i32 v10, 16, v8 :: v_dual_lshrrev_b32 v6, 16, v6
	s_delay_alu instid0(VALU_DEP_1) | instskip(NEXT) | instid1(VALU_DEP_1)
	v_cvt_f32_i32_e32 v11, v10
	v_rcp_iflag_f32_e32 v18, v11
	v_nop
	s_delay_alu instid0(TRANS32_DEP_1) | instskip(SKIP_1) | instid1(VALU_DEP_2)
	v_mul_f32_e32 v18, s14, v18
	v_xor_b32_e32 v10, s17, v10
	v_trunc_f32_e32 v18, v18
	s_delay_alu instid0(VALU_DEP_2) | instskip(NEXT) | instid1(VALU_DEP_2)
	v_ashrrev_i32_e32 v10, 30, v10
	v_fma_f32 v19, -v18, v11, s14
	s_delay_alu instid0(VALU_DEP_2) | instskip(SKIP_1) | instid1(VALU_DEP_3)
	v_or_b32_e32 v10, 1, v10
	v_cvt_i32_f32_e32 v18, v18
	v_cmp_ge_f32_e64 vcc_lo, |v19|, |v11|
	s_delay_alu instid0(VALU_DEP_3) | instskip(NEXT) | instid1(VALU_DEP_1)
	v_cndmask_b32_e32 v10, 0, v10, vcc_lo
	v_add_nc_u32_e32 v10, v18, v10
	s_delay_alu instid0(VALU_DEP_1) | instskip(SKIP_4) | instid1(SALU_CYCLE_1)
	v_mad_u16 v6, s16, v10, v6
	v_lshl_add_u64 v[10:11], v[12:13], 1, s[4:5]
	global_store_b16 v[10:11], v6, off
	s_wait_xcnt 0x0
	s_or_b32 exec_lo, exec_lo, s15
	s_mov_b32 s15, exec_lo
	v_cmpx_lt_u64_e64 v[14:15], v[4:5]
	s_cbranch_execz .LBB81_19
.LBB81_23:                              ;   in Loop: Header=BB81_9 Depth=1
	v_alignbit_b32 v6, v9, v8, 16
	s_delay_alu instid0(VALU_DEP_1) | instskip(NEXT) | instid1(VALU_DEP_1)
	v_ashrrev_i32_e32 v6, 16, v6
	v_cvt_f32_i32_e32 v8, v6
	v_xor_b32_e32 v6, s17, v6
	s_delay_alu instid0(VALU_DEP_2) | instskip(NEXT) | instid1(VALU_DEP_1)
	v_rcp_iflag_f32_e32 v10, v8
	v_ashrrev_i32_e32 v6, 30, v6
	s_delay_alu instid0(VALU_DEP_1) | instskip(NEXT) | instid1(TRANS32_DEP_1)
	v_or_b32_e32 v6, 1, v6
	v_mul_f32_e32 v10, s14, v10
	s_delay_alu instid0(VALU_DEP_1) | instskip(NEXT) | instid1(VALU_DEP_1)
	v_trunc_f32_e32 v10, v10
	v_fma_f32 v11, -v10, v8, s14
	v_cvt_i32_f32_e32 v10, v10
	s_delay_alu instid0(VALU_DEP_2) | instskip(SKIP_1) | instid1(VALU_DEP_1)
	v_cmp_ge_f32_e64 vcc_lo, |v11|, |v8|
	v_cndmask_b32_e32 v6, 0, v6, vcc_lo
	v_add_nc_u32_e32 v6, v10, v6
	v_lshl_add_u64 v[10:11], v[14:15], 1, s[4:5]
	s_delay_alu instid0(VALU_DEP_2) | instskip(SKIP_3) | instid1(SALU_CYCLE_1)
	v_mad_u16 v6, s16, v6, v7
	global_store_b16 v[10:11], v6, off
	s_wait_xcnt 0x0
	s_or_b32 exec_lo, exec_lo, s15
	s_mov_b32 s15, exec_lo
	v_cmpx_lt_u64_e64 v[16:17], v[4:5]
	s_cbranch_execz .LBB81_8
.LBB81_24:                              ;   in Loop: Header=BB81_9 Depth=1
	v_dual_ashrrev_i32 v6, 16, v9 :: v_dual_lshrrev_b32 v7, 16, v7
	s_delay_alu instid0(VALU_DEP_1) | instskip(NEXT) | instid1(VALU_DEP_1)
	v_cvt_f32_i32_e32 v8, v6
	v_rcp_iflag_f32_e32 v9, v8
	v_nop
	s_delay_alu instid0(TRANS32_DEP_1) | instskip(NEXT) | instid1(VALU_DEP_1)
	v_dual_mul_f32 v9, s14, v9 :: v_dual_bitop2_b32 v6, s17, v6 bitop3:0x14
	v_trunc_f32_e32 v9, v9
	s_delay_alu instid0(VALU_DEP_2) | instskip(NEXT) | instid1(VALU_DEP_2)
	v_ashrrev_i32_e32 v6, 30, v6
	v_fma_f32 v10, -v9, v8, s14
	s_delay_alu instid0(VALU_DEP_2) | instskip(SKIP_1) | instid1(VALU_DEP_3)
	v_or_b32_e32 v6, 1, v6
	v_cvt_i32_f32_e32 v9, v9
	v_cmp_ge_f32_e64 vcc_lo, |v10|, |v8|
	s_delay_alu instid0(VALU_DEP_3) | instskip(NEXT) | instid1(VALU_DEP_1)
	v_cndmask_b32_e32 v6, 0, v6, vcc_lo
	v_add_nc_u32_e32 v6, v9, v6
	s_delay_alu instid0(VALU_DEP_1)
	v_mad_u16 v8, s16, v6, v7
	v_lshl_add_u64 v[6:7], v[16:17], 1, s[4:5]
	global_store_b16 v[6:7], v8, off
	s_branch .LBB81_8
.LBB81_25:
	s_endpgm
	.section	.rodata,"a",@progbits
	.p2align	6, 0x0
	.amdhsa_kernel _ZN2at6native12_GLOBAL__N_125multi_tensor_apply_kernelINS1_18TensorListMetadataILi3EEENS1_32PointwiseOpScalar0dTensorFunctorIsLi3ELi2ELi0EEEJSt7dividesIsEsEEEvT_T0_DpT1_
		.amdhsa_group_segment_fixed_size 0
		.amdhsa_private_segment_fixed_size 0
		.amdhsa_kernarg_size 3408
		.amdhsa_user_sgpr_count 2
		.amdhsa_user_sgpr_dispatch_ptr 0
		.amdhsa_user_sgpr_queue_ptr 0
		.amdhsa_user_sgpr_kernarg_segment_ptr 1
		.amdhsa_user_sgpr_dispatch_id 0
		.amdhsa_user_sgpr_kernarg_preload_length 0
		.amdhsa_user_sgpr_kernarg_preload_offset 0
		.amdhsa_user_sgpr_private_segment_size 0
		.amdhsa_wavefront_size32 1
		.amdhsa_uses_dynamic_stack 0
		.amdhsa_enable_private_segment 0
		.amdhsa_system_sgpr_workgroup_id_x 1
		.amdhsa_system_sgpr_workgroup_id_y 0
		.amdhsa_system_sgpr_workgroup_id_z 0
		.amdhsa_system_sgpr_workgroup_info 0
		.amdhsa_system_vgpr_workitem_id 0
		.amdhsa_next_free_vgpr 27
		.amdhsa_next_free_sgpr 25
		.amdhsa_named_barrier_count 0
		.amdhsa_reserve_vcc 1
		.amdhsa_float_round_mode_32 0
		.amdhsa_float_round_mode_16_64 0
		.amdhsa_float_denorm_mode_32 3
		.amdhsa_float_denorm_mode_16_64 3
		.amdhsa_fp16_overflow 0
		.amdhsa_memory_ordered 1
		.amdhsa_forward_progress 1
		.amdhsa_inst_pref_size 17
		.amdhsa_round_robin_scheduling 0
		.amdhsa_exception_fp_ieee_invalid_op 0
		.amdhsa_exception_fp_denorm_src 0
		.amdhsa_exception_fp_ieee_div_zero 0
		.amdhsa_exception_fp_ieee_overflow 0
		.amdhsa_exception_fp_ieee_underflow 0
		.amdhsa_exception_fp_ieee_inexact 0
		.amdhsa_exception_int_div_zero 0
	.end_amdhsa_kernel
	.section	.text._ZN2at6native12_GLOBAL__N_125multi_tensor_apply_kernelINS1_18TensorListMetadataILi3EEENS1_32PointwiseOpScalar0dTensorFunctorIsLi3ELi2ELi0EEEJSt7dividesIsEsEEEvT_T0_DpT1_,"axG",@progbits,_ZN2at6native12_GLOBAL__N_125multi_tensor_apply_kernelINS1_18TensorListMetadataILi3EEENS1_32PointwiseOpScalar0dTensorFunctorIsLi3ELi2ELi0EEEJSt7dividesIsEsEEEvT_T0_DpT1_,comdat
.Lfunc_end81:
	.size	_ZN2at6native12_GLOBAL__N_125multi_tensor_apply_kernelINS1_18TensorListMetadataILi3EEENS1_32PointwiseOpScalar0dTensorFunctorIsLi3ELi2ELi0EEEJSt7dividesIsEsEEEvT_T0_DpT1_, .Lfunc_end81-_ZN2at6native12_GLOBAL__N_125multi_tensor_apply_kernelINS1_18TensorListMetadataILi3EEENS1_32PointwiseOpScalar0dTensorFunctorIsLi3ELi2ELi0EEEJSt7dividesIsEsEEEvT_T0_DpT1_
                                        ; -- End function
	.set _ZN2at6native12_GLOBAL__N_125multi_tensor_apply_kernelINS1_18TensorListMetadataILi3EEENS1_32PointwiseOpScalar0dTensorFunctorIsLi3ELi2ELi0EEEJSt7dividesIsEsEEEvT_T0_DpT1_.num_vgpr, 27
	.set _ZN2at6native12_GLOBAL__N_125multi_tensor_apply_kernelINS1_18TensorListMetadataILi3EEENS1_32PointwiseOpScalar0dTensorFunctorIsLi3ELi2ELi0EEEJSt7dividesIsEsEEEvT_T0_DpT1_.num_agpr, 0
	.set _ZN2at6native12_GLOBAL__N_125multi_tensor_apply_kernelINS1_18TensorListMetadataILi3EEENS1_32PointwiseOpScalar0dTensorFunctorIsLi3ELi2ELi0EEEJSt7dividesIsEsEEEvT_T0_DpT1_.numbered_sgpr, 25
	.set _ZN2at6native12_GLOBAL__N_125multi_tensor_apply_kernelINS1_18TensorListMetadataILi3EEENS1_32PointwiseOpScalar0dTensorFunctorIsLi3ELi2ELi0EEEJSt7dividesIsEsEEEvT_T0_DpT1_.num_named_barrier, 0
	.set _ZN2at6native12_GLOBAL__N_125multi_tensor_apply_kernelINS1_18TensorListMetadataILi3EEENS1_32PointwiseOpScalar0dTensorFunctorIsLi3ELi2ELi0EEEJSt7dividesIsEsEEEvT_T0_DpT1_.private_seg_size, 0
	.set _ZN2at6native12_GLOBAL__N_125multi_tensor_apply_kernelINS1_18TensorListMetadataILi3EEENS1_32PointwiseOpScalar0dTensorFunctorIsLi3ELi2ELi0EEEJSt7dividesIsEsEEEvT_T0_DpT1_.uses_vcc, 1
	.set _ZN2at6native12_GLOBAL__N_125multi_tensor_apply_kernelINS1_18TensorListMetadataILi3EEENS1_32PointwiseOpScalar0dTensorFunctorIsLi3ELi2ELi0EEEJSt7dividesIsEsEEEvT_T0_DpT1_.uses_flat_scratch, 0
	.set _ZN2at6native12_GLOBAL__N_125multi_tensor_apply_kernelINS1_18TensorListMetadataILi3EEENS1_32PointwiseOpScalar0dTensorFunctorIsLi3ELi2ELi0EEEJSt7dividesIsEsEEEvT_T0_DpT1_.has_dyn_sized_stack, 0
	.set _ZN2at6native12_GLOBAL__N_125multi_tensor_apply_kernelINS1_18TensorListMetadataILi3EEENS1_32PointwiseOpScalar0dTensorFunctorIsLi3ELi2ELi0EEEJSt7dividesIsEsEEEvT_T0_DpT1_.has_recursion, 0
	.set _ZN2at6native12_GLOBAL__N_125multi_tensor_apply_kernelINS1_18TensorListMetadataILi3EEENS1_32PointwiseOpScalar0dTensorFunctorIsLi3ELi2ELi0EEEJSt7dividesIsEsEEEvT_T0_DpT1_.has_indirect_call, 0
	.section	.AMDGPU.csdata,"",@progbits
; Kernel info:
; codeLenInByte = 2088
; TotalNumSgprs: 27
; NumVgprs: 27
; ScratchSize: 0
; MemoryBound: 0
; FloatMode: 240
; IeeeMode: 1
; LDSByteSize: 0 bytes/workgroup (compile time only)
; SGPRBlocks: 0
; VGPRBlocks: 1
; NumSGPRsForWavesPerEU: 27
; NumVGPRsForWavesPerEU: 27
; NamedBarCnt: 0
; Occupancy: 16
; WaveLimiterHint : 0
; COMPUTE_PGM_RSRC2:SCRATCH_EN: 0
; COMPUTE_PGM_RSRC2:USER_SGPR: 2
; COMPUTE_PGM_RSRC2:TRAP_HANDLER: 0
; COMPUTE_PGM_RSRC2:TGID_X_EN: 1
; COMPUTE_PGM_RSRC2:TGID_Y_EN: 0
; COMPUTE_PGM_RSRC2:TGID_Z_EN: 0
; COMPUTE_PGM_RSRC2:TIDIG_COMP_CNT: 0
	.section	.text._ZN2at6native12_GLOBAL__N_125multi_tensor_apply_kernelINS1_18TensorListMetadataILi3EEENS1_32PointwiseOpScalar0dTensorFunctorIdLi3ELi2ELi0EEEJSt7dividesIdEdEEEvT_T0_DpT1_,"axG",@progbits,_ZN2at6native12_GLOBAL__N_125multi_tensor_apply_kernelINS1_18TensorListMetadataILi3EEENS1_32PointwiseOpScalar0dTensorFunctorIdLi3ELi2ELi0EEEJSt7dividesIdEdEEEvT_T0_DpT1_,comdat
	.globl	_ZN2at6native12_GLOBAL__N_125multi_tensor_apply_kernelINS1_18TensorListMetadataILi3EEENS1_32PointwiseOpScalar0dTensorFunctorIdLi3ELi2ELi0EEEJSt7dividesIdEdEEEvT_T0_DpT1_ ; -- Begin function _ZN2at6native12_GLOBAL__N_125multi_tensor_apply_kernelINS1_18TensorListMetadataILi3EEENS1_32PointwiseOpScalar0dTensorFunctorIdLi3ELi2ELi0EEEJSt7dividesIdEdEEEvT_T0_DpT1_
	.p2align	8
	.type	_ZN2at6native12_GLOBAL__N_125multi_tensor_apply_kernelINS1_18TensorListMetadataILi3EEENS1_32PointwiseOpScalar0dTensorFunctorIdLi3ELi2ELi0EEEJSt7dividesIdEdEEEvT_T0_DpT1_,@function
_ZN2at6native12_GLOBAL__N_125multi_tensor_apply_kernelINS1_18TensorListMetadataILi3EEENS1_32PointwiseOpScalar0dTensorFunctorIdLi3ELi2ELi0EEEJSt7dividesIdEdEEEvT_T0_DpT1_: ; @_ZN2at6native12_GLOBAL__N_125multi_tensor_apply_kernelINS1_18TensorListMetadataILi3EEENS1_32PointwiseOpScalar0dTensorFunctorIdLi3ELi2ELi0EEEJSt7dividesIdEdEEEvT_T0_DpT1_
; %bb.0:
	s_bfe_u32 s2, ttmp6, 0x4000c
	s_and_b32 s3, ttmp6, 15
	s_add_co_i32 s2, s2, 1
	s_getreg_b32 s4, hwreg(HW_REG_IB_STS2, 6, 4)
	s_mul_i32 s2, ttmp9, s2
	s_mov_b32 s15, 0
	s_add_co_i32 s3, s3, s2
	s_cmp_eq_u32 s4, 0
	s_cselect_b32 s14, ttmp9, s3
	s_delay_alu instid0(SALU_CYCLE_1) | instskip(SKIP_1) | instid1(SALU_CYCLE_1)
	s_add_nc_u64 s[2:3], s[0:1], s[14:15]
	s_mul_u64 s[4:5], s[14:15], 3
	s_add_nc_u64 s[2:3], s[2:3], s[4:5]
	s_clause 0x1
	s_load_b32 s16, s[2:3], 0x740
	s_load_u8 s4, s[0:1], s14 offset:0x600
	s_wait_kmcnt 0x0
	s_clause 0x3
	s_load_b64 s[8:9], s[0:1], s4 offset:0x180 scale_offset
	s_load_b64 s[10:11], s[0:1], s4 offset:0x300 scale_offset
	;; [unrolled: 1-line block ×4, first 2 shown]
	s_ashr_i32 s17, s16, 31
	s_delay_alu instid0(SALU_CYCLE_1)
	s_lshl_b64 s[18:19], s[16:17], 19
	s_wait_kmcnt 0x0
	s_add_nc_u64 s[4:5], s[8:9], s[18:19]
	s_add_nc_u64 s[2:3], s[10:11], s[18:19]
	s_load_b64 s[8:9], s[8:9], 0x0
	s_or_b32 s6, s2, s4
	s_add_nc_u64 s[4:5], s[12:13], s[18:19]
	s_and_b32 s6, s6, 31
	s_and_b64 s[22:23], s[4:5], 31
	s_cmp_lg_u32 s6, 0
	s_load_b64 s[6:7], s[0:1], 0xc50
	s_cselect_b32 s24, -1, 0
	s_and_b32 s14, s20, 3
	s_lshl_b64 s[16:17], s[16:17], 16
	s_or_b64 s[14:15], s[22:23], s[14:15]
	s_delay_alu instid0(SALU_CYCLE_1) | instskip(SKIP_1) | instid1(SALU_CYCLE_1)
	s_cmp_lg_u64 s[14:15], 0
	s_cselect_b32 s14, -1, 0
	s_or_b32 s22, s24, s14
	s_sub_nc_u64 s[14:15], s[20:21], s[16:17]
	s_and_not1_b32 vcc_lo, exec_lo, s22
	s_mov_b32 s16, -1
	s_cbranch_vccz .LBB82_21
; %bb.1:
	v_min_i64 v[18:19], 0x10000, s[14:15]
	v_dual_mov_b32 v3, 0 :: v_dual_lshlrev_b32 v2, 2, v0
	s_mov_b32 s20, exec_lo
	s_delay_alu instid0(VALU_DEP_1)
	v_cmpx_lt_i64_e64 v[2:3], v[18:19]
	s_cbranch_execz .LBB82_20
; %bb.2:
	s_wait_kmcnt 0x0
	v_cmp_neq_f64_e64 s21, s[6:7], 1.0
	s_load_b32 s16, s[0:1], 0xc64
	v_dual_mov_b32 v1, v3 :: v_dual_lshlrev_b32 v2, 5, v0
	s_mov_b32 s17, 0
	s_delay_alu instid0(SALU_CYCLE_1) | instskip(NEXT) | instid1(VALU_DEP_1)
	s_mov_b32 s22, s17
	v_add_nc_u64_e32 v[20:21], s[18:19], v[2:3]
	s_delay_alu instid0(VALU_DEP_2) | instskip(SKIP_3) | instid1(SALU_CYCLE_1)
	v_mov_b64_e32 v[22:23], v[0:1]
	s_mov_b32 s19, s17
	s_wait_kmcnt 0x0
	s_and_b32 s16, s16, 0xffff
	s_lshl_b32 s18, s16, 5
	s_branch .LBB82_4
.LBB82_3:                               ;   in Loop: Header=BB82_4 Depth=1
	v_add_nc_u64_e32 v[22:23], s[16:17], v[22:23]
	v_add_nc_u64_e32 v[20:21], s[18:19], v[20:21]
	s_clause 0x1
	global_store_b128 v[24:25], v[6:9], off
	global_store_b128 v[24:25], v[10:13], off offset:16
	v_lshlrev_b64_e32 v[2:3], 2, v[22:23]
	s_delay_alu instid0(VALU_DEP_1)
	v_cmp_ge_i64_e32 vcc_lo, v[2:3], v[18:19]
	s_or_b32 s22, vcc_lo, s22
	s_wait_xcnt 0x0
	s_and_not1_b32 exec_lo, exec_lo, s22
	s_cbranch_execz .LBB82_20
.LBB82_4:                               ; =>This Inner Loop Header: Depth=1
	v_add_nc_u64_e32 v[26:27], s[10:11], v[20:21]
	v_add_nc_u64_e32 v[24:25], s[12:13], v[20:21]
	s_clause 0x1
	global_load_b128 v[6:9], v[26:27], off
	global_load_b128 v[10:13], v[26:27], off offset:16
	s_clause 0x1
	global_load_b128 v[2:5], v[24:25], off offset:16
	global_load_b128 v[14:17], v[24:25], off
	s_wait_loadcnt 0x3
	v_div_scale_f64 v[28:29], null, v[6:7], v[6:7], s[8:9]
	s_wait_xcnt 0x2
	s_delay_alu instid0(VALU_DEP_1) | instskip(SKIP_1) | instid1(TRANS32_DEP_1)
	v_rcp_f64_e32 v[26:27], v[28:29]
	v_nop
	v_fma_f64 v[30:31], -v[28:29], v[26:27], 1.0
	s_delay_alu instid0(VALU_DEP_1) | instskip(NEXT) | instid1(VALU_DEP_1)
	v_fmac_f64_e32 v[26:27], v[26:27], v[30:31]
	v_fma_f64 v[30:31], -v[28:29], v[26:27], 1.0
	s_delay_alu instid0(VALU_DEP_1) | instskip(SKIP_1) | instid1(VALU_DEP_1)
	v_fmac_f64_e32 v[26:27], v[26:27], v[30:31]
	v_div_scale_f64 v[30:31], vcc_lo, s[8:9], v[6:7], s[8:9]
	v_mul_f64_e32 v[32:33], v[30:31], v[26:27]
	s_delay_alu instid0(VALU_DEP_1) | instskip(NEXT) | instid1(VALU_DEP_1)
	v_fma_f64 v[28:29], -v[28:29], v[32:33], v[30:31]
	v_div_fmas_f64 v[26:27], v[28:29], v[26:27], v[32:33]
	s_and_b32 vcc_lo, exec_lo, s21
	s_delay_alu instid0(VALU_DEP_1)
	v_div_fixup_f64 v[26:27], v[26:27], v[6:7], s[8:9]
	s_cbranch_vccz .LBB82_15
; %bb.5:                                ;   in Loop: Header=BB82_4 Depth=1
	s_wait_loadcnt 0x0
	s_delay_alu instid0(VALU_DEP_1)
	v_fma_f64 v[6:7], s[6:7], v[26:27], v[14:15]
	s_cbranch_execnz .LBB82_7
.LBB82_6:                               ;   in Loop: Header=BB82_4 Depth=1
	s_wait_loadcnt 0x0
	s_delay_alu instid0(VALU_DEP_1)
	v_add_f64_e32 v[6:7], v[14:15], v[26:27]
.LBB82_7:                               ;   in Loop: Header=BB82_4 Depth=1
	s_wait_loadcnt 0x0
	v_div_scale_f64 v[14:15], null, v[8:9], v[8:9], s[8:9]
	s_delay_alu instid0(VALU_DEP_1) | instskip(SKIP_1) | instid1(TRANS32_DEP_1)
	v_rcp_f64_e32 v[26:27], v[14:15]
	v_nop
	v_fma_f64 v[28:29], -v[14:15], v[26:27], 1.0
	s_delay_alu instid0(VALU_DEP_1) | instskip(NEXT) | instid1(VALU_DEP_1)
	v_fmac_f64_e32 v[26:27], v[26:27], v[28:29]
	v_fma_f64 v[28:29], -v[14:15], v[26:27], 1.0
	s_delay_alu instid0(VALU_DEP_1) | instskip(SKIP_1) | instid1(VALU_DEP_1)
	v_fmac_f64_e32 v[26:27], v[26:27], v[28:29]
	v_div_scale_f64 v[28:29], vcc_lo, s[8:9], v[8:9], s[8:9]
	v_mul_f64_e32 v[30:31], v[28:29], v[26:27]
	s_delay_alu instid0(VALU_DEP_1) | instskip(NEXT) | instid1(VALU_DEP_1)
	v_fma_f64 v[14:15], -v[14:15], v[30:31], v[28:29]
	v_div_fmas_f64 v[14:15], v[14:15], v[26:27], v[30:31]
	s_and_not1_b32 vcc_lo, exec_lo, s21
	s_delay_alu instid0(VALU_DEP_1)
	v_div_fixup_f64 v[14:15], v[14:15], v[8:9], s[8:9]
	s_cbranch_vccnz .LBB82_16
; %bb.8:                                ;   in Loop: Header=BB82_4 Depth=1
	s_delay_alu instid0(VALU_DEP_1)
	v_fma_f64 v[8:9], s[6:7], v[14:15], v[16:17]
	s_cbranch_execnz .LBB82_10
.LBB82_9:                               ;   in Loop: Header=BB82_4 Depth=1
	s_delay_alu instid0(VALU_DEP_1)
	v_add_f64_e32 v[8:9], v[16:17], v[14:15]
.LBB82_10:                              ;   in Loop: Header=BB82_4 Depth=1
	v_div_scale_f64 v[14:15], null, v[10:11], v[10:11], s[8:9]
	s_delay_alu instid0(VALU_DEP_1) | instskip(SKIP_1) | instid1(TRANS32_DEP_1)
	v_rcp_f64_e32 v[16:17], v[14:15]
	v_nop
	v_fma_f64 v[26:27], -v[14:15], v[16:17], 1.0
	s_delay_alu instid0(VALU_DEP_1) | instskip(NEXT) | instid1(VALU_DEP_1)
	v_fmac_f64_e32 v[16:17], v[16:17], v[26:27]
	v_fma_f64 v[26:27], -v[14:15], v[16:17], 1.0
	s_delay_alu instid0(VALU_DEP_1) | instskip(SKIP_1) | instid1(VALU_DEP_1)
	v_fmac_f64_e32 v[16:17], v[16:17], v[26:27]
	v_div_scale_f64 v[26:27], vcc_lo, s[8:9], v[10:11], s[8:9]
	v_mul_f64_e32 v[28:29], v[26:27], v[16:17]
	s_delay_alu instid0(VALU_DEP_1) | instskip(NEXT) | instid1(VALU_DEP_1)
	v_fma_f64 v[14:15], -v[14:15], v[28:29], v[26:27]
	v_div_fmas_f64 v[14:15], v[14:15], v[16:17], v[28:29]
	s_and_not1_b32 vcc_lo, exec_lo, s21
	s_delay_alu instid0(VALU_DEP_1)
	v_div_fixup_f64 v[14:15], v[14:15], v[10:11], s[8:9]
	s_cbranch_vccnz .LBB82_17
; %bb.11:                               ;   in Loop: Header=BB82_4 Depth=1
	s_delay_alu instid0(VALU_DEP_1)
	v_fma_f64 v[10:11], s[6:7], v[14:15], v[2:3]
	s_cbranch_execnz .LBB82_13
.LBB82_12:                              ;   in Loop: Header=BB82_4 Depth=1
	s_delay_alu instid0(VALU_DEP_1)
	v_add_f64_e32 v[10:11], v[2:3], v[14:15]
.LBB82_13:                              ;   in Loop: Header=BB82_4 Depth=1
	v_div_scale_f64 v[2:3], null, v[12:13], v[12:13], s[8:9]
	s_delay_alu instid0(VALU_DEP_1) | instskip(SKIP_1) | instid1(TRANS32_DEP_1)
	v_rcp_f64_e32 v[14:15], v[2:3]
	v_nop
	v_fma_f64 v[16:17], -v[2:3], v[14:15], 1.0
	s_delay_alu instid0(VALU_DEP_1) | instskip(NEXT) | instid1(VALU_DEP_1)
	v_fmac_f64_e32 v[14:15], v[14:15], v[16:17]
	v_fma_f64 v[16:17], -v[2:3], v[14:15], 1.0
	s_delay_alu instid0(VALU_DEP_1) | instskip(SKIP_1) | instid1(VALU_DEP_1)
	v_fmac_f64_e32 v[14:15], v[14:15], v[16:17]
	v_div_scale_f64 v[16:17], vcc_lo, s[8:9], v[12:13], s[8:9]
	v_mul_f64_e32 v[26:27], v[16:17], v[14:15]
	s_delay_alu instid0(VALU_DEP_1) | instskip(NEXT) | instid1(VALU_DEP_1)
	v_fma_f64 v[2:3], -v[2:3], v[26:27], v[16:17]
	v_div_fmas_f64 v[2:3], v[2:3], v[14:15], v[26:27]
	s_and_not1_b32 vcc_lo, exec_lo, s21
	s_delay_alu instid0(VALU_DEP_1)
	v_div_fixup_f64 v[2:3], v[2:3], v[12:13], s[8:9]
	s_cbranch_vccnz .LBB82_18
; %bb.14:                               ;   in Loop: Header=BB82_4 Depth=1
	s_delay_alu instid0(VALU_DEP_1)
	v_fma_f64 v[12:13], s[6:7], v[2:3], v[4:5]
	s_cbranch_execnz .LBB82_3
	s_branch .LBB82_19
.LBB82_15:                              ;   in Loop: Header=BB82_4 Depth=1
                                        ; implicit-def: $vgpr6_vgpr7
	s_branch .LBB82_6
.LBB82_16:                              ;   in Loop: Header=BB82_4 Depth=1
	s_branch .LBB82_9
.LBB82_17:                              ;   in Loop: Header=BB82_4 Depth=1
                                        ; implicit-def: $vgpr10_vgpr11
	s_branch .LBB82_12
.LBB82_18:                              ;   in Loop: Header=BB82_4 Depth=1
.LBB82_19:                              ;   in Loop: Header=BB82_4 Depth=1
	s_delay_alu instid0(VALU_DEP_1)
	v_add_f64_e32 v[12:13], v[4:5], v[2:3]
	s_branch .LBB82_3
.LBB82_20:
	s_or_b32 exec_lo, exec_lo, s20
	s_mov_b32 s16, 0
.LBB82_21:
	s_delay_alu instid0(SALU_CYCLE_1)
	s_and_not1_b32 vcc_lo, exec_lo, s16
	s_cbranch_vccnz .LBB82_57
; %bb.22:
	v_cmp_lt_i64_e64 s10, s[14:15], 1
	s_and_b32 vcc_lo, exec_lo, s10
	s_cbranch_vccnz .LBB82_57
; %bb.23:
	v_min_i64 v[2:3], 0x10000, s[14:15]
	s_wait_kmcnt 0x0
	v_cmp_neq_f64_e64 s18, s[6:7], 1.0
	v_min_u64 v[4:5], 0x10000, s[14:15]
	s_wait_xcnt 0x0
	s_load_b32 s0, s[0:1], 0xc64
	v_mov_b32_e32 v1, 0
	s_wait_xcnt 0x0
	s_mov_b32 s1, 0
	s_mov_b64 s[16:17], 0
	s_mov_b32 s11, s1
	s_mov_b32 s13, s1
	;; [unrolled: 1-line block ×3, first 2 shown]
	s_wait_kmcnt 0x0
	s_and_b32 s0, s0, 0xffff
	s_delay_alu instid0(SALU_CYCLE_1)
	s_lshl_b32 s10, s0, 1
	s_mul_i32 s12, s0, 3
	s_lshl_b32 s14, s0, 2
	s_branch .LBB82_25
.LBB82_24:                              ;   in Loop: Header=BB82_25 Depth=1
	s_wait_xcnt 0x0
	s_or_b32 exec_lo, exec_lo, s19
	s_add_nc_u64 s[16:17], s[16:17], s[14:15]
	s_delay_alu instid0(SALU_CYCLE_1)
	v_cmp_ge_i64_e32 vcc_lo, s[16:17], v[2:3]
	s_cbranch_vccnz .LBB82_57
.LBB82_25:                              ; =>This Inner Loop Header: Depth=1
	v_add_nc_u64_e32 v[6:7], s[16:17], v[0:1]
	v_mov_b64_e32 v[22:23], 0
	v_mov_b64_e32 v[20:21], 0
	v_mov_b64_e32 v[28:29], 0
	s_mov_b32 s19, exec_lo
	s_delay_alu instid0(VALU_DEP_4)
	v_cmpx_lt_i64_e64 v[6:7], v[2:3]
	s_cbranch_execz .LBB82_27
; %bb.26:                               ;   in Loop: Header=BB82_25 Depth=1
	v_lshlrev_b64_e32 v[8:9], 3, v[6:7]
	s_delay_alu instid0(VALU_DEP_1)
	v_add_nc_u64_e32 v[10:11], s[4:5], v[8:9]
	v_add_nc_u64_e32 v[8:9], s[2:3], v[8:9]
	global_load_b64 v[28:29], v[10:11], off
	global_load_b64 v[20:21], v[8:9], off
.LBB82_27:                              ;   in Loop: Header=BB82_25 Depth=1
	s_wait_xcnt 0x0
	s_or_b32 exec_lo, exec_lo, s19
	v_add_nc_u64_e32 v[8:9], s[0:1], v[6:7]
	v_mov_b64_e32 v[24:25], 0
	s_mov_b32 s19, exec_lo
	s_delay_alu instid0(VALU_DEP_2)
	v_cmpx_lt_i64_e64 v[8:9], v[2:3]
	s_cbranch_execz .LBB82_29
; %bb.28:                               ;   in Loop: Header=BB82_25 Depth=1
	v_lshlrev_b64_e32 v[10:11], 3, v[8:9]
	s_delay_alu instid0(VALU_DEP_1)
	v_add_nc_u64_e32 v[12:13], s[4:5], v[10:11]
	v_add_nc_u64_e32 v[10:11], s[2:3], v[10:11]
	global_load_b64 v[24:25], v[12:13], off
	global_load_b64 v[22:23], v[10:11], off
.LBB82_29:                              ;   in Loop: Header=BB82_25 Depth=1
	s_wait_xcnt 0x0
	s_or_b32 exec_lo, exec_lo, s19
	v_add_nc_u64_e32 v[10:11], s[10:11], v[6:7]
	v_mov_b64_e32 v[14:15], 0
	v_mov_b64_e32 v[26:27], 0
	;; [unrolled: 1-line block ×3, first 2 shown]
	s_mov_b32 s19, exec_lo
	s_delay_alu instid0(VALU_DEP_4)
	v_cmpx_lt_i64_e64 v[10:11], v[2:3]
	s_cbranch_execz .LBB82_31
; %bb.30:                               ;   in Loop: Header=BB82_25 Depth=1
	v_lshlrev_b64_e32 v[12:13], 3, v[10:11]
	s_delay_alu instid0(VALU_DEP_1)
	v_add_nc_u64_e32 v[16:17], s[4:5], v[12:13]
	v_add_nc_u64_e32 v[12:13], s[2:3], v[12:13]
	global_load_b64 v[18:19], v[16:17], off
	global_load_b64 v[26:27], v[12:13], off
.LBB82_31:                              ;   in Loop: Header=BB82_25 Depth=1
	s_wait_xcnt 0x0
	s_or_b32 exec_lo, exec_lo, s19
	v_add_nc_u64_e32 v[12:13], s[12:13], v[6:7]
	v_mov_b64_e32 v[16:17], 0
	s_mov_b32 s19, exec_lo
	s_delay_alu instid0(VALU_DEP_2)
	v_cmpx_lt_i64_e64 v[12:13], v[2:3]
	s_cbranch_execz .LBB82_33
; %bb.32:                               ;   in Loop: Header=BB82_25 Depth=1
	v_lshlrev_b64_e32 v[14:15], 3, v[12:13]
	s_delay_alu instid0(VALU_DEP_1)
	v_add_nc_u64_e32 v[30:31], s[4:5], v[14:15]
	v_add_nc_u64_e32 v[32:33], s[2:3], v[14:15]
	global_load_b64 v[16:17], v[30:31], off
	global_load_b64 v[14:15], v[32:33], off
.LBB82_33:                              ;   in Loop: Header=BB82_25 Depth=1
	s_wait_xcnt 0x0
	s_or_b32 exec_lo, exec_lo, s19
	s_wait_loadcnt 0x0
	v_div_scale_f64 v[30:31], null, v[20:21], v[20:21], s[8:9]
	s_delay_alu instid0(VALU_DEP_1) | instskip(SKIP_1) | instid1(TRANS32_DEP_1)
	v_rcp_f64_e32 v[32:33], v[30:31]
	v_nop
	v_fma_f64 v[34:35], -v[30:31], v[32:33], 1.0
	s_delay_alu instid0(VALU_DEP_1) | instskip(NEXT) | instid1(VALU_DEP_1)
	v_fmac_f64_e32 v[32:33], v[32:33], v[34:35]
	v_fma_f64 v[34:35], -v[30:31], v[32:33], 1.0
	s_delay_alu instid0(VALU_DEP_1) | instskip(SKIP_1) | instid1(VALU_DEP_1)
	v_fmac_f64_e32 v[32:33], v[32:33], v[34:35]
	v_div_scale_f64 v[34:35], vcc_lo, s[8:9], v[20:21], s[8:9]
	v_mul_f64_e32 v[36:37], v[34:35], v[32:33]
	s_delay_alu instid0(VALU_DEP_1) | instskip(NEXT) | instid1(VALU_DEP_1)
	v_fma_f64 v[30:31], -v[30:31], v[36:37], v[34:35]
	v_div_fmas_f64 v[30:31], v[30:31], v[32:33], v[36:37]
	s_and_b32 vcc_lo, exec_lo, s18
	s_delay_alu instid0(VALU_DEP_1)
	v_div_fixup_f64 v[30:31], v[30:31], v[20:21], s[8:9]
	s_cbranch_vccz .LBB82_53
; %bb.34:                               ;   in Loop: Header=BB82_25 Depth=1
	s_delay_alu instid0(VALU_DEP_1)
	v_fma_f64 v[20:21], s[6:7], v[30:31], v[28:29]
	s_cbranch_execnz .LBB82_36
.LBB82_35:                              ;   in Loop: Header=BB82_25 Depth=1
	s_delay_alu instid0(VALU_DEP_1)
	v_add_f64_e32 v[20:21], v[28:29], v[30:31]
.LBB82_36:                              ;   in Loop: Header=BB82_25 Depth=1
	v_div_scale_f64 v[28:29], null, v[22:23], v[22:23], s[8:9]
	s_delay_alu instid0(VALU_DEP_1) | instskip(SKIP_1) | instid1(TRANS32_DEP_1)
	v_rcp_f64_e32 v[30:31], v[28:29]
	v_nop
	v_fma_f64 v[32:33], -v[28:29], v[30:31], 1.0
	s_delay_alu instid0(VALU_DEP_1) | instskip(NEXT) | instid1(VALU_DEP_1)
	v_fmac_f64_e32 v[30:31], v[30:31], v[32:33]
	v_fma_f64 v[32:33], -v[28:29], v[30:31], 1.0
	s_delay_alu instid0(VALU_DEP_1) | instskip(SKIP_1) | instid1(VALU_DEP_1)
	v_fmac_f64_e32 v[30:31], v[30:31], v[32:33]
	v_div_scale_f64 v[32:33], vcc_lo, s[8:9], v[22:23], s[8:9]
	v_mul_f64_e32 v[34:35], v[32:33], v[30:31]
	s_delay_alu instid0(VALU_DEP_1) | instskip(NEXT) | instid1(VALU_DEP_1)
	v_fma_f64 v[28:29], -v[28:29], v[34:35], v[32:33]
	v_div_fmas_f64 v[28:29], v[28:29], v[30:31], v[34:35]
	s_and_not1_b32 vcc_lo, exec_lo, s18
	s_delay_alu instid0(VALU_DEP_1)
	v_div_fixup_f64 v[28:29], v[28:29], v[22:23], s[8:9]
	s_cbranch_vccnz .LBB82_54
; %bb.37:                               ;   in Loop: Header=BB82_25 Depth=1
	s_delay_alu instid0(VALU_DEP_1)
	v_fma_f64 v[22:23], s[6:7], v[28:29], v[24:25]
	s_cbranch_execnz .LBB82_39
.LBB82_38:                              ;   in Loop: Header=BB82_25 Depth=1
	s_delay_alu instid0(VALU_DEP_1)
	v_add_f64_e32 v[22:23], v[24:25], v[28:29]
.LBB82_39:                              ;   in Loop: Header=BB82_25 Depth=1
	v_div_scale_f64 v[24:25], null, v[26:27], v[26:27], s[8:9]
	s_delay_alu instid0(VALU_DEP_1) | instskip(SKIP_1) | instid1(TRANS32_DEP_1)
	v_rcp_f64_e32 v[28:29], v[24:25]
	v_nop
	v_fma_f64 v[30:31], -v[24:25], v[28:29], 1.0
	s_delay_alu instid0(VALU_DEP_1) | instskip(NEXT) | instid1(VALU_DEP_1)
	v_fmac_f64_e32 v[28:29], v[28:29], v[30:31]
	v_fma_f64 v[30:31], -v[24:25], v[28:29], 1.0
	s_delay_alu instid0(VALU_DEP_1) | instskip(SKIP_1) | instid1(VALU_DEP_1)
	v_fmac_f64_e32 v[28:29], v[28:29], v[30:31]
	v_div_scale_f64 v[30:31], vcc_lo, s[8:9], v[26:27], s[8:9]
	v_mul_f64_e32 v[32:33], v[30:31], v[28:29]
	s_delay_alu instid0(VALU_DEP_1) | instskip(NEXT) | instid1(VALU_DEP_1)
	v_fma_f64 v[24:25], -v[24:25], v[32:33], v[30:31]
	v_div_fmas_f64 v[24:25], v[24:25], v[28:29], v[32:33]
	s_and_not1_b32 vcc_lo, exec_lo, s18
	s_delay_alu instid0(VALU_DEP_1)
	v_div_fixup_f64 v[26:27], v[24:25], v[26:27], s[8:9]
	s_cbranch_vccnz .LBB82_55
; %bb.40:                               ;   in Loop: Header=BB82_25 Depth=1
	s_delay_alu instid0(VALU_DEP_1)
	v_fma_f64 v[24:25], s[6:7], v[26:27], v[18:19]
	s_cbranch_execnz .LBB82_42
.LBB82_41:                              ;   in Loop: Header=BB82_25 Depth=1
	s_delay_alu instid0(VALU_DEP_1)
	v_add_f64_e32 v[24:25], v[18:19], v[26:27]
.LBB82_42:                              ;   in Loop: Header=BB82_25 Depth=1
	v_div_scale_f64 v[18:19], null, v[14:15], v[14:15], s[8:9]
	s_delay_alu instid0(VALU_DEP_1) | instskip(SKIP_1) | instid1(TRANS32_DEP_1)
	v_rcp_f64_e32 v[26:27], v[18:19]
	v_nop
	v_fma_f64 v[28:29], -v[18:19], v[26:27], 1.0
	s_delay_alu instid0(VALU_DEP_1) | instskip(NEXT) | instid1(VALU_DEP_1)
	v_fmac_f64_e32 v[26:27], v[26:27], v[28:29]
	v_fma_f64 v[28:29], -v[18:19], v[26:27], 1.0
	s_delay_alu instid0(VALU_DEP_1) | instskip(SKIP_1) | instid1(VALU_DEP_1)
	v_fmac_f64_e32 v[26:27], v[26:27], v[28:29]
	v_div_scale_f64 v[28:29], vcc_lo, s[8:9], v[14:15], s[8:9]
	v_mul_f64_e32 v[30:31], v[28:29], v[26:27]
	s_delay_alu instid0(VALU_DEP_1) | instskip(NEXT) | instid1(VALU_DEP_1)
	v_fma_f64 v[18:19], -v[18:19], v[30:31], v[28:29]
	v_div_fmas_f64 v[18:19], v[18:19], v[26:27], v[30:31]
	s_and_not1_b32 vcc_lo, exec_lo, s18
	s_delay_alu instid0(VALU_DEP_1)
	v_div_fixup_f64 v[18:19], v[18:19], v[14:15], s[8:9]
	s_cbranch_vccnz .LBB82_56
; %bb.43:                               ;   in Loop: Header=BB82_25 Depth=1
	s_delay_alu instid0(VALU_DEP_1)
	v_fma_f64 v[14:15], s[6:7], v[18:19], v[16:17]
	s_cbranch_execnz .LBB82_45
.LBB82_44:                              ;   in Loop: Header=BB82_25 Depth=1
	s_delay_alu instid0(VALU_DEP_1)
	v_add_f64_e32 v[14:15], v[16:17], v[18:19]
.LBB82_45:                              ;   in Loop: Header=BB82_25 Depth=1
	s_mov_b32 s19, exec_lo
	v_cmpx_lt_u64_e64 v[6:7], v[4:5]
	s_xor_b32 s19, exec_lo, s19
	s_cbranch_execz .LBB82_47
; %bb.46:                               ;   in Loop: Header=BB82_25 Depth=1
	v_lshl_add_u64 v[6:7], v[6:7], 3, s[4:5]
	global_store_b64 v[6:7], v[20:21], off
.LBB82_47:                              ;   in Loop: Header=BB82_25 Depth=1
	s_wait_xcnt 0x0
	s_or_b32 exec_lo, exec_lo, s19
	s_delay_alu instid0(SALU_CYCLE_1)
	s_mov_b32 s19, exec_lo
	v_cmpx_lt_u64_e64 v[8:9], v[4:5]
	s_cbranch_execnz .LBB82_50
; %bb.48:                               ;   in Loop: Header=BB82_25 Depth=1
	s_or_b32 exec_lo, exec_lo, s19
	s_delay_alu instid0(SALU_CYCLE_1)
	s_mov_b32 s19, exec_lo
	v_cmpx_lt_u64_e64 v[10:11], v[4:5]
	s_cbranch_execnz .LBB82_51
.LBB82_49:                              ;   in Loop: Header=BB82_25 Depth=1
	s_or_b32 exec_lo, exec_lo, s19
	s_delay_alu instid0(SALU_CYCLE_1)
	s_mov_b32 s19, exec_lo
	v_cmpx_lt_u64_e64 v[12:13], v[4:5]
	s_cbranch_execz .LBB82_24
	s_branch .LBB82_52
.LBB82_50:                              ;   in Loop: Header=BB82_25 Depth=1
	v_lshl_add_u64 v[6:7], v[8:9], 3, s[4:5]
	global_store_b64 v[6:7], v[22:23], off
	s_wait_xcnt 0x0
	s_or_b32 exec_lo, exec_lo, s19
	s_delay_alu instid0(SALU_CYCLE_1)
	s_mov_b32 s19, exec_lo
	v_cmpx_lt_u64_e64 v[10:11], v[4:5]
	s_cbranch_execz .LBB82_49
.LBB82_51:                              ;   in Loop: Header=BB82_25 Depth=1
	v_lshl_add_u64 v[6:7], v[10:11], 3, s[4:5]
	global_store_b64 v[6:7], v[24:25], off
	s_wait_xcnt 0x0
	s_or_b32 exec_lo, exec_lo, s19
	s_delay_alu instid0(SALU_CYCLE_1)
	s_mov_b32 s19, exec_lo
	v_cmpx_lt_u64_e64 v[12:13], v[4:5]
	s_cbranch_execz .LBB82_24
.LBB82_52:                              ;   in Loop: Header=BB82_25 Depth=1
	v_lshl_add_u64 v[6:7], v[12:13], 3, s[4:5]
	global_store_b64 v[6:7], v[14:15], off
	s_branch .LBB82_24
.LBB82_53:                              ;   in Loop: Header=BB82_25 Depth=1
                                        ; implicit-def: $vgpr20_vgpr21
	s_branch .LBB82_35
.LBB82_54:                              ;   in Loop: Header=BB82_25 Depth=1
                                        ; implicit-def: $vgpr22_vgpr23
	s_branch .LBB82_38
.LBB82_55:                              ;   in Loop: Header=BB82_25 Depth=1
                                        ; implicit-def: $vgpr24_vgpr25
	s_branch .LBB82_41
.LBB82_56:                              ;   in Loop: Header=BB82_25 Depth=1
                                        ; implicit-def: $vgpr14_vgpr15
	s_branch .LBB82_44
.LBB82_57:
	s_endpgm
	.section	.rodata,"a",@progbits
	.p2align	6, 0x0
	.amdhsa_kernel _ZN2at6native12_GLOBAL__N_125multi_tensor_apply_kernelINS1_18TensorListMetadataILi3EEENS1_32PointwiseOpScalar0dTensorFunctorIdLi3ELi2ELi0EEEJSt7dividesIdEdEEEvT_T0_DpT1_
		.amdhsa_group_segment_fixed_size 0
		.amdhsa_private_segment_fixed_size 0
		.amdhsa_kernarg_size 3416
		.amdhsa_user_sgpr_count 2
		.amdhsa_user_sgpr_dispatch_ptr 0
		.amdhsa_user_sgpr_queue_ptr 0
		.amdhsa_user_sgpr_kernarg_segment_ptr 1
		.amdhsa_user_sgpr_dispatch_id 0
		.amdhsa_user_sgpr_kernarg_preload_length 0
		.amdhsa_user_sgpr_kernarg_preload_offset 0
		.amdhsa_user_sgpr_private_segment_size 0
		.amdhsa_wavefront_size32 1
		.amdhsa_uses_dynamic_stack 0
		.amdhsa_enable_private_segment 0
		.amdhsa_system_sgpr_workgroup_id_x 1
		.amdhsa_system_sgpr_workgroup_id_y 0
		.amdhsa_system_sgpr_workgroup_id_z 0
		.amdhsa_system_sgpr_workgroup_info 0
		.amdhsa_system_vgpr_workitem_id 0
		.amdhsa_next_free_vgpr 38
		.amdhsa_next_free_sgpr 25
		.amdhsa_named_barrier_count 0
		.amdhsa_reserve_vcc 1
		.amdhsa_float_round_mode_32 0
		.amdhsa_float_round_mode_16_64 0
		.amdhsa_float_denorm_mode_32 3
		.amdhsa_float_denorm_mode_16_64 3
		.amdhsa_fp16_overflow 0
		.amdhsa_memory_ordered 1
		.amdhsa_forward_progress 1
		.amdhsa_inst_pref_size 18
		.amdhsa_round_robin_scheduling 0
		.amdhsa_exception_fp_ieee_invalid_op 0
		.amdhsa_exception_fp_denorm_src 0
		.amdhsa_exception_fp_ieee_div_zero 0
		.amdhsa_exception_fp_ieee_overflow 0
		.amdhsa_exception_fp_ieee_underflow 0
		.amdhsa_exception_fp_ieee_inexact 0
		.amdhsa_exception_int_div_zero 0
	.end_amdhsa_kernel
	.section	.text._ZN2at6native12_GLOBAL__N_125multi_tensor_apply_kernelINS1_18TensorListMetadataILi3EEENS1_32PointwiseOpScalar0dTensorFunctorIdLi3ELi2ELi0EEEJSt7dividesIdEdEEEvT_T0_DpT1_,"axG",@progbits,_ZN2at6native12_GLOBAL__N_125multi_tensor_apply_kernelINS1_18TensorListMetadataILi3EEENS1_32PointwiseOpScalar0dTensorFunctorIdLi3ELi2ELi0EEEJSt7dividesIdEdEEEvT_T0_DpT1_,comdat
.Lfunc_end82:
	.size	_ZN2at6native12_GLOBAL__N_125multi_tensor_apply_kernelINS1_18TensorListMetadataILi3EEENS1_32PointwiseOpScalar0dTensorFunctorIdLi3ELi2ELi0EEEJSt7dividesIdEdEEEvT_T0_DpT1_, .Lfunc_end82-_ZN2at6native12_GLOBAL__N_125multi_tensor_apply_kernelINS1_18TensorListMetadataILi3EEENS1_32PointwiseOpScalar0dTensorFunctorIdLi3ELi2ELi0EEEJSt7dividesIdEdEEEvT_T0_DpT1_
                                        ; -- End function
	.set _ZN2at6native12_GLOBAL__N_125multi_tensor_apply_kernelINS1_18TensorListMetadataILi3EEENS1_32PointwiseOpScalar0dTensorFunctorIdLi3ELi2ELi0EEEJSt7dividesIdEdEEEvT_T0_DpT1_.num_vgpr, 38
	.set _ZN2at6native12_GLOBAL__N_125multi_tensor_apply_kernelINS1_18TensorListMetadataILi3EEENS1_32PointwiseOpScalar0dTensorFunctorIdLi3ELi2ELi0EEEJSt7dividesIdEdEEEvT_T0_DpT1_.num_agpr, 0
	.set _ZN2at6native12_GLOBAL__N_125multi_tensor_apply_kernelINS1_18TensorListMetadataILi3EEENS1_32PointwiseOpScalar0dTensorFunctorIdLi3ELi2ELi0EEEJSt7dividesIdEdEEEvT_T0_DpT1_.numbered_sgpr, 25
	.set _ZN2at6native12_GLOBAL__N_125multi_tensor_apply_kernelINS1_18TensorListMetadataILi3EEENS1_32PointwiseOpScalar0dTensorFunctorIdLi3ELi2ELi0EEEJSt7dividesIdEdEEEvT_T0_DpT1_.num_named_barrier, 0
	.set _ZN2at6native12_GLOBAL__N_125multi_tensor_apply_kernelINS1_18TensorListMetadataILi3EEENS1_32PointwiseOpScalar0dTensorFunctorIdLi3ELi2ELi0EEEJSt7dividesIdEdEEEvT_T0_DpT1_.private_seg_size, 0
	.set _ZN2at6native12_GLOBAL__N_125multi_tensor_apply_kernelINS1_18TensorListMetadataILi3EEENS1_32PointwiseOpScalar0dTensorFunctorIdLi3ELi2ELi0EEEJSt7dividesIdEdEEEvT_T0_DpT1_.uses_vcc, 1
	.set _ZN2at6native12_GLOBAL__N_125multi_tensor_apply_kernelINS1_18TensorListMetadataILi3EEENS1_32PointwiseOpScalar0dTensorFunctorIdLi3ELi2ELi0EEEJSt7dividesIdEdEEEvT_T0_DpT1_.uses_flat_scratch, 0
	.set _ZN2at6native12_GLOBAL__N_125multi_tensor_apply_kernelINS1_18TensorListMetadataILi3EEENS1_32PointwiseOpScalar0dTensorFunctorIdLi3ELi2ELi0EEEJSt7dividesIdEdEEEvT_T0_DpT1_.has_dyn_sized_stack, 0
	.set _ZN2at6native12_GLOBAL__N_125multi_tensor_apply_kernelINS1_18TensorListMetadataILi3EEENS1_32PointwiseOpScalar0dTensorFunctorIdLi3ELi2ELi0EEEJSt7dividesIdEdEEEvT_T0_DpT1_.has_recursion, 0
	.set _ZN2at6native12_GLOBAL__N_125multi_tensor_apply_kernelINS1_18TensorListMetadataILi3EEENS1_32PointwiseOpScalar0dTensorFunctorIdLi3ELi2ELi0EEEJSt7dividesIdEdEEEvT_T0_DpT1_.has_indirect_call, 0
	.section	.AMDGPU.csdata,"",@progbits
; Kernel info:
; codeLenInByte = 2284
; TotalNumSgprs: 27
; NumVgprs: 38
; ScratchSize: 0
; MemoryBound: 1
; FloatMode: 240
; IeeeMode: 1
; LDSByteSize: 0 bytes/workgroup (compile time only)
; SGPRBlocks: 0
; VGPRBlocks: 2
; NumSGPRsForWavesPerEU: 27
; NumVGPRsForWavesPerEU: 38
; NamedBarCnt: 0
; Occupancy: 16
; WaveLimiterHint : 0
; COMPUTE_PGM_RSRC2:SCRATCH_EN: 0
; COMPUTE_PGM_RSRC2:USER_SGPR: 2
; COMPUTE_PGM_RSRC2:TRAP_HANDLER: 0
; COMPUTE_PGM_RSRC2:TGID_X_EN: 1
; COMPUTE_PGM_RSRC2:TGID_Y_EN: 0
; COMPUTE_PGM_RSRC2:TGID_Z_EN: 0
; COMPUTE_PGM_RSRC2:TIDIG_COMP_CNT: 0
	.section	.text._ZN2at6native12_GLOBAL__N_125multi_tensor_apply_kernelINS1_18TensorListMetadataILi3EEENS1_32PointwiseOpScalar0dTensorFunctorIfLi3ELi2ELi0EEEJSt7dividesIfEfEEEvT_T0_DpT1_,"axG",@progbits,_ZN2at6native12_GLOBAL__N_125multi_tensor_apply_kernelINS1_18TensorListMetadataILi3EEENS1_32PointwiseOpScalar0dTensorFunctorIfLi3ELi2ELi0EEEJSt7dividesIfEfEEEvT_T0_DpT1_,comdat
	.globl	_ZN2at6native12_GLOBAL__N_125multi_tensor_apply_kernelINS1_18TensorListMetadataILi3EEENS1_32PointwiseOpScalar0dTensorFunctorIfLi3ELi2ELi0EEEJSt7dividesIfEfEEEvT_T0_DpT1_ ; -- Begin function _ZN2at6native12_GLOBAL__N_125multi_tensor_apply_kernelINS1_18TensorListMetadataILi3EEENS1_32PointwiseOpScalar0dTensorFunctorIfLi3ELi2ELi0EEEJSt7dividesIfEfEEEvT_T0_DpT1_
	.p2align	8
	.type	_ZN2at6native12_GLOBAL__N_125multi_tensor_apply_kernelINS1_18TensorListMetadataILi3EEENS1_32PointwiseOpScalar0dTensorFunctorIfLi3ELi2ELi0EEEJSt7dividesIfEfEEEvT_T0_DpT1_,@function
_ZN2at6native12_GLOBAL__N_125multi_tensor_apply_kernelINS1_18TensorListMetadataILi3EEENS1_32PointwiseOpScalar0dTensorFunctorIfLi3ELi2ELi0EEEJSt7dividesIfEfEEEvT_T0_DpT1_: ; @_ZN2at6native12_GLOBAL__N_125multi_tensor_apply_kernelINS1_18TensorListMetadataILi3EEENS1_32PointwiseOpScalar0dTensorFunctorIfLi3ELi2ELi0EEEJSt7dividesIfEfEEEvT_T0_DpT1_
; %bb.0:
	s_bfe_u32 s2, ttmp6, 0x4000c
	s_and_b32 s3, ttmp6, 15
	s_add_co_i32 s2, s2, 1
	s_getreg_b32 s4, hwreg(HW_REG_IB_STS2, 6, 4)
	s_mul_i32 s2, ttmp9, s2
	s_mov_b32 s15, 0
	s_add_co_i32 s3, s3, s2
	s_cmp_eq_u32 s4, 0
	s_cselect_b32 s14, ttmp9, s3
	s_delay_alu instid0(SALU_CYCLE_1) | instskip(SKIP_1) | instid1(SALU_CYCLE_1)
	s_add_nc_u64 s[2:3], s[0:1], s[14:15]
	s_mul_u64 s[4:5], s[14:15], 3
	s_add_nc_u64 s[2:3], s[2:3], s[4:5]
	s_clause 0x1
	s_load_b32 s16, s[2:3], 0x740
	s_load_u8 s4, s[0:1], s14 offset:0x600
	s_wait_kmcnt 0x0
	s_clause 0x3
	s_load_b64 s[18:19], s[0:1], s4 offset:0x180 scale_offset
	s_load_b64 s[12:13], s[0:1], s4 offset:0x300 scale_offset
	;; [unrolled: 1-line block ×4, first 2 shown]
	s_ashr_i32 s17, s16, 31
	s_wait_xcnt 0x0
	s_lshl_b64 s[4:5], s[16:17], 18
	s_wait_kmcnt 0x0
	s_add_nc_u64 s[8:9], s[18:19], s[4:5]
	s_add_nc_u64 s[6:7], s[12:13], s[4:5]
	s_load_b32 s22, s[18:19], 0x0
	s_or_b32 s10, s6, s8
	s_add_nc_u64 s[8:9], s[2:3], s[4:5]
	s_and_b32 s10, s10, 15
	s_and_b64 s[24:25], s[8:9], 15
	s_cmp_lg_u32 s10, 0
	s_load_b32 s10, s[0:1], 0xc4c
	s_cselect_b32 s11, -1, 0
	s_and_b32 s14, s20, 3
	s_lshl_b64 s[16:17], s[16:17], 16
	s_or_b64 s[14:15], s[24:25], s[14:15]
	s_delay_alu instid0(SALU_CYCLE_1) | instskip(SKIP_1) | instid1(SALU_CYCLE_1)
	s_cmp_lg_u64 s[14:15], 0
	s_cselect_b32 s14, -1, 0
	s_or_b32 s11, s11, s14
	s_sub_nc_u64 s[14:15], s[20:21], s[16:17]
	s_and_not1_b32 vcc_lo, exec_lo, s11
	s_mov_b32 s11, -1
	s_cbranch_vccz .LBB83_5
; %bb.1:
	v_min_i64 v[2:3], 0x10000, s[14:15]
	v_dual_mov_b32 v7, 0 :: v_dual_lshlrev_b32 v6, 2, v0
	s_mov_b32 s23, exec_lo
	s_delay_alu instid0(VALU_DEP_1)
	v_cmpx_lt_i64_e64 v[6:7], v[2:3]
	s_cbranch_execz .LBB83_4
; %bb.2:
	s_load_b32 s16, s[0:1], 0xc5c
	v_dual_mov_b32 v1, v7 :: v_dual_lshlrev_b32 v6, 4, v0
	s_wait_kmcnt 0x0
	s_mov_b32 s11, s10
	s_cmp_eq_f32 s10, 1.0
	v_mov_b64_e32 v[4:5], s[10:11]
	v_mov_b64_e32 v[8:9], v[0:1]
	v_add_nc_u64_e32 v[6:7], s[4:5], v[6:7]
	s_mov_b32 s17, 0
	s_add_nc_u64 s[18:19], s[2:3], 8
	s_cselect_b32 s2, -1, 0
	s_mov_b32 s24, s22
	s_mov_b32 s21, s17
	;; [unrolled: 1-line block ×3, first 2 shown]
	s_and_b32 s16, s16, 0xffff
	s_delay_alu instid0(SALU_CYCLE_1)
	s_lshl_b32 s20, s16, 4
.LBB83_3:                               ; =>This Inner Loop Header: Depth=1
	v_add_nc_u64_e32 v[10:11], s[12:13], v[6:7]
	v_add_nc_u64_e32 v[18:19], s[18:19], v[6:7]
	;; [unrolled: 1-line block ×4, first 2 shown]
	global_load_b128 v[10:13], v[10:11], off
	global_load_b128 v[14:17], v[18:19], off offset:-8
	v_lshlrev_b64_e32 v[20:21], 2, v[8:9]
	s_wait_loadcnt 0x1
	v_div_scale_f32 v1, null, v11, v11, s24
	v_div_scale_f32 v23, null, v10, v10, s22
	;; [unrolled: 1-line block ×3, first 2 shown]
	s_delay_alu instid0(VALU_DEP_3) | instskip(SKIP_1) | instid1(VALU_DEP_3)
	v_rcp_f32_e32 v29, v1
	v_div_scale_f32 v27, null, v12, v12, s22
	v_rcp_f32_e32 v30, v23
	s_delay_alu instid0(VALU_DEP_2) | instskip(SKIP_1) | instid1(VALU_DEP_2)
	v_rcp_f32_e32 v31, v25
	v_div_scale_f32 v22, vcc_lo, s24, v11, s24
	v_rcp_f32_e32 v32, v27
	v_fma_f32 v33, -v1, v29, 1.0
	v_div_scale_f32 v24, s3, s22, v10, s22
	s_delay_alu instid0(TRANS32_DEP_3) | instskip(NEXT) | instid1(TRANS32_DEP_2)
	v_fma_f32 v34, -v23, v30, 1.0
	v_fma_f32 v35, -v25, v31, 1.0
	s_delay_alu instid0(VALU_DEP_4) | instskip(NEXT) | instid1(TRANS32_DEP_1)
	v_fmac_f32_e32 v29, v33, v29
	v_fma_f32 v36, -v27, v32, 1.0
	v_div_scale_f32 v26, s4, s24, v13, s24
	s_delay_alu instid0(VALU_DEP_4) | instskip(NEXT) | instid1(VALU_DEP_3)
	v_dual_fmac_f32 v30, v34, v30 :: v_dual_fmac_f32 v31, v35, v31
	v_dual_fmac_f32 v32, v36, v32 :: v_dual_mul_f32 v33, v22, v29
	v_div_scale_f32 v28, s5, s22, v12, s22
	s_delay_alu instid0(VALU_DEP_3) | instskip(NEXT) | instid1(VALU_DEP_2)
	v_dual_mul_f32 v34, v24, v30 :: v_dual_mul_f32 v35, v26, v31
	v_dual_fma_f32 v37, -v1, v33, v22 :: v_dual_mul_f32 v36, v28, v32
	s_delay_alu instid0(VALU_DEP_2) | instskip(NEXT) | instid1(VALU_DEP_2)
	v_dual_fma_f32 v38, -v23, v34, v24 :: v_dual_fma_f32 v39, -v25, v35, v26
	v_dual_fmac_f32 v33, v37, v29 :: v_dual_fma_f32 v40, -v27, v36, v28
	s_delay_alu instid0(VALU_DEP_2) | instskip(NEXT) | instid1(VALU_DEP_2)
	v_dual_fmac_f32 v34, v38, v30 :: v_dual_fmac_f32 v35, v39, v31
	v_dual_fma_f32 v1, -v1, v33, v22 :: v_dual_fmac_f32 v36, v40, v32
	s_delay_alu instid0(VALU_DEP_2) | instskip(NEXT) | instid1(VALU_DEP_2)
	v_dual_fma_f32 v22, -v23, v34, v24 :: v_dual_fma_f32 v23, -v25, v35, v26
	v_div_fmas_f32 v1, v1, v29, v33
	s_mov_b32 vcc_lo, s3
	s_delay_alu instid0(VALU_DEP_3) | instskip(NEXT) | instid1(VALU_DEP_3)
	v_fma_f32 v24, -v27, v36, v28
	v_div_fmas_f32 v22, v22, v30, v34
	s_mov_b32 vcc_lo, s4
	s_wait_xcnt 0x1
	v_div_fixup_f32 v11, v1, v11, s24
	v_div_fmas_f32 v23, v23, v31, v35
	s_mov_b32 vcc_lo, s5
	v_div_fixup_f32 v10, v22, v10, s22
	v_div_fmas_f32 v1, v24, v32, v36
	v_cmp_ge_i64_e32 vcc_lo, v[20:21], v[2:3]
	v_div_fixup_f32 v13, v23, v13, s24
	s_wait_loadcnt 0x0
	v_pk_add_f32 v[22:23], v[14:15], v[10:11]
	v_div_fixup_f32 v12, v1, v12, s22
	v_pk_fma_f32 v[10:11], v[4:5], v[10:11], v[14:15]
	s_or_b32 s11, vcc_lo, s11
	s_delay_alu instid0(VALU_DEP_2) | instskip(SKIP_1) | instid1(VALU_DEP_3)
	v_pk_add_f32 v[14:15], v[16:17], v[12:13]
	v_pk_fma_f32 v[12:13], v[4:5], v[12:13], v[16:17]
	v_dual_cndmask_b32 v11, v11, v23, s2 :: v_dual_cndmask_b32 v10, v10, v22, s2
	s_delay_alu instid0(VALU_DEP_2)
	v_dual_cndmask_b32 v13, v13, v15, s2 :: v_dual_cndmask_b32 v12, v12, v14, s2
	global_store_b128 v[18:19], v[10:13], off offset:-8
	s_wait_xcnt 0x0
	s_and_not1_b32 exec_lo, exec_lo, s11
	s_cbranch_execnz .LBB83_3
.LBB83_4:
	s_or_b32 exec_lo, exec_lo, s23
	s_mov_b32 s11, 0
.LBB83_5:
	s_delay_alu instid0(SALU_CYCLE_1)
	s_and_not1_b32 vcc_lo, exec_lo, s11
	s_cbranch_vccnz .LBB83_25
; %bb.6:
	v_cmp_lt_i64_e64 s2, s[14:15], 1
	s_and_b32 vcc_lo, exec_lo, s2
	s_cbranch_vccnz .LBB83_25
; %bb.7:
	v_min_i64 v[2:3], 0x10000, s[14:15]
	v_min_u64 v[4:5], 0x10000, s[14:15]
	s_wait_xcnt 0x0
	s_load_b32 s0, s[0:1], 0xc5c
	v_mov_b32_e32 v1, 0
	s_mov_b32 s3, 0
	s_mov_b64 s[16:17], 0
	s_mov_b32 s5, s3
	s_mov_b32 s13, s3
	;; [unrolled: 1-line block ×3, first 2 shown]
	s_wait_kmcnt 0x0
	s_and_b32 s2, s0, 0xffff
	s_cmp_eq_f32 s10, 1.0
	s_mul_i32 s12, s2, 3
	s_cselect_b32 s0, -1, 0
	s_lshl_b32 s4, s2, 1
	s_lshl_b32 s14, s2, 2
	s_branch .LBB83_9
.LBB83_8:                               ;   in Loop: Header=BB83_9 Depth=1
	s_wait_xcnt 0x0
	s_or_b32 exec_lo, exec_lo, s1
	s_add_nc_u64 s[16:17], s[16:17], s[14:15]
	s_delay_alu instid0(SALU_CYCLE_1)
	v_cmp_ge_i64_e32 vcc_lo, s[16:17], v[2:3]
	s_cbranch_vccnz .LBB83_25
.LBB83_9:                               ; =>This Inner Loop Header: Depth=1
	v_add_nc_u64_e32 v[12:13], s[16:17], v[0:1]
	s_wait_loadcnt 0x0
	v_dual_mov_b32 v21, 0 :: v_dual_mov_b32 v20, 0
	s_mov_b32 s1, exec_lo
	s_delay_alu instid0(VALU_DEP_2)
	v_cmpx_lt_i64_e64 v[12:13], v[2:3]
	s_cbranch_execz .LBB83_11
; %bb.10:                               ;   in Loop: Header=BB83_9 Depth=1
	v_lshlrev_b64_e32 v[6:7], 2, v[12:13]
	s_delay_alu instid0(VALU_DEP_1)
	v_add_nc_u64_e32 v[8:9], s[8:9], v[6:7]
	v_add_nc_u64_e32 v[6:7], s[6:7], v[6:7]
	global_load_b32 v20, v[8:9], off
	global_load_b32 v21, v[6:7], off
.LBB83_11:                              ;   in Loop: Header=BB83_9 Depth=1
	s_wait_xcnt 0x0
	s_or_b32 exec_lo, exec_lo, s1
	v_add_nc_u64_e32 v[10:11], s[2:3], v[12:13]
	v_dual_mov_b32 v14, 0 :: v_dual_mov_b32 v19, 0
	v_mov_b32_e32 v18, 0
	s_mov_b32 s1, exec_lo
	s_delay_alu instid0(VALU_DEP_3)
	v_cmpx_lt_i64_e64 v[10:11], v[2:3]
	s_cbranch_execz .LBB83_13
; %bb.12:                               ;   in Loop: Header=BB83_9 Depth=1
	v_lshlrev_b64_e32 v[6:7], 2, v[10:11]
	s_delay_alu instid0(VALU_DEP_1)
	v_add_nc_u64_e32 v[8:9], s[8:9], v[6:7]
	v_add_nc_u64_e32 v[6:7], s[6:7], v[6:7]
	global_load_b32 v18, v[8:9], off
	global_load_b32 v19, v[6:7], off
.LBB83_13:                              ;   in Loop: Header=BB83_9 Depth=1
	s_wait_xcnt 0x0
	s_or_b32 exec_lo, exec_lo, s1
	v_add_nc_u64_e32 v[8:9], s[4:5], v[12:13]
	v_mov_b32_e32 v17, 0
	s_mov_b32 s1, exec_lo
	s_delay_alu instid0(VALU_DEP_2)
	v_cmpx_lt_i64_e64 v[8:9], v[2:3]
	s_cbranch_execz .LBB83_15
; %bb.14:                               ;   in Loop: Header=BB83_9 Depth=1
	v_lshlrev_b64_e32 v[6:7], 2, v[8:9]
	s_delay_alu instid0(VALU_DEP_1)
	v_add_nc_u64_e32 v[22:23], s[8:9], v[6:7]
	v_add_nc_u64_e32 v[6:7], s[6:7], v[6:7]
	global_load_b32 v17, v[22:23], off
	global_load_b32 v14, v[6:7], off
.LBB83_15:                              ;   in Loop: Header=BB83_9 Depth=1
	s_wait_xcnt 0x0
	s_or_b32 exec_lo, exec_lo, s1
	v_add_nc_u64_e32 v[6:7], s[12:13], v[12:13]
	v_dual_mov_b32 v16, 0 :: v_dual_mov_b32 v15, 0
	s_mov_b32 s1, exec_lo
	s_delay_alu instid0(VALU_DEP_2)
	v_cmpx_lt_i64_e64 v[6:7], v[2:3]
	s_cbranch_execnz .LBB83_20
; %bb.16:                               ;   in Loop: Header=BB83_9 Depth=1
	s_or_b32 exec_lo, exec_lo, s1
	s_delay_alu instid0(SALU_CYCLE_1)
	s_mov_b32 s1, exec_lo
	v_cmpx_lt_u64_e64 v[12:13], v[4:5]
	s_cbranch_execnz .LBB83_21
.LBB83_17:                              ;   in Loop: Header=BB83_9 Depth=1
	s_or_b32 exec_lo, exec_lo, s1
	s_delay_alu instid0(SALU_CYCLE_1)
	s_mov_b32 s1, exec_lo
	v_cmpx_lt_u64_e64 v[10:11], v[4:5]
	s_cbranch_execnz .LBB83_22
.LBB83_18:                              ;   in Loop: Header=BB83_9 Depth=1
	s_or_b32 exec_lo, exec_lo, s1
	s_delay_alu instid0(SALU_CYCLE_1)
	s_mov_b32 s1, exec_lo
	v_cmpx_lt_u64_e64 v[8:9], v[4:5]
	s_cbranch_execnz .LBB83_23
.LBB83_19:                              ;   in Loop: Header=BB83_9 Depth=1
	s_or_b32 exec_lo, exec_lo, s1
	s_delay_alu instid0(SALU_CYCLE_1)
	s_mov_b32 s1, exec_lo
	v_cmpx_lt_u64_e64 v[6:7], v[4:5]
	s_cbranch_execz .LBB83_8
	s_branch .LBB83_24
.LBB83_20:                              ;   in Loop: Header=BB83_9 Depth=1
	v_lshlrev_b64_e32 v[22:23], 2, v[6:7]
	s_delay_alu instid0(VALU_DEP_1)
	v_add_nc_u64_e32 v[24:25], s[8:9], v[22:23]
	v_add_nc_u64_e32 v[22:23], s[6:7], v[22:23]
	global_load_b32 v15, v[24:25], off
	global_load_b32 v16, v[22:23], off
	s_wait_xcnt 0x0
	s_or_b32 exec_lo, exec_lo, s1
	s_delay_alu instid0(SALU_CYCLE_1)
	s_mov_b32 s1, exec_lo
	v_cmpx_lt_u64_e64 v[12:13], v[4:5]
	s_cbranch_execz .LBB83_17
.LBB83_21:                              ;   in Loop: Header=BB83_9 Depth=1
	s_wait_loadcnt 0x0
	v_div_scale_f32 v22, null, v21, v21, s22
	v_div_scale_f32 v25, vcc_lo, s22, v21, s22
	v_lshl_add_u64 v[12:13], v[12:13], 2, s[8:9]
	s_delay_alu instid0(VALU_DEP_3) | instskip(SKIP_1) | instid1(TRANS32_DEP_1)
	v_rcp_f32_e32 v23, v22
	v_nop
	v_fma_f32 v24, -v22, v23, 1.0
	s_delay_alu instid0(VALU_DEP_1) | instskip(NEXT) | instid1(VALU_DEP_1)
	v_fmac_f32_e32 v23, v24, v23
	v_mul_f32_e32 v24, v25, v23
	s_delay_alu instid0(VALU_DEP_1) | instskip(NEXT) | instid1(VALU_DEP_1)
	v_fma_f32 v26, -v22, v24, v25
	v_fmac_f32_e32 v24, v26, v23
	s_delay_alu instid0(VALU_DEP_1) | instskip(NEXT) | instid1(VALU_DEP_1)
	v_fma_f32 v22, -v22, v24, v25
	v_div_fmas_f32 v22, v22, v23, v24
	s_delay_alu instid0(VALU_DEP_1) | instskip(NEXT) | instid1(VALU_DEP_1)
	v_div_fixup_f32 v21, v22, v21, s22
	v_dual_add_f32 v22, v20, v21 :: v_dual_fmac_f32 v20, s10, v21
	s_delay_alu instid0(VALU_DEP_1) | instskip(SKIP_3) | instid1(SALU_CYCLE_1)
	v_cndmask_b32_e64 v20, v20, v22, s0
	global_store_b32 v[12:13], v20, off
	s_wait_xcnt 0x0
	s_or_b32 exec_lo, exec_lo, s1
	s_mov_b32 s1, exec_lo
	v_cmpx_lt_u64_e64 v[10:11], v[4:5]
	s_cbranch_execz .LBB83_18
.LBB83_22:                              ;   in Loop: Header=BB83_9 Depth=1
	s_wait_loadcnt 0x0
	v_div_scale_f32 v12, null, v19, v19, s22
	v_div_scale_f32 v21, vcc_lo, s22, v19, s22
	v_lshl_add_u64 v[10:11], v[10:11], 2, s[8:9]
	s_delay_alu instid0(VALU_DEP_3) | instskip(SKIP_1) | instid1(TRANS32_DEP_1)
	v_rcp_f32_e32 v13, v12
	v_nop
	v_fma_f32 v20, -v12, v13, 1.0
	s_delay_alu instid0(VALU_DEP_1) | instskip(NEXT) | instid1(VALU_DEP_1)
	v_fmac_f32_e32 v13, v20, v13
	v_mul_f32_e32 v20, v21, v13
	s_delay_alu instid0(VALU_DEP_1) | instskip(NEXT) | instid1(VALU_DEP_1)
	v_fma_f32 v22, -v12, v20, v21
	v_fmac_f32_e32 v20, v22, v13
	s_delay_alu instid0(VALU_DEP_1) | instskip(NEXT) | instid1(VALU_DEP_1)
	v_fma_f32 v12, -v12, v20, v21
	v_div_fmas_f32 v12, v12, v13, v20
	s_delay_alu instid0(VALU_DEP_1) | instskip(NEXT) | instid1(VALU_DEP_1)
	v_div_fixup_f32 v12, v12, v19, s22
	v_dual_add_f32 v13, v18, v12 :: v_dual_fmac_f32 v18, s10, v12
	s_delay_alu instid0(VALU_DEP_1) | instskip(SKIP_3) | instid1(SALU_CYCLE_1)
	v_cndmask_b32_e64 v12, v18, v13, s0
	global_store_b32 v[10:11], v12, off
	s_wait_xcnt 0x0
	s_or_b32 exec_lo, exec_lo, s1
	s_mov_b32 s1, exec_lo
	v_cmpx_lt_u64_e64 v[8:9], v[4:5]
	s_cbranch_execz .LBB83_19
.LBB83_23:                              ;   in Loop: Header=BB83_9 Depth=1
	s_wait_loadcnt 0x0
	v_div_scale_f32 v10, null, v14, v14, s22
	v_div_scale_f32 v13, vcc_lo, s22, v14, s22
	v_lshl_add_u64 v[8:9], v[8:9], 2, s[8:9]
	s_delay_alu instid0(VALU_DEP_3) | instskip(SKIP_1) | instid1(TRANS32_DEP_1)
	v_rcp_f32_e32 v11, v10
	v_nop
	v_fma_f32 v12, -v10, v11, 1.0
	s_delay_alu instid0(VALU_DEP_1) | instskip(NEXT) | instid1(VALU_DEP_1)
	v_fmac_f32_e32 v11, v12, v11
	v_mul_f32_e32 v12, v13, v11
	s_delay_alu instid0(VALU_DEP_1) | instskip(NEXT) | instid1(VALU_DEP_1)
	v_fma_f32 v18, -v10, v12, v13
	v_fmac_f32_e32 v12, v18, v11
	s_delay_alu instid0(VALU_DEP_1) | instskip(NEXT) | instid1(VALU_DEP_1)
	v_fma_f32 v10, -v10, v12, v13
	v_div_fmas_f32 v10, v10, v11, v12
	s_delay_alu instid0(VALU_DEP_1) | instskip(NEXT) | instid1(VALU_DEP_1)
	v_div_fixup_f32 v10, v10, v14, s22
	v_dual_add_f32 v11, v17, v10 :: v_dual_fmac_f32 v17, s10, v10
	s_delay_alu instid0(VALU_DEP_1) | instskip(SKIP_3) | instid1(SALU_CYCLE_1)
	v_cndmask_b32_e64 v10, v17, v11, s0
	global_store_b32 v[8:9], v10, off
	s_wait_xcnt 0x0
	s_or_b32 exec_lo, exec_lo, s1
	s_mov_b32 s1, exec_lo
	v_cmpx_lt_u64_e64 v[6:7], v[4:5]
	s_cbranch_execz .LBB83_8
.LBB83_24:                              ;   in Loop: Header=BB83_9 Depth=1
	s_wait_loadcnt 0x0
	v_div_scale_f32 v8, null, v16, v16, s22
	v_div_scale_f32 v11, vcc_lo, s22, v16, s22
	v_lshl_add_u64 v[6:7], v[6:7], 2, s[8:9]
	s_delay_alu instid0(VALU_DEP_3) | instskip(SKIP_1) | instid1(TRANS32_DEP_1)
	v_rcp_f32_e32 v9, v8
	v_nop
	v_fma_f32 v10, -v8, v9, 1.0
	s_delay_alu instid0(VALU_DEP_1) | instskip(NEXT) | instid1(VALU_DEP_1)
	v_fmac_f32_e32 v9, v10, v9
	v_mul_f32_e32 v10, v11, v9
	s_delay_alu instid0(VALU_DEP_1) | instskip(NEXT) | instid1(VALU_DEP_1)
	v_fma_f32 v12, -v8, v10, v11
	v_fmac_f32_e32 v10, v12, v9
	s_delay_alu instid0(VALU_DEP_1) | instskip(NEXT) | instid1(VALU_DEP_1)
	v_fma_f32 v8, -v8, v10, v11
	v_div_fmas_f32 v8, v8, v9, v10
	s_delay_alu instid0(VALU_DEP_1) | instskip(NEXT) | instid1(VALU_DEP_1)
	v_div_fixup_f32 v8, v8, v16, s22
	v_dual_add_f32 v9, v15, v8 :: v_dual_fmac_f32 v15, s10, v8
	s_delay_alu instid0(VALU_DEP_1)
	v_cndmask_b32_e64 v8, v15, v9, s0
	global_store_b32 v[6:7], v8, off
	s_branch .LBB83_8
.LBB83_25:
	s_endpgm
	.section	.rodata,"a",@progbits
	.p2align	6, 0x0
	.amdhsa_kernel _ZN2at6native12_GLOBAL__N_125multi_tensor_apply_kernelINS1_18TensorListMetadataILi3EEENS1_32PointwiseOpScalar0dTensorFunctorIfLi3ELi2ELi0EEEJSt7dividesIfEfEEEvT_T0_DpT1_
		.amdhsa_group_segment_fixed_size 0
		.amdhsa_private_segment_fixed_size 0
		.amdhsa_kernarg_size 3408
		.amdhsa_user_sgpr_count 2
		.amdhsa_user_sgpr_dispatch_ptr 0
		.amdhsa_user_sgpr_queue_ptr 0
		.amdhsa_user_sgpr_kernarg_segment_ptr 1
		.amdhsa_user_sgpr_dispatch_id 0
		.amdhsa_user_sgpr_kernarg_preload_length 0
		.amdhsa_user_sgpr_kernarg_preload_offset 0
		.amdhsa_user_sgpr_private_segment_size 0
		.amdhsa_wavefront_size32 1
		.amdhsa_uses_dynamic_stack 0
		.amdhsa_enable_private_segment 0
		.amdhsa_system_sgpr_workgroup_id_x 1
		.amdhsa_system_sgpr_workgroup_id_y 0
		.amdhsa_system_sgpr_workgroup_id_z 0
		.amdhsa_system_sgpr_workgroup_info 0
		.amdhsa_system_vgpr_workitem_id 0
		.amdhsa_next_free_vgpr 41
		.amdhsa_next_free_sgpr 26
		.amdhsa_named_barrier_count 0
		.amdhsa_reserve_vcc 1
		.amdhsa_float_round_mode_32 0
		.amdhsa_float_round_mode_16_64 0
		.amdhsa_float_denorm_mode_32 3
		.amdhsa_float_denorm_mode_16_64 3
		.amdhsa_fp16_overflow 0
		.amdhsa_memory_ordered 1
		.amdhsa_forward_progress 1
		.amdhsa_inst_pref_size 17
		.amdhsa_round_robin_scheduling 0
		.amdhsa_exception_fp_ieee_invalid_op 0
		.amdhsa_exception_fp_denorm_src 0
		.amdhsa_exception_fp_ieee_div_zero 0
		.amdhsa_exception_fp_ieee_overflow 0
		.amdhsa_exception_fp_ieee_underflow 0
		.amdhsa_exception_fp_ieee_inexact 0
		.amdhsa_exception_int_div_zero 0
	.end_amdhsa_kernel
	.section	.text._ZN2at6native12_GLOBAL__N_125multi_tensor_apply_kernelINS1_18TensorListMetadataILi3EEENS1_32PointwiseOpScalar0dTensorFunctorIfLi3ELi2ELi0EEEJSt7dividesIfEfEEEvT_T0_DpT1_,"axG",@progbits,_ZN2at6native12_GLOBAL__N_125multi_tensor_apply_kernelINS1_18TensorListMetadataILi3EEENS1_32PointwiseOpScalar0dTensorFunctorIfLi3ELi2ELi0EEEJSt7dividesIfEfEEEvT_T0_DpT1_,comdat
.Lfunc_end83:
	.size	_ZN2at6native12_GLOBAL__N_125multi_tensor_apply_kernelINS1_18TensorListMetadataILi3EEENS1_32PointwiseOpScalar0dTensorFunctorIfLi3ELi2ELi0EEEJSt7dividesIfEfEEEvT_T0_DpT1_, .Lfunc_end83-_ZN2at6native12_GLOBAL__N_125multi_tensor_apply_kernelINS1_18TensorListMetadataILi3EEENS1_32PointwiseOpScalar0dTensorFunctorIfLi3ELi2ELi0EEEJSt7dividesIfEfEEEvT_T0_DpT1_
                                        ; -- End function
	.set _ZN2at6native12_GLOBAL__N_125multi_tensor_apply_kernelINS1_18TensorListMetadataILi3EEENS1_32PointwiseOpScalar0dTensorFunctorIfLi3ELi2ELi0EEEJSt7dividesIfEfEEEvT_T0_DpT1_.num_vgpr, 41
	.set _ZN2at6native12_GLOBAL__N_125multi_tensor_apply_kernelINS1_18TensorListMetadataILi3EEENS1_32PointwiseOpScalar0dTensorFunctorIfLi3ELi2ELi0EEEJSt7dividesIfEfEEEvT_T0_DpT1_.num_agpr, 0
	.set _ZN2at6native12_GLOBAL__N_125multi_tensor_apply_kernelINS1_18TensorListMetadataILi3EEENS1_32PointwiseOpScalar0dTensorFunctorIfLi3ELi2ELi0EEEJSt7dividesIfEfEEEvT_T0_DpT1_.numbered_sgpr, 26
	.set _ZN2at6native12_GLOBAL__N_125multi_tensor_apply_kernelINS1_18TensorListMetadataILi3EEENS1_32PointwiseOpScalar0dTensorFunctorIfLi3ELi2ELi0EEEJSt7dividesIfEfEEEvT_T0_DpT1_.num_named_barrier, 0
	.set _ZN2at6native12_GLOBAL__N_125multi_tensor_apply_kernelINS1_18TensorListMetadataILi3EEENS1_32PointwiseOpScalar0dTensorFunctorIfLi3ELi2ELi0EEEJSt7dividesIfEfEEEvT_T0_DpT1_.private_seg_size, 0
	.set _ZN2at6native12_GLOBAL__N_125multi_tensor_apply_kernelINS1_18TensorListMetadataILi3EEENS1_32PointwiseOpScalar0dTensorFunctorIfLi3ELi2ELi0EEEJSt7dividesIfEfEEEvT_T0_DpT1_.uses_vcc, 1
	.set _ZN2at6native12_GLOBAL__N_125multi_tensor_apply_kernelINS1_18TensorListMetadataILi3EEENS1_32PointwiseOpScalar0dTensorFunctorIfLi3ELi2ELi0EEEJSt7dividesIfEfEEEvT_T0_DpT1_.uses_flat_scratch, 0
	.set _ZN2at6native12_GLOBAL__N_125multi_tensor_apply_kernelINS1_18TensorListMetadataILi3EEENS1_32PointwiseOpScalar0dTensorFunctorIfLi3ELi2ELi0EEEJSt7dividesIfEfEEEvT_T0_DpT1_.has_dyn_sized_stack, 0
	.set _ZN2at6native12_GLOBAL__N_125multi_tensor_apply_kernelINS1_18TensorListMetadataILi3EEENS1_32PointwiseOpScalar0dTensorFunctorIfLi3ELi2ELi0EEEJSt7dividesIfEfEEEvT_T0_DpT1_.has_recursion, 0
	.set _ZN2at6native12_GLOBAL__N_125multi_tensor_apply_kernelINS1_18TensorListMetadataILi3EEENS1_32PointwiseOpScalar0dTensorFunctorIfLi3ELi2ELi0EEEJSt7dividesIfEfEEEvT_T0_DpT1_.has_indirect_call, 0
	.section	.AMDGPU.csdata,"",@progbits
; Kernel info:
; codeLenInByte = 2080
; TotalNumSgprs: 28
; NumVgprs: 41
; ScratchSize: 0
; MemoryBound: 0
; FloatMode: 240
; IeeeMode: 1
; LDSByteSize: 0 bytes/workgroup (compile time only)
; SGPRBlocks: 0
; VGPRBlocks: 2
; NumSGPRsForWavesPerEU: 28
; NumVGPRsForWavesPerEU: 41
; NamedBarCnt: 0
; Occupancy: 16
; WaveLimiterHint : 0
; COMPUTE_PGM_RSRC2:SCRATCH_EN: 0
; COMPUTE_PGM_RSRC2:USER_SGPR: 2
; COMPUTE_PGM_RSRC2:TRAP_HANDLER: 0
; COMPUTE_PGM_RSRC2:TGID_X_EN: 1
; COMPUTE_PGM_RSRC2:TGID_Y_EN: 0
; COMPUTE_PGM_RSRC2:TGID_Z_EN: 0
; COMPUTE_PGM_RSRC2:TIDIG_COMP_CNT: 0
	.section	.text._ZN2at6native12_GLOBAL__N_125multi_tensor_apply_kernelINS1_18TensorListMetadataILi3EEENS1_32PointwiseOpScalar0dTensorFunctorIN3c107complexIdEELi3ELi2ELi0EEEJSt7dividesIS8_ES8_EEEvT_T0_DpT1_,"axG",@progbits,_ZN2at6native12_GLOBAL__N_125multi_tensor_apply_kernelINS1_18TensorListMetadataILi3EEENS1_32PointwiseOpScalar0dTensorFunctorIN3c107complexIdEELi3ELi2ELi0EEEJSt7dividesIS8_ES8_EEEvT_T0_DpT1_,comdat
	.globl	_ZN2at6native12_GLOBAL__N_125multi_tensor_apply_kernelINS1_18TensorListMetadataILi3EEENS1_32PointwiseOpScalar0dTensorFunctorIN3c107complexIdEELi3ELi2ELi0EEEJSt7dividesIS8_ES8_EEEvT_T0_DpT1_ ; -- Begin function _ZN2at6native12_GLOBAL__N_125multi_tensor_apply_kernelINS1_18TensorListMetadataILi3EEENS1_32PointwiseOpScalar0dTensorFunctorIN3c107complexIdEELi3ELi2ELi0EEEJSt7dividesIS8_ES8_EEEvT_T0_DpT1_
	.p2align	8
	.type	_ZN2at6native12_GLOBAL__N_125multi_tensor_apply_kernelINS1_18TensorListMetadataILi3EEENS1_32PointwiseOpScalar0dTensorFunctorIN3c107complexIdEELi3ELi2ELi0EEEJSt7dividesIS8_ES8_EEEvT_T0_DpT1_,@function
_ZN2at6native12_GLOBAL__N_125multi_tensor_apply_kernelINS1_18TensorListMetadataILi3EEENS1_32PointwiseOpScalar0dTensorFunctorIN3c107complexIdEELi3ELi2ELi0EEEJSt7dividesIS8_ES8_EEEvT_T0_DpT1_: ; @_ZN2at6native12_GLOBAL__N_125multi_tensor_apply_kernelINS1_18TensorListMetadataILi3EEENS1_32PointwiseOpScalar0dTensorFunctorIN3c107complexIdEELi3ELi2ELi0EEEJSt7dividesIS8_ES8_EEEvT_T0_DpT1_
; %bb.0:
	s_bfe_u32 s2, ttmp6, 0x4000c
	s_and_b32 s3, ttmp6, 15
	s_add_co_i32 s2, s2, 1
	s_getreg_b32 s4, hwreg(HW_REG_IB_STS2, 6, 4)
	s_mul_i32 s2, ttmp9, s2
	s_delay_alu instid0(SALU_CYCLE_1) | instskip(SKIP_3) | instid1(SALU_CYCLE_1)
	s_add_co_i32 s2, s3, s2
	s_cmp_eq_u32 s4, 0
	s_mov_b32 s3, 0
	s_cselect_b32 s2, ttmp9, s2
	s_add_nc_u64 s[4:5], s[0:1], s[2:3]
	s_mul_u64 s[6:7], s[2:3], 3
	s_delay_alu instid0(SALU_CYCLE_1)
	s_add_nc_u64 s[4:5], s[4:5], s[6:7]
	s_clause 0x1
	s_load_b32 s6, s[4:5], 0x740
	s_load_u8 s7, s[0:1], s2 offset:0x600
	s_wait_kmcnt 0x0
	s_clause 0x3
	s_load_b64 s[8:9], s[0:1], s7 offset:0x180 scale_offset
	s_load_b64 s[4:5], s[0:1], s7 offset:0x300 scale_offset
	;; [unrolled: 1-line block ×4, first 2 shown]
	s_wait_xcnt 0x0
	s_ashr_i32 s7, s6, 31
	s_delay_alu instid0(SALU_CYCLE_1)
	s_lshl_b64 s[14:15], s[6:7], 20
	s_lshl_b64 s[20:21], s[6:7], 16
	s_wait_kmcnt 0x0
	s_add_nc_u64 s[18:19], s[8:9], s[14:15]
	s_add_nc_u64 s[12:13], s[4:5], s[14:15]
	;; [unrolled: 1-line block ×3, first 2 shown]
	s_load_b128 s[4:7], s[0:1], 0xc50
	s_or_b32 s2, s12, s18
	s_load_b128 s[8:11], s[8:9], 0x0
	s_and_b32 s2, s2, 63
	s_and_b64 s[18:19], s[14:15], 63
	s_cmp_lg_u32 s2, 0
	s_cselect_b32 s22, -1, 0
	s_and_b32 s2, s16, 3
	s_sub_nc_u64 s[16:17], s[16:17], s[20:21]
	s_or_b64 s[2:3], s[18:19], s[2:3]
	s_delay_alu instid0(SALU_CYCLE_1) | instskip(SKIP_1) | instid1(SALU_CYCLE_1)
	s_cmp_lg_u64 s[2:3], 0
	s_cselect_b32 s2, -1, 0
	s_or_b32 s2, s22, s2
	s_delay_alu instid0(SALU_CYCLE_1)
	s_and_not1_b32 vcc_lo, exec_lo, s2
	s_mov_b32 s2, -1
	s_cbranch_vccz .LBB84_85
; %bb.1:
	v_min_i64 v[34:35], 0x10000, s[16:17]
	v_dual_mov_b32 v37, 0 :: v_dual_lshlrev_b32 v36, 2, v0
	s_mov_b32 s26, exec_lo
	s_delay_alu instid0(VALU_DEP_1)
	v_cmpx_lt_i64_e64 v[36:37], v[34:35]
	s_cbranch_execz .LBB84_84
; %bb.2:
	s_wait_kmcnt 0x0
	v_cmp_neq_f64_e64 s2, s[4:5], 1.0
	v_cmp_neq_f64_e64 s3, s[6:7], 0
	s_load_b32 s18, s[0:1], 0xc6c
	v_dual_mov_b32 v1, v37 :: v_dual_lshlrev_b32 v36, 6, v0
	s_mov_b32 s19, 0
	s_mov_b64 s[20:21], s[14:15]
	s_mov_b32 s23, s19
	s_delay_alu instid0(VALU_DEP_1) | instskip(SKIP_4) | instid1(SALU_CYCLE_1)
	v_mov_b64_e32 v[38:39], v[0:1]
	s_mov_b32 s27, s19
	s_mov_b64 s[24:25], s[12:13]
	s_wait_kmcnt 0x0
	s_and_b32 s18, s18, 0xffff
	s_lshl_b32 s22, s18, 6
	s_or_b32 s28, s2, s3
	s_branch .LBB84_5
.LBB84_3:                               ;   in Loop: Header=BB84_5 Depth=1
	s_or_b32 exec_lo, exec_lo, s2
.LBB84_4:                               ;   in Loop: Header=BB84_5 Depth=1
	v_add_f64_e32 v[12:13], v[12:13], v[42:43]
	v_add_f64_e32 v[10:11], v[10:11], v[44:45]
	;; [unrolled: 1-line block ×8, first 2 shown]
	v_add_nc_u64_e32 v[38:39], s[18:19], v[38:39]
	s_add_nc_u64 s[24:25], s[24:25], s[22:23]
	s_add_nc_u64 s[20:21], s[20:21], s[22:23]
	s_clause 0x3
	global_store_b128 v[40:41], v[10:13], off
	global_store_b128 v[40:41], v[6:9], off offset:16
	global_store_b128 v[40:41], v[14:17], off offset:32
	;; [unrolled: 1-line block ×3, first 2 shown]
	v_lshlrev_b64_e32 v[18:19], 2, v[38:39]
	s_delay_alu instid0(VALU_DEP_1)
	v_cmp_ge_i64_e32 vcc_lo, v[18:19], v[34:35]
	s_or_b32 s27, vcc_lo, s27
	s_wait_xcnt 0x0
	s_and_not1_b32 exec_lo, exec_lo, s27
	s_cbranch_execz .LBB84_84
.LBB84_5:                               ; =>This Inner Loop Header: Depth=1
	v_add_nc_u64_e32 v[42:43], s[24:25], v[36:37]
	v_add_nc_u64_e32 v[40:41], s[20:21], v[36:37]
	s_mov_b32 s3, -1
                                        ; implicit-def: $vgpr44_vgpr45
	s_clause 0x1
	global_load_b128 v[30:33], v[42:43], off
	global_load_b128 v[26:29], v[42:43], off offset:16
	s_clause 0x3
	global_load_b128 v[2:5], v[40:41], off offset:48
	global_load_b128 v[14:17], v[40:41], off offset:32
	;; [unrolled: 1-line block ×3, first 2 shown]
	global_load_b128 v[10:13], v[40:41], off
	s_clause 0x1
	global_load_b128 v[18:21], v[42:43], off offset:48
	global_load_b128 v[22:25], v[42:43], off offset:32
	s_wait_loadcnt 0x7
	v_cmp_gt_f64_e32 vcc_lo, 0, v[30:31]
	v_xor_b32_e32 v1, 0x80000000, v31
	v_mov_b32_e32 v46, v30
	s_wait_xcnt 0x0
	v_xor_b32_e32 v42, 0x80000000, v33
	s_delay_alu instid0(VALU_DEP_3) | instskip(SKIP_1) | instid1(VALU_DEP_3)
	v_dual_mov_b32 v48, v32 :: v_dual_cndmask_b32 v47, v31, v1
	v_cmp_gt_f64_e32 vcc_lo, 0, v[32:33]
	v_cndmask_b32_e32 v49, v33, v42, vcc_lo
	s_and_b32 vcc_lo, exec_lo, s28
                                        ; implicit-def: $vgpr42_vgpr43
	s_delay_alu instid0(VALU_DEP_1)
	v_cmp_ge_f64_e64 s2, v[46:47], v[48:49]
	s_cbranch_vccz .LBB84_15
; %bb.6:                                ;   in Loop: Header=BB84_5 Depth=1
                                        ; implicit-def: $vgpr42_vgpr43
                                        ; implicit-def: $vgpr50_vgpr51
	s_and_saveexec_b32 s3, s2
	s_delay_alu instid0(SALU_CYCLE_1)
	s_xor_b32 s29, exec_lo, s3
	s_cbranch_execz .LBB84_12
; %bb.7:                                ;   in Loop: Header=BB84_5 Depth=1
	v_cmp_neq_f64_e32 vcc_lo, 0, v[30:31]
	v_cmp_neq_f64_e64 s3, 0, v[32:33]
                                        ; implicit-def: $vgpr42_vgpr43
                                        ; implicit-def: $vgpr50_vgpr51
	s_or_b32 s3, vcc_lo, s3
	s_delay_alu instid0(SALU_CYCLE_1) | instskip(NEXT) | instid1(SALU_CYCLE_1)
	s_and_saveexec_b32 s30, s3
	s_xor_b32 s3, exec_lo, s30
	s_cbranch_execz .LBB84_9
; %bb.8:                                ;   in Loop: Header=BB84_5 Depth=1
	v_div_scale_f64 v[42:43], null, v[30:31], v[30:31], v[32:33]
	v_div_scale_f64 v[52:53], vcc_lo, v[32:33], v[30:31], v[32:33]
	s_delay_alu instid0(VALU_DEP_2) | instskip(SKIP_1) | instid1(TRANS32_DEP_1)
	v_rcp_f64_e32 v[44:45], v[42:43]
	v_nop
	v_fma_f64 v[50:51], -v[42:43], v[44:45], 1.0
	s_delay_alu instid0(VALU_DEP_1) | instskip(NEXT) | instid1(VALU_DEP_1)
	v_fmac_f64_e32 v[44:45], v[44:45], v[50:51]
	v_fma_f64 v[50:51], -v[42:43], v[44:45], 1.0
	s_delay_alu instid0(VALU_DEP_1) | instskip(NEXT) | instid1(VALU_DEP_1)
	v_fmac_f64_e32 v[44:45], v[44:45], v[50:51]
	v_mul_f64_e32 v[50:51], v[52:53], v[44:45]
	s_delay_alu instid0(VALU_DEP_1) | instskip(NEXT) | instid1(VALU_DEP_1)
	v_fma_f64 v[42:43], -v[42:43], v[50:51], v[52:53]
	v_div_fmas_f64 v[42:43], v[42:43], v[44:45], v[50:51]
	s_delay_alu instid0(VALU_DEP_1) | instskip(NEXT) | instid1(VALU_DEP_1)
	v_div_fixup_f64 v[42:43], v[42:43], v[30:31], v[32:33]
	v_fma_f64 v[44:45], v[32:33], v[42:43], v[30:31]
	s_delay_alu instid0(VALU_DEP_1) | instskip(SKIP_1) | instid1(VALU_DEP_2)
	v_div_scale_f64 v[50:51], null, v[44:45], v[44:45], 1.0
	v_div_scale_f64 v[56:57], vcc_lo, 1.0, v[44:45], 1.0
	v_rcp_f64_e32 v[52:53], v[50:51]
	v_nop
	s_delay_alu instid0(TRANS32_DEP_1) | instskip(NEXT) | instid1(VALU_DEP_1)
	v_fma_f64 v[54:55], -v[50:51], v[52:53], 1.0
	v_fmac_f64_e32 v[52:53], v[52:53], v[54:55]
	s_delay_alu instid0(VALU_DEP_1) | instskip(NEXT) | instid1(VALU_DEP_1)
	v_fma_f64 v[54:55], -v[50:51], v[52:53], 1.0
	v_fmac_f64_e32 v[52:53], v[52:53], v[54:55]
	s_delay_alu instid0(VALU_DEP_1) | instskip(NEXT) | instid1(VALU_DEP_1)
	v_mul_f64_e32 v[54:55], v[56:57], v[52:53]
	v_fma_f64 v[50:51], -v[50:51], v[54:55], v[56:57]
	s_delay_alu instid0(VALU_DEP_1) | instskip(SKIP_2) | instid1(VALU_DEP_3)
	v_div_fmas_f64 v[50:51], v[50:51], v[52:53], v[54:55]
	v_fma_f64 v[52:53], s[10:11], v[42:43], s[8:9]
	v_fma_f64 v[42:43], -s[8:9], v[42:43], s[10:11]
	v_div_fixup_f64 v[44:45], v[50:51], v[44:45], 1.0
	s_delay_alu instid0(VALU_DEP_1) | instskip(NEXT) | instid1(VALU_DEP_3)
	v_mul_f64_e32 v[50:51], v[52:53], v[44:45]
	v_mul_f64_e32 v[42:43], v[42:43], v[44:45]
.LBB84_9:                               ;   in Loop: Header=BB84_5 Depth=1
	s_and_not1_saveexec_b32 s30, s3
	s_cbranch_execz .LBB84_11
; %bb.10:                               ;   in Loop: Header=BB84_5 Depth=1
	v_div_scale_f64 v[42:43], null, v[46:47], v[46:47], s[8:9]
	v_div_scale_f64 v[44:45], null, v[48:49], v[48:49], s[10:11]
	v_div_scale_f64 v[58:59], vcc_lo, s[8:9], v[46:47], s[8:9]
	s_delay_alu instid0(VALU_DEP_3) | instskip(NEXT) | instid1(VALU_DEP_2)
	v_rcp_f64_e32 v[50:51], v[42:43]
	v_rcp_f64_e32 v[52:53], v[44:45]
	s_delay_alu instid0(TRANS32_DEP_2) | instskip(NEXT) | instid1(TRANS32_DEP_1)
	v_fma_f64 v[54:55], -v[42:43], v[50:51], 1.0
	v_fma_f64 v[56:57], -v[44:45], v[52:53], 1.0
	s_delay_alu instid0(VALU_DEP_2) | instskip(NEXT) | instid1(VALU_DEP_2)
	v_fmac_f64_e32 v[50:51], v[50:51], v[54:55]
	v_fmac_f64_e32 v[52:53], v[52:53], v[56:57]
	s_delay_alu instid0(VALU_DEP_2) | instskip(NEXT) | instid1(VALU_DEP_2)
	v_fma_f64 v[54:55], -v[42:43], v[50:51], 1.0
	v_fma_f64 v[56:57], -v[44:45], v[52:53], 1.0
	s_delay_alu instid0(VALU_DEP_2) | instskip(SKIP_1) | instid1(VALU_DEP_3)
	v_fmac_f64_e32 v[50:51], v[50:51], v[54:55]
	v_div_scale_f64 v[54:55], s3, s[10:11], v[48:49], s[10:11]
	v_fmac_f64_e32 v[52:53], v[52:53], v[56:57]
	s_delay_alu instid0(VALU_DEP_3) | instskip(NEXT) | instid1(VALU_DEP_2)
	v_mul_f64_e32 v[56:57], v[58:59], v[50:51]
	v_mul_f64_e32 v[60:61], v[54:55], v[52:53]
	s_delay_alu instid0(VALU_DEP_2) | instskip(NEXT) | instid1(VALU_DEP_2)
	v_fma_f64 v[42:43], -v[42:43], v[56:57], v[58:59]
	v_fma_f64 v[44:45], -v[44:45], v[60:61], v[54:55]
	s_delay_alu instid0(VALU_DEP_2) | instskip(SKIP_1) | instid1(VALU_DEP_2)
	v_div_fmas_f64 v[42:43], v[42:43], v[50:51], v[56:57]
	s_mov_b32 vcc_lo, s3
	v_div_fmas_f64 v[44:45], v[44:45], v[52:53], v[60:61]
	s_delay_alu instid0(VALU_DEP_2) | instskip(NEXT) | instid1(VALU_DEP_2)
	v_div_fixup_f64 v[50:51], v[42:43], v[46:47], s[8:9]
	v_div_fixup_f64 v[42:43], v[44:45], v[48:49], s[10:11]
.LBB84_11:                              ;   in Loop: Header=BB84_5 Depth=1
	s_or_b32 exec_lo, exec_lo, s30
.LBB84_12:                              ;   in Loop: Header=BB84_5 Depth=1
	s_and_not1_saveexec_b32 s3, s29
	s_cbranch_execz .LBB84_14
; %bb.13:                               ;   in Loop: Header=BB84_5 Depth=1
	v_div_scale_f64 v[42:43], null, v[32:33], v[32:33], v[30:31]
	v_div_scale_f64 v[52:53], vcc_lo, v[30:31], v[32:33], v[30:31]
	s_delay_alu instid0(VALU_DEP_2) | instskip(SKIP_1) | instid1(TRANS32_DEP_1)
	v_rcp_f64_e32 v[44:45], v[42:43]
	v_nop
	v_fma_f64 v[50:51], -v[42:43], v[44:45], 1.0
	s_delay_alu instid0(VALU_DEP_1) | instskip(NEXT) | instid1(VALU_DEP_1)
	v_fmac_f64_e32 v[44:45], v[44:45], v[50:51]
	v_fma_f64 v[50:51], -v[42:43], v[44:45], 1.0
	s_delay_alu instid0(VALU_DEP_1) | instskip(NEXT) | instid1(VALU_DEP_1)
	v_fmac_f64_e32 v[44:45], v[44:45], v[50:51]
	v_mul_f64_e32 v[50:51], v[52:53], v[44:45]
	s_delay_alu instid0(VALU_DEP_1) | instskip(NEXT) | instid1(VALU_DEP_1)
	v_fma_f64 v[42:43], -v[42:43], v[50:51], v[52:53]
	v_div_fmas_f64 v[42:43], v[42:43], v[44:45], v[50:51]
	s_delay_alu instid0(VALU_DEP_1) | instskip(NEXT) | instid1(VALU_DEP_1)
	v_div_fixup_f64 v[42:43], v[42:43], v[32:33], v[30:31]
	v_fma_f64 v[44:45], v[30:31], v[42:43], v[32:33]
	s_delay_alu instid0(VALU_DEP_1) | instskip(SKIP_1) | instid1(VALU_DEP_2)
	v_div_scale_f64 v[50:51], null, v[44:45], v[44:45], 1.0
	v_div_scale_f64 v[56:57], vcc_lo, 1.0, v[44:45], 1.0
	v_rcp_f64_e32 v[52:53], v[50:51]
	v_nop
	s_delay_alu instid0(TRANS32_DEP_1) | instskip(NEXT) | instid1(VALU_DEP_1)
	v_fma_f64 v[54:55], -v[50:51], v[52:53], 1.0
	v_fmac_f64_e32 v[52:53], v[52:53], v[54:55]
	s_delay_alu instid0(VALU_DEP_1) | instskip(NEXT) | instid1(VALU_DEP_1)
	v_fma_f64 v[54:55], -v[50:51], v[52:53], 1.0
	v_fmac_f64_e32 v[52:53], v[52:53], v[54:55]
	s_delay_alu instid0(VALU_DEP_1) | instskip(NEXT) | instid1(VALU_DEP_1)
	v_mul_f64_e32 v[54:55], v[56:57], v[52:53]
	v_fma_f64 v[50:51], -v[50:51], v[54:55], v[56:57]
	s_delay_alu instid0(VALU_DEP_1) | instskip(SKIP_2) | instid1(VALU_DEP_3)
	v_div_fmas_f64 v[50:51], v[50:51], v[52:53], v[54:55]
	v_fma_f64 v[52:53], s[8:9], v[42:43], s[10:11]
	v_fma_f64 v[42:43], s[10:11], v[42:43], -s[8:9]
	v_div_fixup_f64 v[44:45], v[50:51], v[44:45], 1.0
	s_delay_alu instid0(VALU_DEP_1) | instskip(NEXT) | instid1(VALU_DEP_3)
	v_mul_f64_e32 v[50:51], v[52:53], v[44:45]
	v_mul_f64_e32 v[42:43], v[42:43], v[44:45]
.LBB84_14:                              ;   in Loop: Header=BB84_5 Depth=1
	s_or_b32 exec_lo, exec_lo, s3
	s_delay_alu instid0(VALU_DEP_1) | instskip(SKIP_2) | instid1(VALU_DEP_2)
	v_mul_f64_e32 v[44:45], s[6:7], v[42:43]
	v_mul_f64_e32 v[42:43], s[4:5], v[42:43]
	s_mov_b32 s3, 0
	v_fma_f64 v[44:45], s[4:5], v[50:51], -v[44:45]
	s_delay_alu instid0(VALU_DEP_2)
	v_fmac_f64_e32 v[42:43], s[6:7], v[50:51]
.LBB84_15:                              ;   in Loop: Header=BB84_5 Depth=1
	s_and_b32 vcc_lo, exec_lo, s3
	s_cbranch_vccz .LBB84_25
; %bb.16:                               ;   in Loop: Header=BB84_5 Depth=1
                                        ; implicit-def: $vgpr42_vgpr43
                                        ; implicit-def: $vgpr44_vgpr45
	s_and_saveexec_b32 s3, s2
	s_delay_alu instid0(SALU_CYCLE_1)
	s_xor_b32 s3, exec_lo, s3
	s_cbranch_execz .LBB84_22
; %bb.17:                               ;   in Loop: Header=BB84_5 Depth=1
	v_cmp_neq_f64_e32 vcc_lo, 0, v[30:31]
	v_cmp_neq_f64_e64 s2, 0, v[32:33]
                                        ; implicit-def: $vgpr42_vgpr43
                                        ; implicit-def: $vgpr44_vgpr45
	s_or_b32 s2, vcc_lo, s2
	s_delay_alu instid0(SALU_CYCLE_1) | instskip(NEXT) | instid1(SALU_CYCLE_1)
	s_and_saveexec_b32 s29, s2
	s_xor_b32 s2, exec_lo, s29
	s_cbranch_execz .LBB84_19
; %bb.18:                               ;   in Loop: Header=BB84_5 Depth=1
	v_div_scale_f64 v[42:43], null, v[30:31], v[30:31], v[32:33]
	v_div_scale_f64 v[48:49], vcc_lo, v[32:33], v[30:31], v[32:33]
	s_delay_alu instid0(VALU_DEP_2) | instskip(SKIP_1) | instid1(TRANS32_DEP_1)
	v_rcp_f64_e32 v[44:45], v[42:43]
	v_nop
	v_fma_f64 v[46:47], -v[42:43], v[44:45], 1.0
	s_delay_alu instid0(VALU_DEP_1) | instskip(NEXT) | instid1(VALU_DEP_1)
	v_fmac_f64_e32 v[44:45], v[44:45], v[46:47]
	v_fma_f64 v[46:47], -v[42:43], v[44:45], 1.0
	s_delay_alu instid0(VALU_DEP_1) | instskip(NEXT) | instid1(VALU_DEP_1)
	v_fmac_f64_e32 v[44:45], v[44:45], v[46:47]
	v_mul_f64_e32 v[46:47], v[48:49], v[44:45]
	s_delay_alu instid0(VALU_DEP_1) | instskip(NEXT) | instid1(VALU_DEP_1)
	v_fma_f64 v[42:43], -v[42:43], v[46:47], v[48:49]
	v_div_fmas_f64 v[42:43], v[42:43], v[44:45], v[46:47]
	s_delay_alu instid0(VALU_DEP_1) | instskip(NEXT) | instid1(VALU_DEP_1)
	v_div_fixup_f64 v[42:43], v[42:43], v[30:31], v[32:33]
	v_fmac_f64_e32 v[30:31], v[32:33], v[42:43]
	s_delay_alu instid0(VALU_DEP_1) | instskip(SKIP_1) | instid1(VALU_DEP_2)
	v_div_scale_f64 v[32:33], null, v[30:31], v[30:31], 1.0
	v_div_scale_f64 v[48:49], vcc_lo, 1.0, v[30:31], 1.0
	v_rcp_f64_e32 v[44:45], v[32:33]
	v_nop
	s_delay_alu instid0(TRANS32_DEP_1) | instskip(NEXT) | instid1(VALU_DEP_1)
	v_fma_f64 v[46:47], -v[32:33], v[44:45], 1.0
	v_fmac_f64_e32 v[44:45], v[44:45], v[46:47]
	s_delay_alu instid0(VALU_DEP_1) | instskip(NEXT) | instid1(VALU_DEP_1)
	v_fma_f64 v[46:47], -v[32:33], v[44:45], 1.0
	v_fmac_f64_e32 v[44:45], v[44:45], v[46:47]
	s_delay_alu instid0(VALU_DEP_1) | instskip(NEXT) | instid1(VALU_DEP_1)
	v_mul_f64_e32 v[46:47], v[48:49], v[44:45]
	v_fma_f64 v[32:33], -v[32:33], v[46:47], v[48:49]
                                        ; implicit-def: $vgpr48_vgpr49
	s_delay_alu instid0(VALU_DEP_1) | instskip(SKIP_1) | instid1(VALU_DEP_2)
	v_div_fmas_f64 v[32:33], v[32:33], v[44:45], v[46:47]
	v_fma_f64 v[44:45], s[10:11], v[42:43], s[8:9]
                                        ; implicit-def: $vgpr46_vgpr47
	v_div_fixup_f64 v[30:31], v[32:33], v[30:31], 1.0
	v_fma_f64 v[32:33], -s[8:9], v[42:43], s[10:11]
	s_delay_alu instid0(VALU_DEP_2) | instskip(NEXT) | instid1(VALU_DEP_2)
	v_mul_f64_e32 v[44:45], v[44:45], v[30:31]
	v_mul_f64_e32 v[42:43], v[32:33], v[30:31]
.LBB84_19:                              ;   in Loop: Header=BB84_5 Depth=1
	s_and_not1_saveexec_b32 s29, s2
	s_cbranch_execz .LBB84_21
; %bb.20:                               ;   in Loop: Header=BB84_5 Depth=1
	v_div_scale_f64 v[30:31], null, v[46:47], v[46:47], s[8:9]
	v_div_scale_f64 v[32:33], null, v[48:49], v[48:49], s[10:11]
	v_div_scale_f64 v[54:55], vcc_lo, s[8:9], v[46:47], s[8:9]
	s_delay_alu instid0(VALU_DEP_3) | instskip(NEXT) | instid1(VALU_DEP_2)
	v_rcp_f64_e32 v[42:43], v[30:31]
	v_rcp_f64_e32 v[44:45], v[32:33]
	s_delay_alu instid0(TRANS32_DEP_2) | instskip(NEXT) | instid1(TRANS32_DEP_1)
	v_fma_f64 v[50:51], -v[30:31], v[42:43], 1.0
	v_fma_f64 v[52:53], -v[32:33], v[44:45], 1.0
	s_delay_alu instid0(VALU_DEP_2) | instskip(NEXT) | instid1(VALU_DEP_2)
	v_fmac_f64_e32 v[42:43], v[42:43], v[50:51]
	v_fmac_f64_e32 v[44:45], v[44:45], v[52:53]
	s_delay_alu instid0(VALU_DEP_2) | instskip(NEXT) | instid1(VALU_DEP_2)
	v_fma_f64 v[50:51], -v[30:31], v[42:43], 1.0
	v_fma_f64 v[52:53], -v[32:33], v[44:45], 1.0
	s_delay_alu instid0(VALU_DEP_2) | instskip(SKIP_1) | instid1(VALU_DEP_3)
	v_fmac_f64_e32 v[42:43], v[42:43], v[50:51]
	v_div_scale_f64 v[50:51], s2, s[10:11], v[48:49], s[10:11]
	v_fmac_f64_e32 v[44:45], v[44:45], v[52:53]
	s_delay_alu instid0(VALU_DEP_3) | instskip(NEXT) | instid1(VALU_DEP_2)
	v_mul_f64_e32 v[52:53], v[54:55], v[42:43]
	v_mul_f64_e32 v[56:57], v[50:51], v[44:45]
	s_delay_alu instid0(VALU_DEP_2) | instskip(NEXT) | instid1(VALU_DEP_2)
	v_fma_f64 v[30:31], -v[30:31], v[52:53], v[54:55]
	v_fma_f64 v[32:33], -v[32:33], v[56:57], v[50:51]
	s_delay_alu instid0(VALU_DEP_2) | instskip(SKIP_1) | instid1(VALU_DEP_2)
	v_div_fmas_f64 v[30:31], v[30:31], v[42:43], v[52:53]
	s_mov_b32 vcc_lo, s2
	v_div_fmas_f64 v[32:33], v[32:33], v[44:45], v[56:57]
	s_delay_alu instid0(VALU_DEP_2) | instskip(NEXT) | instid1(VALU_DEP_2)
	v_div_fixup_f64 v[44:45], v[30:31], v[46:47], s[8:9]
	v_div_fixup_f64 v[42:43], v[32:33], v[48:49], s[10:11]
.LBB84_21:                              ;   in Loop: Header=BB84_5 Depth=1
	s_or_b32 exec_lo, exec_lo, s29
                                        ; implicit-def: $vgpr32_vgpr33
.LBB84_22:                              ;   in Loop: Header=BB84_5 Depth=1
	s_and_not1_saveexec_b32 s2, s3
	s_cbranch_execz .LBB84_24
; %bb.23:                               ;   in Loop: Header=BB84_5 Depth=1
	v_div_scale_f64 v[42:43], null, v[32:33], v[32:33], v[30:31]
	v_div_scale_f64 v[48:49], vcc_lo, v[30:31], v[32:33], v[30:31]
	s_delay_alu instid0(VALU_DEP_2) | instskip(SKIP_1) | instid1(TRANS32_DEP_1)
	v_rcp_f64_e32 v[44:45], v[42:43]
	v_nop
	v_fma_f64 v[46:47], -v[42:43], v[44:45], 1.0
	s_delay_alu instid0(VALU_DEP_1) | instskip(NEXT) | instid1(VALU_DEP_1)
	v_fmac_f64_e32 v[44:45], v[44:45], v[46:47]
	v_fma_f64 v[46:47], -v[42:43], v[44:45], 1.0
	s_delay_alu instid0(VALU_DEP_1) | instskip(NEXT) | instid1(VALU_DEP_1)
	v_fmac_f64_e32 v[44:45], v[44:45], v[46:47]
	v_mul_f64_e32 v[46:47], v[48:49], v[44:45]
	s_delay_alu instid0(VALU_DEP_1) | instskip(NEXT) | instid1(VALU_DEP_1)
	v_fma_f64 v[42:43], -v[42:43], v[46:47], v[48:49]
	v_div_fmas_f64 v[42:43], v[42:43], v[44:45], v[46:47]
	s_delay_alu instid0(VALU_DEP_1) | instskip(NEXT) | instid1(VALU_DEP_1)
	v_div_fixup_f64 v[42:43], v[42:43], v[32:33], v[30:31]
	v_fmac_f64_e32 v[32:33], v[30:31], v[42:43]
	s_delay_alu instid0(VALU_DEP_1) | instskip(SKIP_1) | instid1(VALU_DEP_2)
	v_div_scale_f64 v[30:31], null, v[32:33], v[32:33], 1.0
	v_div_scale_f64 v[48:49], vcc_lo, 1.0, v[32:33], 1.0
	v_rcp_f64_e32 v[44:45], v[30:31]
	v_nop
	s_delay_alu instid0(TRANS32_DEP_1) | instskip(NEXT) | instid1(VALU_DEP_1)
	v_fma_f64 v[46:47], -v[30:31], v[44:45], 1.0
	v_fmac_f64_e32 v[44:45], v[44:45], v[46:47]
	s_delay_alu instid0(VALU_DEP_1) | instskip(NEXT) | instid1(VALU_DEP_1)
	v_fma_f64 v[46:47], -v[30:31], v[44:45], 1.0
	v_fmac_f64_e32 v[44:45], v[44:45], v[46:47]
	s_delay_alu instid0(VALU_DEP_1) | instskip(NEXT) | instid1(VALU_DEP_1)
	v_mul_f64_e32 v[46:47], v[48:49], v[44:45]
	v_fma_f64 v[30:31], -v[30:31], v[46:47], v[48:49]
	s_delay_alu instid0(VALU_DEP_1) | instskip(SKIP_1) | instid1(VALU_DEP_2)
	v_div_fmas_f64 v[30:31], v[30:31], v[44:45], v[46:47]
	v_fma_f64 v[44:45], s[8:9], v[42:43], s[10:11]
	v_div_fixup_f64 v[30:31], v[30:31], v[32:33], 1.0
	v_fma_f64 v[32:33], s[10:11], v[42:43], -s[8:9]
	s_delay_alu instid0(VALU_DEP_2) | instskip(NEXT) | instid1(VALU_DEP_2)
	v_mul_f64_e32 v[44:45], v[44:45], v[30:31]
	v_mul_f64_e32 v[42:43], v[32:33], v[30:31]
.LBB84_24:                              ;   in Loop: Header=BB84_5 Depth=1
	s_or_b32 exec_lo, exec_lo, s2
.LBB84_25:                              ;   in Loop: Header=BB84_5 Depth=1
	s_wait_loadcnt 0x6
	v_cmp_gt_f64_e32 vcc_lo, 0, v[26:27]
	v_xor_b32_e32 v1, 0x80000000, v27
	v_mov_b32_e32 v46, v26
	v_xor_b32_e32 v30, 0x80000000, v29
	s_mov_b32 s3, -1
                                        ; implicit-def: $vgpr32_vgpr33
	s_delay_alu instid0(VALU_DEP_3) | instskip(SKIP_1) | instid1(VALU_DEP_3)
	v_dual_mov_b32 v48, v28 :: v_dual_cndmask_b32 v47, v27, v1
	v_cmp_gt_f64_e32 vcc_lo, 0, v[28:29]
	v_cndmask_b32_e32 v49, v29, v30, vcc_lo
	s_and_not1_b32 vcc_lo, exec_lo, s28
                                        ; implicit-def: $vgpr30_vgpr31
	s_delay_alu instid0(VALU_DEP_1)
	v_cmp_ge_f64_e64 s2, v[46:47], v[48:49]
	s_cbranch_vccnz .LBB84_35
; %bb.26:                               ;   in Loop: Header=BB84_5 Depth=1
                                        ; implicit-def: $vgpr30_vgpr31
                                        ; implicit-def: $vgpr50_vgpr51
	s_and_saveexec_b32 s3, s2
	s_delay_alu instid0(SALU_CYCLE_1)
	s_xor_b32 s29, exec_lo, s3
	s_cbranch_execz .LBB84_32
; %bb.27:                               ;   in Loop: Header=BB84_5 Depth=1
	v_cmp_neq_f64_e32 vcc_lo, 0, v[26:27]
	v_cmp_neq_f64_e64 s3, 0, v[28:29]
                                        ; implicit-def: $vgpr30_vgpr31
                                        ; implicit-def: $vgpr50_vgpr51
	s_or_b32 s3, vcc_lo, s3
	s_delay_alu instid0(SALU_CYCLE_1) | instskip(NEXT) | instid1(SALU_CYCLE_1)
	s_and_saveexec_b32 s30, s3
	s_xor_b32 s3, exec_lo, s30
	s_cbranch_execz .LBB84_29
; %bb.28:                               ;   in Loop: Header=BB84_5 Depth=1
	v_div_scale_f64 v[30:31], null, v[26:27], v[26:27], v[28:29]
	v_div_scale_f64 v[52:53], vcc_lo, v[28:29], v[26:27], v[28:29]
	s_delay_alu instid0(VALU_DEP_2) | instskip(SKIP_1) | instid1(TRANS32_DEP_1)
	v_rcp_f64_e32 v[32:33], v[30:31]
	v_nop
	v_fma_f64 v[50:51], -v[30:31], v[32:33], 1.0
	s_delay_alu instid0(VALU_DEP_1) | instskip(NEXT) | instid1(VALU_DEP_1)
	v_fmac_f64_e32 v[32:33], v[32:33], v[50:51]
	v_fma_f64 v[50:51], -v[30:31], v[32:33], 1.0
	s_delay_alu instid0(VALU_DEP_1) | instskip(NEXT) | instid1(VALU_DEP_1)
	v_fmac_f64_e32 v[32:33], v[32:33], v[50:51]
	v_mul_f64_e32 v[50:51], v[52:53], v[32:33]
	s_delay_alu instid0(VALU_DEP_1) | instskip(NEXT) | instid1(VALU_DEP_1)
	v_fma_f64 v[30:31], -v[30:31], v[50:51], v[52:53]
	v_div_fmas_f64 v[30:31], v[30:31], v[32:33], v[50:51]
	s_delay_alu instid0(VALU_DEP_1) | instskip(NEXT) | instid1(VALU_DEP_1)
	v_div_fixup_f64 v[30:31], v[30:31], v[26:27], v[28:29]
	v_fma_f64 v[32:33], v[28:29], v[30:31], v[26:27]
	s_delay_alu instid0(VALU_DEP_1) | instskip(SKIP_1) | instid1(VALU_DEP_2)
	v_div_scale_f64 v[50:51], null, v[32:33], v[32:33], 1.0
	v_div_scale_f64 v[56:57], vcc_lo, 1.0, v[32:33], 1.0
	v_rcp_f64_e32 v[52:53], v[50:51]
	v_nop
	s_delay_alu instid0(TRANS32_DEP_1) | instskip(NEXT) | instid1(VALU_DEP_1)
	v_fma_f64 v[54:55], -v[50:51], v[52:53], 1.0
	v_fmac_f64_e32 v[52:53], v[52:53], v[54:55]
	s_delay_alu instid0(VALU_DEP_1) | instskip(NEXT) | instid1(VALU_DEP_1)
	v_fma_f64 v[54:55], -v[50:51], v[52:53], 1.0
	v_fmac_f64_e32 v[52:53], v[52:53], v[54:55]
	s_delay_alu instid0(VALU_DEP_1) | instskip(NEXT) | instid1(VALU_DEP_1)
	v_mul_f64_e32 v[54:55], v[56:57], v[52:53]
	v_fma_f64 v[50:51], -v[50:51], v[54:55], v[56:57]
	s_delay_alu instid0(VALU_DEP_1) | instskip(SKIP_2) | instid1(VALU_DEP_3)
	v_div_fmas_f64 v[50:51], v[50:51], v[52:53], v[54:55]
	v_fma_f64 v[52:53], s[10:11], v[30:31], s[8:9]
	v_fma_f64 v[30:31], -s[8:9], v[30:31], s[10:11]
	v_div_fixup_f64 v[32:33], v[50:51], v[32:33], 1.0
	s_delay_alu instid0(VALU_DEP_1) | instskip(NEXT) | instid1(VALU_DEP_3)
	v_mul_f64_e32 v[50:51], v[52:53], v[32:33]
	v_mul_f64_e32 v[30:31], v[30:31], v[32:33]
.LBB84_29:                              ;   in Loop: Header=BB84_5 Depth=1
	s_and_not1_saveexec_b32 s30, s3
	s_cbranch_execz .LBB84_31
; %bb.30:                               ;   in Loop: Header=BB84_5 Depth=1
	v_div_scale_f64 v[30:31], null, v[46:47], v[46:47], s[8:9]
	v_div_scale_f64 v[32:33], null, v[48:49], v[48:49], s[10:11]
	v_div_scale_f64 v[58:59], vcc_lo, s[8:9], v[46:47], s[8:9]
	s_delay_alu instid0(VALU_DEP_3) | instskip(NEXT) | instid1(VALU_DEP_2)
	v_rcp_f64_e32 v[50:51], v[30:31]
	v_rcp_f64_e32 v[52:53], v[32:33]
	s_delay_alu instid0(TRANS32_DEP_2) | instskip(NEXT) | instid1(TRANS32_DEP_1)
	v_fma_f64 v[54:55], -v[30:31], v[50:51], 1.0
	v_fma_f64 v[56:57], -v[32:33], v[52:53], 1.0
	s_delay_alu instid0(VALU_DEP_2) | instskip(NEXT) | instid1(VALU_DEP_2)
	v_fmac_f64_e32 v[50:51], v[50:51], v[54:55]
	v_fmac_f64_e32 v[52:53], v[52:53], v[56:57]
	s_delay_alu instid0(VALU_DEP_2) | instskip(NEXT) | instid1(VALU_DEP_2)
	v_fma_f64 v[54:55], -v[30:31], v[50:51], 1.0
	v_fma_f64 v[56:57], -v[32:33], v[52:53], 1.0
	s_delay_alu instid0(VALU_DEP_2) | instskip(SKIP_1) | instid1(VALU_DEP_3)
	v_fmac_f64_e32 v[50:51], v[50:51], v[54:55]
	v_div_scale_f64 v[54:55], s3, s[10:11], v[48:49], s[10:11]
	v_fmac_f64_e32 v[52:53], v[52:53], v[56:57]
	s_delay_alu instid0(VALU_DEP_3) | instskip(NEXT) | instid1(VALU_DEP_2)
	v_mul_f64_e32 v[56:57], v[58:59], v[50:51]
	v_mul_f64_e32 v[60:61], v[54:55], v[52:53]
	s_delay_alu instid0(VALU_DEP_2) | instskip(NEXT) | instid1(VALU_DEP_2)
	v_fma_f64 v[30:31], -v[30:31], v[56:57], v[58:59]
	v_fma_f64 v[32:33], -v[32:33], v[60:61], v[54:55]
	s_delay_alu instid0(VALU_DEP_2) | instskip(SKIP_1) | instid1(VALU_DEP_2)
	v_div_fmas_f64 v[30:31], v[30:31], v[50:51], v[56:57]
	s_mov_b32 vcc_lo, s3
	v_div_fmas_f64 v[32:33], v[32:33], v[52:53], v[60:61]
	s_delay_alu instid0(VALU_DEP_2) | instskip(NEXT) | instid1(VALU_DEP_2)
	v_div_fixup_f64 v[50:51], v[30:31], v[46:47], s[8:9]
	v_div_fixup_f64 v[30:31], v[32:33], v[48:49], s[10:11]
.LBB84_31:                              ;   in Loop: Header=BB84_5 Depth=1
	s_or_b32 exec_lo, exec_lo, s30
.LBB84_32:                              ;   in Loop: Header=BB84_5 Depth=1
	s_and_not1_saveexec_b32 s3, s29
	s_cbranch_execz .LBB84_34
; %bb.33:                               ;   in Loop: Header=BB84_5 Depth=1
	v_div_scale_f64 v[30:31], null, v[28:29], v[28:29], v[26:27]
	v_div_scale_f64 v[52:53], vcc_lo, v[26:27], v[28:29], v[26:27]
	s_delay_alu instid0(VALU_DEP_2) | instskip(SKIP_1) | instid1(TRANS32_DEP_1)
	v_rcp_f64_e32 v[32:33], v[30:31]
	v_nop
	v_fma_f64 v[50:51], -v[30:31], v[32:33], 1.0
	s_delay_alu instid0(VALU_DEP_1) | instskip(NEXT) | instid1(VALU_DEP_1)
	v_fmac_f64_e32 v[32:33], v[32:33], v[50:51]
	v_fma_f64 v[50:51], -v[30:31], v[32:33], 1.0
	s_delay_alu instid0(VALU_DEP_1) | instskip(NEXT) | instid1(VALU_DEP_1)
	v_fmac_f64_e32 v[32:33], v[32:33], v[50:51]
	v_mul_f64_e32 v[50:51], v[52:53], v[32:33]
	s_delay_alu instid0(VALU_DEP_1) | instskip(NEXT) | instid1(VALU_DEP_1)
	v_fma_f64 v[30:31], -v[30:31], v[50:51], v[52:53]
	v_div_fmas_f64 v[30:31], v[30:31], v[32:33], v[50:51]
	s_delay_alu instid0(VALU_DEP_1) | instskip(NEXT) | instid1(VALU_DEP_1)
	v_div_fixup_f64 v[30:31], v[30:31], v[28:29], v[26:27]
	v_fma_f64 v[32:33], v[26:27], v[30:31], v[28:29]
	s_delay_alu instid0(VALU_DEP_1) | instskip(SKIP_1) | instid1(VALU_DEP_2)
	v_div_scale_f64 v[50:51], null, v[32:33], v[32:33], 1.0
	v_div_scale_f64 v[56:57], vcc_lo, 1.0, v[32:33], 1.0
	v_rcp_f64_e32 v[52:53], v[50:51]
	v_nop
	s_delay_alu instid0(TRANS32_DEP_1) | instskip(NEXT) | instid1(VALU_DEP_1)
	v_fma_f64 v[54:55], -v[50:51], v[52:53], 1.0
	v_fmac_f64_e32 v[52:53], v[52:53], v[54:55]
	s_delay_alu instid0(VALU_DEP_1) | instskip(NEXT) | instid1(VALU_DEP_1)
	v_fma_f64 v[54:55], -v[50:51], v[52:53], 1.0
	v_fmac_f64_e32 v[52:53], v[52:53], v[54:55]
	s_delay_alu instid0(VALU_DEP_1) | instskip(NEXT) | instid1(VALU_DEP_1)
	v_mul_f64_e32 v[54:55], v[56:57], v[52:53]
	v_fma_f64 v[50:51], -v[50:51], v[54:55], v[56:57]
	s_delay_alu instid0(VALU_DEP_1) | instskip(SKIP_2) | instid1(VALU_DEP_3)
	v_div_fmas_f64 v[50:51], v[50:51], v[52:53], v[54:55]
	v_fma_f64 v[52:53], s[8:9], v[30:31], s[10:11]
	v_fma_f64 v[30:31], s[10:11], v[30:31], -s[8:9]
	v_div_fixup_f64 v[32:33], v[50:51], v[32:33], 1.0
	s_delay_alu instid0(VALU_DEP_1) | instskip(NEXT) | instid1(VALU_DEP_3)
	v_mul_f64_e32 v[50:51], v[52:53], v[32:33]
	v_mul_f64_e32 v[30:31], v[30:31], v[32:33]
.LBB84_34:                              ;   in Loop: Header=BB84_5 Depth=1
	s_or_b32 exec_lo, exec_lo, s3
	s_delay_alu instid0(VALU_DEP_1) | instskip(SKIP_2) | instid1(VALU_DEP_2)
	v_mul_f64_e32 v[52:53], s[6:7], v[30:31]
	v_mul_f64_e32 v[32:33], s[4:5], v[30:31]
	s_mov_b32 s3, 0
	v_fma_f64 v[30:31], s[4:5], v[50:51], -v[52:53]
	s_delay_alu instid0(VALU_DEP_2)
	v_fmac_f64_e32 v[32:33], s[6:7], v[50:51]
.LBB84_35:                              ;   in Loop: Header=BB84_5 Depth=1
	s_and_b32 vcc_lo, exec_lo, s3
	s_cbranch_vccz .LBB84_45
; %bb.36:                               ;   in Loop: Header=BB84_5 Depth=1
                                        ; implicit-def: $vgpr32_vgpr33
                                        ; implicit-def: $vgpr30_vgpr31
	s_and_saveexec_b32 s3, s2
	s_delay_alu instid0(SALU_CYCLE_1)
	s_xor_b32 s3, exec_lo, s3
	s_cbranch_execz .LBB84_42
; %bb.37:                               ;   in Loop: Header=BB84_5 Depth=1
	v_cmp_neq_f64_e32 vcc_lo, 0, v[26:27]
	v_cmp_neq_f64_e64 s2, 0, v[28:29]
                                        ; implicit-def: $vgpr32_vgpr33
                                        ; implicit-def: $vgpr30_vgpr31
	s_or_b32 s2, vcc_lo, s2
	s_delay_alu instid0(SALU_CYCLE_1) | instskip(NEXT) | instid1(SALU_CYCLE_1)
	s_and_saveexec_b32 s29, s2
	s_xor_b32 s2, exec_lo, s29
	s_cbranch_execz .LBB84_39
; %bb.38:                               ;   in Loop: Header=BB84_5 Depth=1
	v_div_scale_f64 v[30:31], null, v[26:27], v[26:27], v[28:29]
	v_div_scale_f64 v[48:49], vcc_lo, v[28:29], v[26:27], v[28:29]
	s_delay_alu instid0(VALU_DEP_2) | instskip(SKIP_1) | instid1(TRANS32_DEP_1)
	v_rcp_f64_e32 v[32:33], v[30:31]
	v_nop
	v_fma_f64 v[46:47], -v[30:31], v[32:33], 1.0
	s_delay_alu instid0(VALU_DEP_1) | instskip(NEXT) | instid1(VALU_DEP_1)
	v_fmac_f64_e32 v[32:33], v[32:33], v[46:47]
	v_fma_f64 v[46:47], -v[30:31], v[32:33], 1.0
	s_delay_alu instid0(VALU_DEP_1) | instskip(NEXT) | instid1(VALU_DEP_1)
	v_fmac_f64_e32 v[32:33], v[32:33], v[46:47]
	v_mul_f64_e32 v[46:47], v[48:49], v[32:33]
	s_delay_alu instid0(VALU_DEP_1) | instskip(NEXT) | instid1(VALU_DEP_1)
	v_fma_f64 v[30:31], -v[30:31], v[46:47], v[48:49]
	v_div_fmas_f64 v[30:31], v[30:31], v[32:33], v[46:47]
	s_delay_alu instid0(VALU_DEP_1) | instskip(NEXT) | instid1(VALU_DEP_1)
	v_div_fixup_f64 v[30:31], v[30:31], v[26:27], v[28:29]
	v_fmac_f64_e32 v[26:27], v[28:29], v[30:31]
	s_delay_alu instid0(VALU_DEP_1) | instskip(SKIP_1) | instid1(VALU_DEP_2)
	v_div_scale_f64 v[28:29], null, v[26:27], v[26:27], 1.0
	v_div_scale_f64 v[48:49], vcc_lo, 1.0, v[26:27], 1.0
	v_rcp_f64_e32 v[32:33], v[28:29]
	v_nop
	s_delay_alu instid0(TRANS32_DEP_1) | instskip(NEXT) | instid1(VALU_DEP_1)
	v_fma_f64 v[46:47], -v[28:29], v[32:33], 1.0
	v_fmac_f64_e32 v[32:33], v[32:33], v[46:47]
	s_delay_alu instid0(VALU_DEP_1) | instskip(NEXT) | instid1(VALU_DEP_1)
	v_fma_f64 v[46:47], -v[28:29], v[32:33], 1.0
	v_fmac_f64_e32 v[32:33], v[32:33], v[46:47]
	s_delay_alu instid0(VALU_DEP_1) | instskip(NEXT) | instid1(VALU_DEP_1)
	v_mul_f64_e32 v[46:47], v[48:49], v[32:33]
	v_fma_f64 v[28:29], -v[28:29], v[46:47], v[48:49]
                                        ; implicit-def: $vgpr48_vgpr49
	s_delay_alu instid0(VALU_DEP_1) | instskip(SKIP_1) | instid1(VALU_DEP_2)
	v_div_fmas_f64 v[28:29], v[28:29], v[32:33], v[46:47]
	v_fma_f64 v[32:33], s[10:11], v[30:31], s[8:9]
                                        ; implicit-def: $vgpr46_vgpr47
	v_div_fixup_f64 v[26:27], v[28:29], v[26:27], 1.0
	v_fma_f64 v[28:29], -s[8:9], v[30:31], s[10:11]
	s_delay_alu instid0(VALU_DEP_2) | instskip(NEXT) | instid1(VALU_DEP_2)
	v_mul_f64_e32 v[30:31], v[32:33], v[26:27]
	v_mul_f64_e32 v[32:33], v[28:29], v[26:27]
.LBB84_39:                              ;   in Loop: Header=BB84_5 Depth=1
	s_and_not1_saveexec_b32 s29, s2
	s_cbranch_execz .LBB84_41
; %bb.40:                               ;   in Loop: Header=BB84_5 Depth=1
	v_div_scale_f64 v[26:27], null, v[46:47], v[46:47], s[8:9]
	v_div_scale_f64 v[28:29], null, v[48:49], v[48:49], s[10:11]
	v_div_scale_f64 v[54:55], vcc_lo, s[8:9], v[46:47], s[8:9]
	s_delay_alu instid0(VALU_DEP_3) | instskip(NEXT) | instid1(VALU_DEP_2)
	v_rcp_f64_e32 v[30:31], v[26:27]
	v_rcp_f64_e32 v[32:33], v[28:29]
	s_delay_alu instid0(TRANS32_DEP_2) | instskip(NEXT) | instid1(TRANS32_DEP_1)
	v_fma_f64 v[50:51], -v[26:27], v[30:31], 1.0
	v_fma_f64 v[52:53], -v[28:29], v[32:33], 1.0
	s_delay_alu instid0(VALU_DEP_2) | instskip(NEXT) | instid1(VALU_DEP_2)
	v_fmac_f64_e32 v[30:31], v[30:31], v[50:51]
	v_fmac_f64_e32 v[32:33], v[32:33], v[52:53]
	s_delay_alu instid0(VALU_DEP_2) | instskip(NEXT) | instid1(VALU_DEP_2)
	v_fma_f64 v[50:51], -v[26:27], v[30:31], 1.0
	v_fma_f64 v[52:53], -v[28:29], v[32:33], 1.0
	s_delay_alu instid0(VALU_DEP_2) | instskip(SKIP_1) | instid1(VALU_DEP_3)
	v_fmac_f64_e32 v[30:31], v[30:31], v[50:51]
	v_div_scale_f64 v[50:51], s2, s[10:11], v[48:49], s[10:11]
	v_fmac_f64_e32 v[32:33], v[32:33], v[52:53]
	s_delay_alu instid0(VALU_DEP_3) | instskip(NEXT) | instid1(VALU_DEP_2)
	v_mul_f64_e32 v[52:53], v[54:55], v[30:31]
	v_mul_f64_e32 v[56:57], v[50:51], v[32:33]
	s_delay_alu instid0(VALU_DEP_2) | instskip(NEXT) | instid1(VALU_DEP_2)
	v_fma_f64 v[26:27], -v[26:27], v[52:53], v[54:55]
	v_fma_f64 v[28:29], -v[28:29], v[56:57], v[50:51]
	s_delay_alu instid0(VALU_DEP_2) | instskip(SKIP_1) | instid1(VALU_DEP_2)
	v_div_fmas_f64 v[26:27], v[26:27], v[30:31], v[52:53]
	s_mov_b32 vcc_lo, s2
	v_div_fmas_f64 v[28:29], v[28:29], v[32:33], v[56:57]
	s_delay_alu instid0(VALU_DEP_2) | instskip(NEXT) | instid1(VALU_DEP_2)
	v_div_fixup_f64 v[30:31], v[26:27], v[46:47], s[8:9]
	v_div_fixup_f64 v[32:33], v[28:29], v[48:49], s[10:11]
.LBB84_41:                              ;   in Loop: Header=BB84_5 Depth=1
	s_or_b32 exec_lo, exec_lo, s29
                                        ; implicit-def: $vgpr28_vgpr29
.LBB84_42:                              ;   in Loop: Header=BB84_5 Depth=1
	s_and_not1_saveexec_b32 s2, s3
	s_cbranch_execz .LBB84_44
; %bb.43:                               ;   in Loop: Header=BB84_5 Depth=1
	v_div_scale_f64 v[30:31], null, v[28:29], v[28:29], v[26:27]
	v_div_scale_f64 v[48:49], vcc_lo, v[26:27], v[28:29], v[26:27]
	s_delay_alu instid0(VALU_DEP_2) | instskip(SKIP_1) | instid1(TRANS32_DEP_1)
	v_rcp_f64_e32 v[32:33], v[30:31]
	v_nop
	v_fma_f64 v[46:47], -v[30:31], v[32:33], 1.0
	s_delay_alu instid0(VALU_DEP_1) | instskip(NEXT) | instid1(VALU_DEP_1)
	v_fmac_f64_e32 v[32:33], v[32:33], v[46:47]
	v_fma_f64 v[46:47], -v[30:31], v[32:33], 1.0
	s_delay_alu instid0(VALU_DEP_1) | instskip(NEXT) | instid1(VALU_DEP_1)
	v_fmac_f64_e32 v[32:33], v[32:33], v[46:47]
	v_mul_f64_e32 v[46:47], v[48:49], v[32:33]
	s_delay_alu instid0(VALU_DEP_1) | instskip(NEXT) | instid1(VALU_DEP_1)
	v_fma_f64 v[30:31], -v[30:31], v[46:47], v[48:49]
	v_div_fmas_f64 v[30:31], v[30:31], v[32:33], v[46:47]
	s_delay_alu instid0(VALU_DEP_1) | instskip(NEXT) | instid1(VALU_DEP_1)
	v_div_fixup_f64 v[30:31], v[30:31], v[28:29], v[26:27]
	v_fmac_f64_e32 v[28:29], v[26:27], v[30:31]
	s_delay_alu instid0(VALU_DEP_1) | instskip(SKIP_1) | instid1(VALU_DEP_2)
	v_div_scale_f64 v[26:27], null, v[28:29], v[28:29], 1.0
	v_div_scale_f64 v[48:49], vcc_lo, 1.0, v[28:29], 1.0
	v_rcp_f64_e32 v[32:33], v[26:27]
	v_nop
	s_delay_alu instid0(TRANS32_DEP_1) | instskip(NEXT) | instid1(VALU_DEP_1)
	v_fma_f64 v[46:47], -v[26:27], v[32:33], 1.0
	v_fmac_f64_e32 v[32:33], v[32:33], v[46:47]
	s_delay_alu instid0(VALU_DEP_1) | instskip(NEXT) | instid1(VALU_DEP_1)
	v_fma_f64 v[46:47], -v[26:27], v[32:33], 1.0
	v_fmac_f64_e32 v[32:33], v[32:33], v[46:47]
	s_delay_alu instid0(VALU_DEP_1) | instskip(NEXT) | instid1(VALU_DEP_1)
	v_mul_f64_e32 v[46:47], v[48:49], v[32:33]
	v_fma_f64 v[26:27], -v[26:27], v[46:47], v[48:49]
	s_delay_alu instid0(VALU_DEP_1) | instskip(SKIP_1) | instid1(VALU_DEP_2)
	v_div_fmas_f64 v[26:27], v[26:27], v[32:33], v[46:47]
	v_fma_f64 v[32:33], s[8:9], v[30:31], s[10:11]
	v_div_fixup_f64 v[26:27], v[26:27], v[28:29], 1.0
	v_fma_f64 v[28:29], s[10:11], v[30:31], -s[8:9]
	s_delay_alu instid0(VALU_DEP_2) | instskip(NEXT) | instid1(VALU_DEP_2)
	v_mul_f64_e32 v[30:31], v[32:33], v[26:27]
	v_mul_f64_e32 v[32:33], v[28:29], v[26:27]
.LBB84_44:                              ;   in Loop: Header=BB84_5 Depth=1
	s_or_b32 exec_lo, exec_lo, s2
.LBB84_45:                              ;   in Loop: Header=BB84_5 Depth=1
	s_wait_loadcnt 0x0
	v_cmp_gt_f64_e32 vcc_lo, 0, v[22:23]
	v_xor_b32_e32 v1, 0x80000000, v23
	v_mov_b32_e32 v46, v22
	v_xor_b32_e32 v26, 0x80000000, v25
	s_mov_b32 s3, -1
                                        ; implicit-def: $vgpr28_vgpr29
	s_delay_alu instid0(VALU_DEP_3) | instskip(SKIP_1) | instid1(VALU_DEP_3)
	v_dual_mov_b32 v48, v24 :: v_dual_cndmask_b32 v47, v23, v1
	v_cmp_gt_f64_e32 vcc_lo, 0, v[24:25]
	v_cndmask_b32_e32 v49, v25, v26, vcc_lo
	s_and_not1_b32 vcc_lo, exec_lo, s28
                                        ; implicit-def: $vgpr26_vgpr27
	s_delay_alu instid0(VALU_DEP_1)
	v_cmp_ge_f64_e64 s2, v[46:47], v[48:49]
	s_cbranch_vccnz .LBB84_55
; %bb.46:                               ;   in Loop: Header=BB84_5 Depth=1
                                        ; implicit-def: $vgpr26_vgpr27
                                        ; implicit-def: $vgpr50_vgpr51
	s_and_saveexec_b32 s3, s2
	s_delay_alu instid0(SALU_CYCLE_1)
	s_xor_b32 s29, exec_lo, s3
	s_cbranch_execz .LBB84_52
; %bb.47:                               ;   in Loop: Header=BB84_5 Depth=1
	v_cmp_neq_f64_e32 vcc_lo, 0, v[22:23]
	v_cmp_neq_f64_e64 s3, 0, v[24:25]
                                        ; implicit-def: $vgpr26_vgpr27
                                        ; implicit-def: $vgpr50_vgpr51
	s_or_b32 s3, vcc_lo, s3
	s_delay_alu instid0(SALU_CYCLE_1) | instskip(NEXT) | instid1(SALU_CYCLE_1)
	s_and_saveexec_b32 s30, s3
	s_xor_b32 s3, exec_lo, s30
	s_cbranch_execz .LBB84_49
; %bb.48:                               ;   in Loop: Header=BB84_5 Depth=1
	v_div_scale_f64 v[26:27], null, v[22:23], v[22:23], v[24:25]
	v_div_scale_f64 v[52:53], vcc_lo, v[24:25], v[22:23], v[24:25]
	s_delay_alu instid0(VALU_DEP_2) | instskip(SKIP_1) | instid1(TRANS32_DEP_1)
	v_rcp_f64_e32 v[28:29], v[26:27]
	v_nop
	v_fma_f64 v[50:51], -v[26:27], v[28:29], 1.0
	s_delay_alu instid0(VALU_DEP_1) | instskip(NEXT) | instid1(VALU_DEP_1)
	v_fmac_f64_e32 v[28:29], v[28:29], v[50:51]
	v_fma_f64 v[50:51], -v[26:27], v[28:29], 1.0
	s_delay_alu instid0(VALU_DEP_1) | instskip(NEXT) | instid1(VALU_DEP_1)
	v_fmac_f64_e32 v[28:29], v[28:29], v[50:51]
	v_mul_f64_e32 v[50:51], v[52:53], v[28:29]
	s_delay_alu instid0(VALU_DEP_1) | instskip(NEXT) | instid1(VALU_DEP_1)
	v_fma_f64 v[26:27], -v[26:27], v[50:51], v[52:53]
	v_div_fmas_f64 v[26:27], v[26:27], v[28:29], v[50:51]
	s_delay_alu instid0(VALU_DEP_1) | instskip(NEXT) | instid1(VALU_DEP_1)
	v_div_fixup_f64 v[26:27], v[26:27], v[22:23], v[24:25]
	v_fma_f64 v[28:29], v[24:25], v[26:27], v[22:23]
	s_delay_alu instid0(VALU_DEP_1) | instskip(SKIP_1) | instid1(VALU_DEP_2)
	v_div_scale_f64 v[50:51], null, v[28:29], v[28:29], 1.0
	v_div_scale_f64 v[56:57], vcc_lo, 1.0, v[28:29], 1.0
	v_rcp_f64_e32 v[52:53], v[50:51]
	v_nop
	s_delay_alu instid0(TRANS32_DEP_1) | instskip(NEXT) | instid1(VALU_DEP_1)
	v_fma_f64 v[54:55], -v[50:51], v[52:53], 1.0
	v_fmac_f64_e32 v[52:53], v[52:53], v[54:55]
	s_delay_alu instid0(VALU_DEP_1) | instskip(NEXT) | instid1(VALU_DEP_1)
	v_fma_f64 v[54:55], -v[50:51], v[52:53], 1.0
	v_fmac_f64_e32 v[52:53], v[52:53], v[54:55]
	s_delay_alu instid0(VALU_DEP_1) | instskip(NEXT) | instid1(VALU_DEP_1)
	v_mul_f64_e32 v[54:55], v[56:57], v[52:53]
	v_fma_f64 v[50:51], -v[50:51], v[54:55], v[56:57]
	s_delay_alu instid0(VALU_DEP_1) | instskip(SKIP_2) | instid1(VALU_DEP_3)
	v_div_fmas_f64 v[50:51], v[50:51], v[52:53], v[54:55]
	v_fma_f64 v[52:53], s[10:11], v[26:27], s[8:9]
	v_fma_f64 v[26:27], -s[8:9], v[26:27], s[10:11]
	v_div_fixup_f64 v[28:29], v[50:51], v[28:29], 1.0
	s_delay_alu instid0(VALU_DEP_1) | instskip(NEXT) | instid1(VALU_DEP_3)
	v_mul_f64_e32 v[50:51], v[52:53], v[28:29]
	v_mul_f64_e32 v[26:27], v[26:27], v[28:29]
.LBB84_49:                              ;   in Loop: Header=BB84_5 Depth=1
	s_and_not1_saveexec_b32 s30, s3
	s_cbranch_execz .LBB84_51
; %bb.50:                               ;   in Loop: Header=BB84_5 Depth=1
	v_div_scale_f64 v[26:27], null, v[46:47], v[46:47], s[8:9]
	v_div_scale_f64 v[28:29], null, v[48:49], v[48:49], s[10:11]
	v_div_scale_f64 v[58:59], vcc_lo, s[8:9], v[46:47], s[8:9]
	s_delay_alu instid0(VALU_DEP_3) | instskip(NEXT) | instid1(VALU_DEP_2)
	v_rcp_f64_e32 v[50:51], v[26:27]
	v_rcp_f64_e32 v[52:53], v[28:29]
	s_delay_alu instid0(TRANS32_DEP_2) | instskip(NEXT) | instid1(TRANS32_DEP_1)
	v_fma_f64 v[54:55], -v[26:27], v[50:51], 1.0
	v_fma_f64 v[56:57], -v[28:29], v[52:53], 1.0
	s_delay_alu instid0(VALU_DEP_2) | instskip(NEXT) | instid1(VALU_DEP_2)
	v_fmac_f64_e32 v[50:51], v[50:51], v[54:55]
	v_fmac_f64_e32 v[52:53], v[52:53], v[56:57]
	s_delay_alu instid0(VALU_DEP_2) | instskip(NEXT) | instid1(VALU_DEP_2)
	v_fma_f64 v[54:55], -v[26:27], v[50:51], 1.0
	v_fma_f64 v[56:57], -v[28:29], v[52:53], 1.0
	s_delay_alu instid0(VALU_DEP_2) | instskip(SKIP_1) | instid1(VALU_DEP_3)
	v_fmac_f64_e32 v[50:51], v[50:51], v[54:55]
	v_div_scale_f64 v[54:55], s3, s[10:11], v[48:49], s[10:11]
	v_fmac_f64_e32 v[52:53], v[52:53], v[56:57]
	s_delay_alu instid0(VALU_DEP_3) | instskip(NEXT) | instid1(VALU_DEP_2)
	v_mul_f64_e32 v[56:57], v[58:59], v[50:51]
	v_mul_f64_e32 v[60:61], v[54:55], v[52:53]
	s_delay_alu instid0(VALU_DEP_2) | instskip(NEXT) | instid1(VALU_DEP_2)
	v_fma_f64 v[26:27], -v[26:27], v[56:57], v[58:59]
	v_fma_f64 v[28:29], -v[28:29], v[60:61], v[54:55]
	s_delay_alu instid0(VALU_DEP_2) | instskip(SKIP_1) | instid1(VALU_DEP_2)
	v_div_fmas_f64 v[26:27], v[26:27], v[50:51], v[56:57]
	s_mov_b32 vcc_lo, s3
	v_div_fmas_f64 v[28:29], v[28:29], v[52:53], v[60:61]
	s_delay_alu instid0(VALU_DEP_2) | instskip(NEXT) | instid1(VALU_DEP_2)
	v_div_fixup_f64 v[50:51], v[26:27], v[46:47], s[8:9]
	v_div_fixup_f64 v[26:27], v[28:29], v[48:49], s[10:11]
.LBB84_51:                              ;   in Loop: Header=BB84_5 Depth=1
	s_or_b32 exec_lo, exec_lo, s30
.LBB84_52:                              ;   in Loop: Header=BB84_5 Depth=1
	s_and_not1_saveexec_b32 s3, s29
	s_cbranch_execz .LBB84_54
; %bb.53:                               ;   in Loop: Header=BB84_5 Depth=1
	v_div_scale_f64 v[26:27], null, v[24:25], v[24:25], v[22:23]
	v_div_scale_f64 v[52:53], vcc_lo, v[22:23], v[24:25], v[22:23]
	s_delay_alu instid0(VALU_DEP_2) | instskip(SKIP_1) | instid1(TRANS32_DEP_1)
	v_rcp_f64_e32 v[28:29], v[26:27]
	v_nop
	v_fma_f64 v[50:51], -v[26:27], v[28:29], 1.0
	s_delay_alu instid0(VALU_DEP_1) | instskip(NEXT) | instid1(VALU_DEP_1)
	v_fmac_f64_e32 v[28:29], v[28:29], v[50:51]
	v_fma_f64 v[50:51], -v[26:27], v[28:29], 1.0
	s_delay_alu instid0(VALU_DEP_1) | instskip(NEXT) | instid1(VALU_DEP_1)
	v_fmac_f64_e32 v[28:29], v[28:29], v[50:51]
	v_mul_f64_e32 v[50:51], v[52:53], v[28:29]
	s_delay_alu instid0(VALU_DEP_1) | instskip(NEXT) | instid1(VALU_DEP_1)
	v_fma_f64 v[26:27], -v[26:27], v[50:51], v[52:53]
	v_div_fmas_f64 v[26:27], v[26:27], v[28:29], v[50:51]
	s_delay_alu instid0(VALU_DEP_1) | instskip(NEXT) | instid1(VALU_DEP_1)
	v_div_fixup_f64 v[26:27], v[26:27], v[24:25], v[22:23]
	v_fma_f64 v[28:29], v[22:23], v[26:27], v[24:25]
	s_delay_alu instid0(VALU_DEP_1) | instskip(SKIP_1) | instid1(VALU_DEP_2)
	v_div_scale_f64 v[50:51], null, v[28:29], v[28:29], 1.0
	v_div_scale_f64 v[56:57], vcc_lo, 1.0, v[28:29], 1.0
	v_rcp_f64_e32 v[52:53], v[50:51]
	v_nop
	s_delay_alu instid0(TRANS32_DEP_1) | instskip(NEXT) | instid1(VALU_DEP_1)
	v_fma_f64 v[54:55], -v[50:51], v[52:53], 1.0
	v_fmac_f64_e32 v[52:53], v[52:53], v[54:55]
	s_delay_alu instid0(VALU_DEP_1) | instskip(NEXT) | instid1(VALU_DEP_1)
	v_fma_f64 v[54:55], -v[50:51], v[52:53], 1.0
	v_fmac_f64_e32 v[52:53], v[52:53], v[54:55]
	s_delay_alu instid0(VALU_DEP_1) | instskip(NEXT) | instid1(VALU_DEP_1)
	v_mul_f64_e32 v[54:55], v[56:57], v[52:53]
	v_fma_f64 v[50:51], -v[50:51], v[54:55], v[56:57]
	s_delay_alu instid0(VALU_DEP_1) | instskip(SKIP_2) | instid1(VALU_DEP_3)
	v_div_fmas_f64 v[50:51], v[50:51], v[52:53], v[54:55]
	v_fma_f64 v[52:53], s[8:9], v[26:27], s[10:11]
	v_fma_f64 v[26:27], s[10:11], v[26:27], -s[8:9]
	v_div_fixup_f64 v[28:29], v[50:51], v[28:29], 1.0
	s_delay_alu instid0(VALU_DEP_1) | instskip(NEXT) | instid1(VALU_DEP_3)
	v_mul_f64_e32 v[50:51], v[52:53], v[28:29]
	v_mul_f64_e32 v[26:27], v[26:27], v[28:29]
.LBB84_54:                              ;   in Loop: Header=BB84_5 Depth=1
	s_or_b32 exec_lo, exec_lo, s3
	s_delay_alu instid0(VALU_DEP_1) | instskip(SKIP_2) | instid1(VALU_DEP_2)
	v_mul_f64_e32 v[28:29], s[6:7], v[26:27]
	v_mul_f64_e32 v[26:27], s[4:5], v[26:27]
	s_mov_b32 s3, 0
	v_fma_f64 v[28:29], s[4:5], v[50:51], -v[28:29]
	s_delay_alu instid0(VALU_DEP_2)
	v_fmac_f64_e32 v[26:27], s[6:7], v[50:51]
.LBB84_55:                              ;   in Loop: Header=BB84_5 Depth=1
	s_and_b32 vcc_lo, exec_lo, s3
	s_cbranch_vccz .LBB84_65
; %bb.56:                               ;   in Loop: Header=BB84_5 Depth=1
                                        ; implicit-def: $vgpr26_vgpr27
                                        ; implicit-def: $vgpr28_vgpr29
	s_and_saveexec_b32 s3, s2
	s_delay_alu instid0(SALU_CYCLE_1)
	s_xor_b32 s3, exec_lo, s3
	s_cbranch_execz .LBB84_62
; %bb.57:                               ;   in Loop: Header=BB84_5 Depth=1
	v_cmp_neq_f64_e32 vcc_lo, 0, v[22:23]
	v_cmp_neq_f64_e64 s2, 0, v[24:25]
                                        ; implicit-def: $vgpr26_vgpr27
                                        ; implicit-def: $vgpr28_vgpr29
	s_or_b32 s2, vcc_lo, s2
	s_delay_alu instid0(SALU_CYCLE_1) | instskip(NEXT) | instid1(SALU_CYCLE_1)
	s_and_saveexec_b32 s29, s2
	s_xor_b32 s2, exec_lo, s29
	s_cbranch_execz .LBB84_59
; %bb.58:                               ;   in Loop: Header=BB84_5 Depth=1
	v_div_scale_f64 v[26:27], null, v[22:23], v[22:23], v[24:25]
	v_div_scale_f64 v[48:49], vcc_lo, v[24:25], v[22:23], v[24:25]
	s_delay_alu instid0(VALU_DEP_2) | instskip(SKIP_1) | instid1(TRANS32_DEP_1)
	v_rcp_f64_e32 v[28:29], v[26:27]
	v_nop
	v_fma_f64 v[46:47], -v[26:27], v[28:29], 1.0
	s_delay_alu instid0(VALU_DEP_1) | instskip(NEXT) | instid1(VALU_DEP_1)
	v_fmac_f64_e32 v[28:29], v[28:29], v[46:47]
	v_fma_f64 v[46:47], -v[26:27], v[28:29], 1.0
	s_delay_alu instid0(VALU_DEP_1) | instskip(NEXT) | instid1(VALU_DEP_1)
	v_fmac_f64_e32 v[28:29], v[28:29], v[46:47]
	v_mul_f64_e32 v[46:47], v[48:49], v[28:29]
	s_delay_alu instid0(VALU_DEP_1) | instskip(NEXT) | instid1(VALU_DEP_1)
	v_fma_f64 v[26:27], -v[26:27], v[46:47], v[48:49]
	v_div_fmas_f64 v[26:27], v[26:27], v[28:29], v[46:47]
	s_delay_alu instid0(VALU_DEP_1) | instskip(NEXT) | instid1(VALU_DEP_1)
	v_div_fixup_f64 v[26:27], v[26:27], v[22:23], v[24:25]
	v_fmac_f64_e32 v[22:23], v[24:25], v[26:27]
	s_delay_alu instid0(VALU_DEP_1) | instskip(SKIP_1) | instid1(VALU_DEP_2)
	v_div_scale_f64 v[24:25], null, v[22:23], v[22:23], 1.0
	v_div_scale_f64 v[48:49], vcc_lo, 1.0, v[22:23], 1.0
	v_rcp_f64_e32 v[28:29], v[24:25]
	v_nop
	s_delay_alu instid0(TRANS32_DEP_1) | instskip(NEXT) | instid1(VALU_DEP_1)
	v_fma_f64 v[46:47], -v[24:25], v[28:29], 1.0
	v_fmac_f64_e32 v[28:29], v[28:29], v[46:47]
	s_delay_alu instid0(VALU_DEP_1) | instskip(NEXT) | instid1(VALU_DEP_1)
	v_fma_f64 v[46:47], -v[24:25], v[28:29], 1.0
	v_fmac_f64_e32 v[28:29], v[28:29], v[46:47]
	s_delay_alu instid0(VALU_DEP_1) | instskip(NEXT) | instid1(VALU_DEP_1)
	v_mul_f64_e32 v[46:47], v[48:49], v[28:29]
	v_fma_f64 v[24:25], -v[24:25], v[46:47], v[48:49]
                                        ; implicit-def: $vgpr48_vgpr49
	s_delay_alu instid0(VALU_DEP_1) | instskip(SKIP_1) | instid1(VALU_DEP_2)
	v_div_fmas_f64 v[24:25], v[24:25], v[28:29], v[46:47]
	v_fma_f64 v[28:29], s[10:11], v[26:27], s[8:9]
                                        ; implicit-def: $vgpr46_vgpr47
	v_div_fixup_f64 v[22:23], v[24:25], v[22:23], 1.0
	v_fma_f64 v[24:25], -s[8:9], v[26:27], s[10:11]
	s_delay_alu instid0(VALU_DEP_2) | instskip(NEXT) | instid1(VALU_DEP_2)
	v_mul_f64_e32 v[28:29], v[28:29], v[22:23]
	v_mul_f64_e32 v[26:27], v[24:25], v[22:23]
.LBB84_59:                              ;   in Loop: Header=BB84_5 Depth=1
	s_and_not1_saveexec_b32 s29, s2
	s_cbranch_execz .LBB84_61
; %bb.60:                               ;   in Loop: Header=BB84_5 Depth=1
	v_div_scale_f64 v[22:23], null, v[46:47], v[46:47], s[8:9]
	v_div_scale_f64 v[24:25], null, v[48:49], v[48:49], s[10:11]
	v_div_scale_f64 v[54:55], vcc_lo, s[8:9], v[46:47], s[8:9]
	s_delay_alu instid0(VALU_DEP_3) | instskip(NEXT) | instid1(VALU_DEP_2)
	v_rcp_f64_e32 v[26:27], v[22:23]
	v_rcp_f64_e32 v[28:29], v[24:25]
	s_delay_alu instid0(TRANS32_DEP_2) | instskip(NEXT) | instid1(TRANS32_DEP_1)
	v_fma_f64 v[50:51], -v[22:23], v[26:27], 1.0
	v_fma_f64 v[52:53], -v[24:25], v[28:29], 1.0
	s_delay_alu instid0(VALU_DEP_2) | instskip(NEXT) | instid1(VALU_DEP_2)
	v_fmac_f64_e32 v[26:27], v[26:27], v[50:51]
	v_fmac_f64_e32 v[28:29], v[28:29], v[52:53]
	s_delay_alu instid0(VALU_DEP_2) | instskip(NEXT) | instid1(VALU_DEP_2)
	v_fma_f64 v[50:51], -v[22:23], v[26:27], 1.0
	v_fma_f64 v[52:53], -v[24:25], v[28:29], 1.0
	s_delay_alu instid0(VALU_DEP_2) | instskip(SKIP_1) | instid1(VALU_DEP_3)
	v_fmac_f64_e32 v[26:27], v[26:27], v[50:51]
	v_div_scale_f64 v[50:51], s2, s[10:11], v[48:49], s[10:11]
	v_fmac_f64_e32 v[28:29], v[28:29], v[52:53]
	s_delay_alu instid0(VALU_DEP_3) | instskip(NEXT) | instid1(VALU_DEP_2)
	v_mul_f64_e32 v[52:53], v[54:55], v[26:27]
	v_mul_f64_e32 v[56:57], v[50:51], v[28:29]
	s_delay_alu instid0(VALU_DEP_2) | instskip(NEXT) | instid1(VALU_DEP_2)
	v_fma_f64 v[22:23], -v[22:23], v[52:53], v[54:55]
	v_fma_f64 v[24:25], -v[24:25], v[56:57], v[50:51]
	s_delay_alu instid0(VALU_DEP_2) | instskip(SKIP_1) | instid1(VALU_DEP_2)
	v_div_fmas_f64 v[22:23], v[22:23], v[26:27], v[52:53]
	s_mov_b32 vcc_lo, s2
	v_div_fmas_f64 v[24:25], v[24:25], v[28:29], v[56:57]
	s_delay_alu instid0(VALU_DEP_2) | instskip(NEXT) | instid1(VALU_DEP_2)
	v_div_fixup_f64 v[28:29], v[22:23], v[46:47], s[8:9]
	v_div_fixup_f64 v[26:27], v[24:25], v[48:49], s[10:11]
.LBB84_61:                              ;   in Loop: Header=BB84_5 Depth=1
	s_or_b32 exec_lo, exec_lo, s29
                                        ; implicit-def: $vgpr24_vgpr25
.LBB84_62:                              ;   in Loop: Header=BB84_5 Depth=1
	s_and_not1_saveexec_b32 s2, s3
	s_cbranch_execz .LBB84_64
; %bb.63:                               ;   in Loop: Header=BB84_5 Depth=1
	v_div_scale_f64 v[26:27], null, v[24:25], v[24:25], v[22:23]
	v_div_scale_f64 v[48:49], vcc_lo, v[22:23], v[24:25], v[22:23]
	s_delay_alu instid0(VALU_DEP_2) | instskip(SKIP_1) | instid1(TRANS32_DEP_1)
	v_rcp_f64_e32 v[28:29], v[26:27]
	v_nop
	v_fma_f64 v[46:47], -v[26:27], v[28:29], 1.0
	s_delay_alu instid0(VALU_DEP_1) | instskip(NEXT) | instid1(VALU_DEP_1)
	v_fmac_f64_e32 v[28:29], v[28:29], v[46:47]
	v_fma_f64 v[46:47], -v[26:27], v[28:29], 1.0
	s_delay_alu instid0(VALU_DEP_1) | instskip(NEXT) | instid1(VALU_DEP_1)
	v_fmac_f64_e32 v[28:29], v[28:29], v[46:47]
	v_mul_f64_e32 v[46:47], v[48:49], v[28:29]
	s_delay_alu instid0(VALU_DEP_1) | instskip(NEXT) | instid1(VALU_DEP_1)
	v_fma_f64 v[26:27], -v[26:27], v[46:47], v[48:49]
	v_div_fmas_f64 v[26:27], v[26:27], v[28:29], v[46:47]
	s_delay_alu instid0(VALU_DEP_1) | instskip(NEXT) | instid1(VALU_DEP_1)
	v_div_fixup_f64 v[26:27], v[26:27], v[24:25], v[22:23]
	v_fmac_f64_e32 v[24:25], v[22:23], v[26:27]
	s_delay_alu instid0(VALU_DEP_1) | instskip(SKIP_1) | instid1(VALU_DEP_2)
	v_div_scale_f64 v[22:23], null, v[24:25], v[24:25], 1.0
	v_div_scale_f64 v[48:49], vcc_lo, 1.0, v[24:25], 1.0
	v_rcp_f64_e32 v[28:29], v[22:23]
	v_nop
	s_delay_alu instid0(TRANS32_DEP_1) | instskip(NEXT) | instid1(VALU_DEP_1)
	v_fma_f64 v[46:47], -v[22:23], v[28:29], 1.0
	v_fmac_f64_e32 v[28:29], v[28:29], v[46:47]
	s_delay_alu instid0(VALU_DEP_1) | instskip(NEXT) | instid1(VALU_DEP_1)
	v_fma_f64 v[46:47], -v[22:23], v[28:29], 1.0
	v_fmac_f64_e32 v[28:29], v[28:29], v[46:47]
	s_delay_alu instid0(VALU_DEP_1) | instskip(NEXT) | instid1(VALU_DEP_1)
	v_mul_f64_e32 v[46:47], v[48:49], v[28:29]
	v_fma_f64 v[22:23], -v[22:23], v[46:47], v[48:49]
	s_delay_alu instid0(VALU_DEP_1) | instskip(SKIP_1) | instid1(VALU_DEP_2)
	v_div_fmas_f64 v[22:23], v[22:23], v[28:29], v[46:47]
	v_fma_f64 v[28:29], s[8:9], v[26:27], s[10:11]
	v_div_fixup_f64 v[22:23], v[22:23], v[24:25], 1.0
	v_fma_f64 v[24:25], s[10:11], v[26:27], -s[8:9]
	s_delay_alu instid0(VALU_DEP_2) | instskip(NEXT) | instid1(VALU_DEP_2)
	v_mul_f64_e32 v[28:29], v[28:29], v[22:23]
	v_mul_f64_e32 v[26:27], v[24:25], v[22:23]
.LBB84_64:                              ;   in Loop: Header=BB84_5 Depth=1
	s_or_b32 exec_lo, exec_lo, s2
.LBB84_65:                              ;   in Loop: Header=BB84_5 Depth=1
	v_cmp_gt_f64_e32 vcc_lo, 0, v[18:19]
	v_xor_b32_e32 v1, 0x80000000, v19
	v_mov_b32_e32 v22, v18
	v_xor_b32_e32 v24, 0x80000000, v21
	s_mov_b32 s3, -1
                                        ; implicit-def: $vgpr46_vgpr47
                                        ; implicit-def: $vgpr48_vgpr49
	s_delay_alu instid0(VALU_DEP_3) | instskip(SKIP_1) | instid1(VALU_DEP_3)
	v_cndmask_b32_e32 v23, v19, v1, vcc_lo
	v_cmp_gt_f64_e32 vcc_lo, 0, v[20:21]
	v_dual_cndmask_b32 v25, v21, v24 :: v_dual_mov_b32 v24, v20
	s_and_not1_b32 vcc_lo, exec_lo, s28
	s_delay_alu instid0(VALU_DEP_1)
	v_cmp_ge_f64_e64 s2, v[22:23], v[24:25]
	s_cbranch_vccnz .LBB84_75
; %bb.66:                               ;   in Loop: Header=BB84_5 Depth=1
                                        ; implicit-def: $vgpr46_vgpr47
                                        ; implicit-def: $vgpr50_vgpr51
	s_and_saveexec_b32 s3, s2
	s_delay_alu instid0(SALU_CYCLE_1)
	s_xor_b32 s29, exec_lo, s3
	s_cbranch_execz .LBB84_72
; %bb.67:                               ;   in Loop: Header=BB84_5 Depth=1
	v_cmp_neq_f64_e32 vcc_lo, 0, v[18:19]
	v_cmp_neq_f64_e64 s3, 0, v[20:21]
                                        ; implicit-def: $vgpr46_vgpr47
                                        ; implicit-def: $vgpr50_vgpr51
	s_or_b32 s3, vcc_lo, s3
	s_delay_alu instid0(SALU_CYCLE_1) | instskip(NEXT) | instid1(SALU_CYCLE_1)
	s_and_saveexec_b32 s30, s3
	s_xor_b32 s3, exec_lo, s30
	s_cbranch_execz .LBB84_69
; %bb.68:                               ;   in Loop: Header=BB84_5 Depth=1
	v_div_scale_f64 v[46:47], null, v[18:19], v[18:19], v[20:21]
	v_div_scale_f64 v[52:53], vcc_lo, v[20:21], v[18:19], v[20:21]
	s_delay_alu instid0(VALU_DEP_2) | instskip(SKIP_1) | instid1(TRANS32_DEP_1)
	v_rcp_f64_e32 v[48:49], v[46:47]
	v_nop
	v_fma_f64 v[50:51], -v[46:47], v[48:49], 1.0
	s_delay_alu instid0(VALU_DEP_1) | instskip(NEXT) | instid1(VALU_DEP_1)
	v_fmac_f64_e32 v[48:49], v[48:49], v[50:51]
	v_fma_f64 v[50:51], -v[46:47], v[48:49], 1.0
	s_delay_alu instid0(VALU_DEP_1) | instskip(NEXT) | instid1(VALU_DEP_1)
	v_fmac_f64_e32 v[48:49], v[48:49], v[50:51]
	v_mul_f64_e32 v[50:51], v[52:53], v[48:49]
	s_delay_alu instid0(VALU_DEP_1) | instskip(NEXT) | instid1(VALU_DEP_1)
	v_fma_f64 v[46:47], -v[46:47], v[50:51], v[52:53]
	v_div_fmas_f64 v[46:47], v[46:47], v[48:49], v[50:51]
	s_delay_alu instid0(VALU_DEP_1) | instskip(NEXT) | instid1(VALU_DEP_1)
	v_div_fixup_f64 v[46:47], v[46:47], v[18:19], v[20:21]
	v_fma_f64 v[48:49], v[20:21], v[46:47], v[18:19]
	s_delay_alu instid0(VALU_DEP_1) | instskip(SKIP_1) | instid1(VALU_DEP_2)
	v_div_scale_f64 v[50:51], null, v[48:49], v[48:49], 1.0
	v_div_scale_f64 v[56:57], vcc_lo, 1.0, v[48:49], 1.0
	v_rcp_f64_e32 v[52:53], v[50:51]
	v_nop
	s_delay_alu instid0(TRANS32_DEP_1) | instskip(NEXT) | instid1(VALU_DEP_1)
	v_fma_f64 v[54:55], -v[50:51], v[52:53], 1.0
	v_fmac_f64_e32 v[52:53], v[52:53], v[54:55]
	s_delay_alu instid0(VALU_DEP_1) | instskip(NEXT) | instid1(VALU_DEP_1)
	v_fma_f64 v[54:55], -v[50:51], v[52:53], 1.0
	v_fmac_f64_e32 v[52:53], v[52:53], v[54:55]
	s_delay_alu instid0(VALU_DEP_1) | instskip(NEXT) | instid1(VALU_DEP_1)
	v_mul_f64_e32 v[54:55], v[56:57], v[52:53]
	v_fma_f64 v[50:51], -v[50:51], v[54:55], v[56:57]
	s_delay_alu instid0(VALU_DEP_1) | instskip(SKIP_2) | instid1(VALU_DEP_3)
	v_div_fmas_f64 v[50:51], v[50:51], v[52:53], v[54:55]
	v_fma_f64 v[52:53], s[10:11], v[46:47], s[8:9]
	v_fma_f64 v[46:47], -s[8:9], v[46:47], s[10:11]
	v_div_fixup_f64 v[48:49], v[50:51], v[48:49], 1.0
	s_delay_alu instid0(VALU_DEP_1) | instskip(NEXT) | instid1(VALU_DEP_3)
	v_mul_f64_e32 v[50:51], v[52:53], v[48:49]
	v_mul_f64_e32 v[46:47], v[46:47], v[48:49]
.LBB84_69:                              ;   in Loop: Header=BB84_5 Depth=1
	s_and_not1_saveexec_b32 s30, s3
	s_cbranch_execz .LBB84_71
; %bb.70:                               ;   in Loop: Header=BB84_5 Depth=1
	v_div_scale_f64 v[46:47], null, v[22:23], v[22:23], s[8:9]
	v_div_scale_f64 v[48:49], null, v[24:25], v[24:25], s[10:11]
	v_div_scale_f64 v[58:59], vcc_lo, s[8:9], v[22:23], s[8:9]
	s_delay_alu instid0(VALU_DEP_3) | instskip(NEXT) | instid1(VALU_DEP_2)
	v_rcp_f64_e32 v[50:51], v[46:47]
	v_rcp_f64_e32 v[52:53], v[48:49]
	s_delay_alu instid0(TRANS32_DEP_2) | instskip(NEXT) | instid1(TRANS32_DEP_1)
	v_fma_f64 v[54:55], -v[46:47], v[50:51], 1.0
	v_fma_f64 v[56:57], -v[48:49], v[52:53], 1.0
	s_delay_alu instid0(VALU_DEP_2) | instskip(NEXT) | instid1(VALU_DEP_2)
	v_fmac_f64_e32 v[50:51], v[50:51], v[54:55]
	v_fmac_f64_e32 v[52:53], v[52:53], v[56:57]
	s_delay_alu instid0(VALU_DEP_2) | instskip(NEXT) | instid1(VALU_DEP_2)
	v_fma_f64 v[54:55], -v[46:47], v[50:51], 1.0
	v_fma_f64 v[56:57], -v[48:49], v[52:53], 1.0
	s_delay_alu instid0(VALU_DEP_2) | instskip(SKIP_1) | instid1(VALU_DEP_3)
	v_fmac_f64_e32 v[50:51], v[50:51], v[54:55]
	v_div_scale_f64 v[54:55], s3, s[10:11], v[24:25], s[10:11]
	v_fmac_f64_e32 v[52:53], v[52:53], v[56:57]
	s_delay_alu instid0(VALU_DEP_3) | instskip(NEXT) | instid1(VALU_DEP_2)
	v_mul_f64_e32 v[56:57], v[58:59], v[50:51]
	v_mul_f64_e32 v[60:61], v[54:55], v[52:53]
	s_delay_alu instid0(VALU_DEP_2) | instskip(NEXT) | instid1(VALU_DEP_2)
	v_fma_f64 v[46:47], -v[46:47], v[56:57], v[58:59]
	v_fma_f64 v[48:49], -v[48:49], v[60:61], v[54:55]
	s_delay_alu instid0(VALU_DEP_2) | instskip(SKIP_1) | instid1(VALU_DEP_2)
	v_div_fmas_f64 v[46:47], v[46:47], v[50:51], v[56:57]
	s_mov_b32 vcc_lo, s3
	v_div_fmas_f64 v[48:49], v[48:49], v[52:53], v[60:61]
	s_delay_alu instid0(VALU_DEP_2) | instskip(NEXT) | instid1(VALU_DEP_2)
	v_div_fixup_f64 v[50:51], v[46:47], v[22:23], s[8:9]
	v_div_fixup_f64 v[46:47], v[48:49], v[24:25], s[10:11]
.LBB84_71:                              ;   in Loop: Header=BB84_5 Depth=1
	s_or_b32 exec_lo, exec_lo, s30
.LBB84_72:                              ;   in Loop: Header=BB84_5 Depth=1
	s_and_not1_saveexec_b32 s3, s29
	s_cbranch_execz .LBB84_74
; %bb.73:                               ;   in Loop: Header=BB84_5 Depth=1
	v_div_scale_f64 v[46:47], null, v[20:21], v[20:21], v[18:19]
	v_div_scale_f64 v[52:53], vcc_lo, v[18:19], v[20:21], v[18:19]
	s_delay_alu instid0(VALU_DEP_2) | instskip(SKIP_1) | instid1(TRANS32_DEP_1)
	v_rcp_f64_e32 v[48:49], v[46:47]
	v_nop
	v_fma_f64 v[50:51], -v[46:47], v[48:49], 1.0
	s_delay_alu instid0(VALU_DEP_1) | instskip(NEXT) | instid1(VALU_DEP_1)
	v_fmac_f64_e32 v[48:49], v[48:49], v[50:51]
	v_fma_f64 v[50:51], -v[46:47], v[48:49], 1.0
	s_delay_alu instid0(VALU_DEP_1) | instskip(NEXT) | instid1(VALU_DEP_1)
	v_fmac_f64_e32 v[48:49], v[48:49], v[50:51]
	v_mul_f64_e32 v[50:51], v[52:53], v[48:49]
	s_delay_alu instid0(VALU_DEP_1) | instskip(NEXT) | instid1(VALU_DEP_1)
	v_fma_f64 v[46:47], -v[46:47], v[50:51], v[52:53]
	v_div_fmas_f64 v[46:47], v[46:47], v[48:49], v[50:51]
	s_delay_alu instid0(VALU_DEP_1) | instskip(NEXT) | instid1(VALU_DEP_1)
	v_div_fixup_f64 v[46:47], v[46:47], v[20:21], v[18:19]
	v_fma_f64 v[48:49], v[18:19], v[46:47], v[20:21]
	s_delay_alu instid0(VALU_DEP_1) | instskip(SKIP_1) | instid1(VALU_DEP_2)
	v_div_scale_f64 v[50:51], null, v[48:49], v[48:49], 1.0
	v_div_scale_f64 v[56:57], vcc_lo, 1.0, v[48:49], 1.0
	v_rcp_f64_e32 v[52:53], v[50:51]
	v_nop
	s_delay_alu instid0(TRANS32_DEP_1) | instskip(NEXT) | instid1(VALU_DEP_1)
	v_fma_f64 v[54:55], -v[50:51], v[52:53], 1.0
	v_fmac_f64_e32 v[52:53], v[52:53], v[54:55]
	s_delay_alu instid0(VALU_DEP_1) | instskip(NEXT) | instid1(VALU_DEP_1)
	v_fma_f64 v[54:55], -v[50:51], v[52:53], 1.0
	v_fmac_f64_e32 v[52:53], v[52:53], v[54:55]
	s_delay_alu instid0(VALU_DEP_1) | instskip(NEXT) | instid1(VALU_DEP_1)
	v_mul_f64_e32 v[54:55], v[56:57], v[52:53]
	v_fma_f64 v[50:51], -v[50:51], v[54:55], v[56:57]
	s_delay_alu instid0(VALU_DEP_1) | instskip(SKIP_2) | instid1(VALU_DEP_3)
	v_div_fmas_f64 v[50:51], v[50:51], v[52:53], v[54:55]
	v_fma_f64 v[52:53], s[8:9], v[46:47], s[10:11]
	v_fma_f64 v[46:47], s[10:11], v[46:47], -s[8:9]
	v_div_fixup_f64 v[48:49], v[50:51], v[48:49], 1.0
	s_delay_alu instid0(VALU_DEP_1) | instskip(NEXT) | instid1(VALU_DEP_3)
	v_mul_f64_e32 v[50:51], v[52:53], v[48:49]
	v_mul_f64_e32 v[46:47], v[46:47], v[48:49]
.LBB84_74:                              ;   in Loop: Header=BB84_5 Depth=1
	s_or_b32 exec_lo, exec_lo, s3
	s_delay_alu instid0(VALU_DEP_1) | instskip(SKIP_2) | instid1(VALU_DEP_2)
	v_mul_f64_e32 v[48:49], s[6:7], v[46:47]
	v_mul_f64_e32 v[46:47], s[4:5], v[46:47]
	s_mov_b32 s3, 0
	v_fma_f64 v[48:49], s[4:5], v[50:51], -v[48:49]
	s_delay_alu instid0(VALU_DEP_2)
	v_fmac_f64_e32 v[46:47], s[6:7], v[50:51]
.LBB84_75:                              ;   in Loop: Header=BB84_5 Depth=1
	s_and_b32 vcc_lo, exec_lo, s3
	s_cbranch_vccz .LBB84_4
; %bb.76:                               ;   in Loop: Header=BB84_5 Depth=1
                                        ; implicit-def: $vgpr46_vgpr47
                                        ; implicit-def: $vgpr48_vgpr49
	s_and_saveexec_b32 s3, s2
	s_delay_alu instid0(SALU_CYCLE_1)
	s_xor_b32 s3, exec_lo, s3
	s_cbranch_execz .LBB84_82
; %bb.77:                               ;   in Loop: Header=BB84_5 Depth=1
	v_cmp_neq_f64_e32 vcc_lo, 0, v[18:19]
	v_cmp_neq_f64_e64 s2, 0, v[20:21]
                                        ; implicit-def: $vgpr46_vgpr47
                                        ; implicit-def: $vgpr48_vgpr49
	s_or_b32 s2, vcc_lo, s2
	s_delay_alu instid0(SALU_CYCLE_1) | instskip(NEXT) | instid1(SALU_CYCLE_1)
	s_and_saveexec_b32 s29, s2
	s_xor_b32 s2, exec_lo, s29
	s_cbranch_execz .LBB84_79
; %bb.78:                               ;   in Loop: Header=BB84_5 Depth=1
	v_div_scale_f64 v[22:23], null, v[18:19], v[18:19], v[20:21]
	v_div_scale_f64 v[48:49], vcc_lo, v[20:21], v[18:19], v[20:21]
	s_delay_alu instid0(VALU_DEP_2) | instskip(SKIP_1) | instid1(TRANS32_DEP_1)
	v_rcp_f64_e32 v[24:25], v[22:23]
	v_nop
	v_fma_f64 v[46:47], -v[22:23], v[24:25], 1.0
	s_delay_alu instid0(VALU_DEP_1) | instskip(NEXT) | instid1(VALU_DEP_1)
	v_fmac_f64_e32 v[24:25], v[24:25], v[46:47]
	v_fma_f64 v[46:47], -v[22:23], v[24:25], 1.0
	s_delay_alu instid0(VALU_DEP_1) | instskip(NEXT) | instid1(VALU_DEP_1)
	v_fmac_f64_e32 v[24:25], v[24:25], v[46:47]
	v_mul_f64_e32 v[46:47], v[48:49], v[24:25]
	s_delay_alu instid0(VALU_DEP_1) | instskip(NEXT) | instid1(VALU_DEP_1)
	v_fma_f64 v[22:23], -v[22:23], v[46:47], v[48:49]
	v_div_fmas_f64 v[22:23], v[22:23], v[24:25], v[46:47]
	s_delay_alu instid0(VALU_DEP_1) | instskip(NEXT) | instid1(VALU_DEP_1)
	v_div_fixup_f64 v[22:23], v[22:23], v[18:19], v[20:21]
	v_fmac_f64_e32 v[18:19], v[20:21], v[22:23]
	s_delay_alu instid0(VALU_DEP_1) | instskip(SKIP_1) | instid1(VALU_DEP_2)
	v_div_scale_f64 v[20:21], null, v[18:19], v[18:19], 1.0
	v_div_scale_f64 v[48:49], vcc_lo, 1.0, v[18:19], 1.0
	v_rcp_f64_e32 v[24:25], v[20:21]
	v_nop
	s_delay_alu instid0(TRANS32_DEP_1) | instskip(NEXT) | instid1(VALU_DEP_1)
	v_fma_f64 v[46:47], -v[20:21], v[24:25], 1.0
	v_fmac_f64_e32 v[24:25], v[24:25], v[46:47]
	s_delay_alu instid0(VALU_DEP_1) | instskip(NEXT) | instid1(VALU_DEP_1)
	v_fma_f64 v[46:47], -v[20:21], v[24:25], 1.0
	v_fmac_f64_e32 v[24:25], v[24:25], v[46:47]
	s_delay_alu instid0(VALU_DEP_1) | instskip(NEXT) | instid1(VALU_DEP_1)
	v_mul_f64_e32 v[46:47], v[48:49], v[24:25]
	v_fma_f64 v[20:21], -v[20:21], v[46:47], v[48:49]
	s_delay_alu instid0(VALU_DEP_1) | instskip(SKIP_1) | instid1(VALU_DEP_2)
	v_div_fmas_f64 v[20:21], v[20:21], v[24:25], v[46:47]
	v_fma_f64 v[24:25], s[10:11], v[22:23], s[8:9]
	v_div_fixup_f64 v[18:19], v[20:21], v[18:19], 1.0
	v_fma_f64 v[20:21], -s[8:9], v[22:23], s[10:11]
                                        ; implicit-def: $vgpr22_vgpr23
	s_delay_alu instid0(VALU_DEP_2) | instskip(NEXT) | instid1(VALU_DEP_2)
	v_mul_f64_e32 v[48:49], v[24:25], v[18:19]
	v_mul_f64_e32 v[46:47], v[20:21], v[18:19]
                                        ; implicit-def: $vgpr24_vgpr25
.LBB84_79:                              ;   in Loop: Header=BB84_5 Depth=1
	s_and_not1_saveexec_b32 s29, s2
	s_cbranch_execz .LBB84_81
; %bb.80:                               ;   in Loop: Header=BB84_5 Depth=1
	v_div_scale_f64 v[18:19], null, v[22:23], v[22:23], s[8:9]
	v_div_scale_f64 v[20:21], null, v[24:25], v[24:25], s[10:11]
	v_div_scale_f64 v[54:55], vcc_lo, s[8:9], v[22:23], s[8:9]
	s_delay_alu instid0(VALU_DEP_3) | instskip(NEXT) | instid1(VALU_DEP_2)
	v_rcp_f64_e32 v[46:47], v[18:19]
	v_rcp_f64_e32 v[48:49], v[20:21]
	s_delay_alu instid0(TRANS32_DEP_2) | instskip(NEXT) | instid1(TRANS32_DEP_1)
	v_fma_f64 v[50:51], -v[18:19], v[46:47], 1.0
	v_fma_f64 v[52:53], -v[20:21], v[48:49], 1.0
	s_delay_alu instid0(VALU_DEP_2) | instskip(NEXT) | instid1(VALU_DEP_2)
	v_fmac_f64_e32 v[46:47], v[46:47], v[50:51]
	v_fmac_f64_e32 v[48:49], v[48:49], v[52:53]
	s_delay_alu instid0(VALU_DEP_2) | instskip(NEXT) | instid1(VALU_DEP_2)
	v_fma_f64 v[50:51], -v[18:19], v[46:47], 1.0
	v_fma_f64 v[52:53], -v[20:21], v[48:49], 1.0
	s_delay_alu instid0(VALU_DEP_2) | instskip(SKIP_1) | instid1(VALU_DEP_3)
	v_fmac_f64_e32 v[46:47], v[46:47], v[50:51]
	v_div_scale_f64 v[50:51], s2, s[10:11], v[24:25], s[10:11]
	v_fmac_f64_e32 v[48:49], v[48:49], v[52:53]
	s_delay_alu instid0(VALU_DEP_3) | instskip(NEXT) | instid1(VALU_DEP_2)
	v_mul_f64_e32 v[52:53], v[54:55], v[46:47]
	v_mul_f64_e32 v[56:57], v[50:51], v[48:49]
	s_delay_alu instid0(VALU_DEP_2) | instskip(NEXT) | instid1(VALU_DEP_2)
	v_fma_f64 v[18:19], -v[18:19], v[52:53], v[54:55]
	v_fma_f64 v[20:21], -v[20:21], v[56:57], v[50:51]
	s_delay_alu instid0(VALU_DEP_2) | instskip(SKIP_1) | instid1(VALU_DEP_2)
	v_div_fmas_f64 v[18:19], v[18:19], v[46:47], v[52:53]
	s_mov_b32 vcc_lo, s2
	v_div_fmas_f64 v[20:21], v[20:21], v[48:49], v[56:57]
	s_delay_alu instid0(VALU_DEP_2) | instskip(NEXT) | instid1(VALU_DEP_2)
	v_div_fixup_f64 v[48:49], v[18:19], v[22:23], s[8:9]
	v_div_fixup_f64 v[46:47], v[20:21], v[24:25], s[10:11]
.LBB84_81:                              ;   in Loop: Header=BB84_5 Depth=1
	s_or_b32 exec_lo, exec_lo, s29
                                        ; implicit-def: $vgpr20_vgpr21
.LBB84_82:                              ;   in Loop: Header=BB84_5 Depth=1
	s_and_not1_saveexec_b32 s2, s3
	s_cbranch_execz .LBB84_3
; %bb.83:                               ;   in Loop: Header=BB84_5 Depth=1
	v_div_scale_f64 v[22:23], null, v[20:21], v[20:21], v[18:19]
	v_div_scale_f64 v[48:49], vcc_lo, v[18:19], v[20:21], v[18:19]
	s_delay_alu instid0(VALU_DEP_2) | instskip(SKIP_1) | instid1(TRANS32_DEP_1)
	v_rcp_f64_e32 v[24:25], v[22:23]
	v_nop
	v_fma_f64 v[46:47], -v[22:23], v[24:25], 1.0
	s_delay_alu instid0(VALU_DEP_1) | instskip(NEXT) | instid1(VALU_DEP_1)
	v_fmac_f64_e32 v[24:25], v[24:25], v[46:47]
	v_fma_f64 v[46:47], -v[22:23], v[24:25], 1.0
	s_delay_alu instid0(VALU_DEP_1) | instskip(NEXT) | instid1(VALU_DEP_1)
	v_fmac_f64_e32 v[24:25], v[24:25], v[46:47]
	v_mul_f64_e32 v[46:47], v[48:49], v[24:25]
	s_delay_alu instid0(VALU_DEP_1) | instskip(NEXT) | instid1(VALU_DEP_1)
	v_fma_f64 v[22:23], -v[22:23], v[46:47], v[48:49]
	v_div_fmas_f64 v[22:23], v[22:23], v[24:25], v[46:47]
	s_delay_alu instid0(VALU_DEP_1) | instskip(NEXT) | instid1(VALU_DEP_1)
	v_div_fixup_f64 v[22:23], v[22:23], v[20:21], v[18:19]
	v_fmac_f64_e32 v[20:21], v[18:19], v[22:23]
	s_delay_alu instid0(VALU_DEP_1) | instskip(SKIP_1) | instid1(VALU_DEP_2)
	v_div_scale_f64 v[18:19], null, v[20:21], v[20:21], 1.0
	v_div_scale_f64 v[48:49], vcc_lo, 1.0, v[20:21], 1.0
	v_rcp_f64_e32 v[24:25], v[18:19]
	v_nop
	s_delay_alu instid0(TRANS32_DEP_1) | instskip(NEXT) | instid1(VALU_DEP_1)
	v_fma_f64 v[46:47], -v[18:19], v[24:25], 1.0
	v_fmac_f64_e32 v[24:25], v[24:25], v[46:47]
	s_delay_alu instid0(VALU_DEP_1) | instskip(NEXT) | instid1(VALU_DEP_1)
	v_fma_f64 v[46:47], -v[18:19], v[24:25], 1.0
	v_fmac_f64_e32 v[24:25], v[24:25], v[46:47]
	s_delay_alu instid0(VALU_DEP_1) | instskip(NEXT) | instid1(VALU_DEP_1)
	v_mul_f64_e32 v[46:47], v[48:49], v[24:25]
	v_fma_f64 v[18:19], -v[18:19], v[46:47], v[48:49]
	s_delay_alu instid0(VALU_DEP_1) | instskip(SKIP_1) | instid1(VALU_DEP_2)
	v_div_fmas_f64 v[18:19], v[18:19], v[24:25], v[46:47]
	v_fma_f64 v[24:25], s[8:9], v[22:23], s[10:11]
	v_div_fixup_f64 v[18:19], v[18:19], v[20:21], 1.0
	v_fma_f64 v[20:21], s[10:11], v[22:23], -s[8:9]
	s_delay_alu instid0(VALU_DEP_2) | instskip(NEXT) | instid1(VALU_DEP_2)
	v_mul_f64_e32 v[48:49], v[24:25], v[18:19]
	v_mul_f64_e32 v[46:47], v[20:21], v[18:19]
	s_branch .LBB84_3
.LBB84_84:
	s_or_b32 exec_lo, exec_lo, s26
	s_mov_b32 s2, 0
.LBB84_85:
	s_delay_alu instid0(SALU_CYCLE_1)
	s_and_not1_b32 vcc_lo, exec_lo, s2
	s_cbranch_vccnz .LBB84_185
; %bb.86:
	v_cmp_lt_i64_e64 s2, s[16:17], 1
	s_and_b32 vcc_lo, exec_lo, s2
	s_cbranch_vccnz .LBB84_185
; %bb.87:
	s_wait_kmcnt 0x0
	v_cmp_neq_f64_e64 s23, s[4:5], 1.0
	v_cmp_neq_f64_e64 s24, s[6:7], 0
	v_min_i64 v[34:35], 0x10000, s[16:17]
	v_min_u64 v[36:37], 0x10000, s[16:17]
	s_load_b32 s0, s[0:1], 0xc6c
	v_mov_b32_e32 v1, 0
	s_mov_b32 s3, 0
	s_mov_b64 s[16:17], 0
	s_mov_b32 s19, s3
	s_mov_b32 s21, s3
	s_wait_kmcnt 0x0
	s_and_b32 s2, s0, 0xffff
	s_delay_alu instid0(SALU_CYCLE_1)
	s_lshl_b32 s18, s2, 1
	s_mul_i32 s20, s2, 3
	s_lshl_b32 s22, s2, 2
	s_or_b32 s24, s23, s24
	s_mov_b32 s23, s3
	s_branch .LBB84_89
.LBB84_88:                              ;   in Loop: Header=BB84_89 Depth=1
	s_wait_xcnt 0x0
	s_or_b32 exec_lo, exec_lo, s0
	s_add_nc_u64 s[16:17], s[16:17], s[22:23]
	s_delay_alu instid0(SALU_CYCLE_1)
	v_cmp_ge_i64_e32 vcc_lo, s[16:17], v[34:35]
	s_cbranch_vccnz .LBB84_185
.LBB84_89:                              ; =>This Inner Loop Header: Depth=1
	v_add_nc_u64_e32 v[38:39], s[16:17], v[0:1]
	v_mov_b64_e32 v[28:29], 0
	v_mov_b64_e32 v[32:33], 0
	v_mov_b64_e32 v[30:31], 0
	v_mov_b64_e32 v[4:5], 0
	v_mov_b64_e32 v[2:3], 0
	s_mov_b32 s0, exec_lo
	v_cmpx_lt_i64_e64 v[38:39], v[34:35]
	s_cbranch_execz .LBB84_91
; %bb.90:                               ;   in Loop: Header=BB84_89 Depth=1
	v_lshlrev_b64_e32 v[2:3], 4, v[38:39]
	s_delay_alu instid0(VALU_DEP_1)
	v_add_nc_u64_e32 v[6:7], s[14:15], v[2:3]
	v_add_nc_u64_e32 v[8:9], s[12:13], v[2:3]
	global_load_b128 v[2:5], v[6:7], off
	global_load_b128 v[30:33], v[8:9], off
.LBB84_91:                              ;   in Loop: Header=BB84_89 Depth=1
	s_wait_xcnt 0x0
	s_or_b32 exec_lo, exec_lo, s0
	v_add_nc_u64_e32 v[40:41], s[2:3], v[38:39]
	v_mov_b64_e32 v[26:27], 0
	v_mov_b64_e32 v[8:9], 0
	;; [unrolled: 1-line block ×3, first 2 shown]
	s_mov_b32 s0, exec_lo
	s_delay_alu instid0(VALU_DEP_4)
	v_cmpx_lt_i64_e64 v[40:41], v[34:35]
	s_cbranch_execz .LBB84_93
; %bb.92:                               ;   in Loop: Header=BB84_89 Depth=1
	v_lshlrev_b64_e32 v[6:7], 4, v[40:41]
	s_delay_alu instid0(VALU_DEP_1)
	v_add_nc_u64_e32 v[10:11], s[14:15], v[6:7]
	v_add_nc_u64_e32 v[12:13], s[12:13], v[6:7]
	global_load_b128 v[6:9], v[10:11], off
	global_load_b128 v[26:29], v[12:13], off
.LBB84_93:                              ;   in Loop: Header=BB84_89 Depth=1
	s_wait_xcnt 0x0
	s_or_b32 exec_lo, exec_lo, s0
	v_add_nc_u64_e32 v[42:43], s[18:19], v[38:39]
	v_mov_b64_e32 v[20:21], 0
	v_mov_b64_e32 v[24:25], 0
	v_mov_b64_e32 v[22:23], 0
	v_mov_b64_e32 v[12:13], 0
	v_mov_b64_e32 v[10:11], 0
	s_mov_b32 s0, exec_lo
	v_cmpx_lt_i64_e64 v[42:43], v[34:35]
	s_cbranch_execz .LBB84_95
; %bb.94:                               ;   in Loop: Header=BB84_89 Depth=1
	v_lshlrev_b64_e32 v[10:11], 4, v[42:43]
	s_delay_alu instid0(VALU_DEP_1)
	v_add_nc_u64_e32 v[14:15], s[14:15], v[10:11]
	v_add_nc_u64_e32 v[16:17], s[12:13], v[10:11]
	global_load_b128 v[10:13], v[14:15], off
	global_load_b128 v[22:25], v[16:17], off
.LBB84_95:                              ;   in Loop: Header=BB84_89 Depth=1
	s_wait_xcnt 0x0
	s_or_b32 exec_lo, exec_lo, s0
	v_add_nc_u64_e32 v[44:45], s[20:21], v[38:39]
	v_mov_b64_e32 v[18:19], 0
	v_mov_b64_e32 v[16:17], 0
	;; [unrolled: 1-line block ×3, first 2 shown]
	s_mov_b32 s0, exec_lo
	s_delay_alu instid0(VALU_DEP_4)
	v_cmpx_lt_i64_e64 v[44:45], v[34:35]
	s_cbranch_execz .LBB84_97
; %bb.96:                               ;   in Loop: Header=BB84_89 Depth=1
	v_lshlrev_b64_e32 v[14:15], 4, v[44:45]
	s_delay_alu instid0(VALU_DEP_1)
	v_add_nc_u64_e32 v[46:47], s[14:15], v[14:15]
	v_add_nc_u64_e32 v[48:49], s[12:13], v[14:15]
	global_load_b128 v[14:17], v[46:47], off
	global_load_b128 v[18:21], v[48:49], off
.LBB84_97:                              ;   in Loop: Header=BB84_89 Depth=1
	s_wait_xcnt 0x0
	s_or_b32 exec_lo, exec_lo, s0
	s_wait_loadcnt 0x0
	v_cmp_gt_f64_e32 vcc_lo, 0, v[30:31]
	v_xor_b32_e32 v46, 0x80000000, v31
	v_mov_b32_e32 v50, v30
	v_xor_b32_e32 v47, 0x80000000, v33
	s_mov_b32 s1, -1
                                        ; implicit-def: $vgpr48_vgpr49
	s_delay_alu instid0(VALU_DEP_3) | instskip(SKIP_1) | instid1(VALU_DEP_3)
	v_dual_mov_b32 v52, v32 :: v_dual_cndmask_b32 v51, v31, v46
	v_cmp_gt_f64_e32 vcc_lo, 0, v[32:33]
	v_cndmask_b32_e32 v53, v33, v47, vcc_lo
	s_and_b32 vcc_lo, exec_lo, s24
                                        ; implicit-def: $vgpr46_vgpr47
	s_delay_alu instid0(VALU_DEP_1)
	v_cmp_ge_f64_e64 s0, v[50:51], v[52:53]
	s_cbranch_vccz .LBB84_107
; %bb.98:                               ;   in Loop: Header=BB84_89 Depth=1
                                        ; implicit-def: $vgpr46_vgpr47
                                        ; implicit-def: $vgpr54_vgpr55
	s_and_saveexec_b32 s1, s0
	s_delay_alu instid0(SALU_CYCLE_1)
	s_xor_b32 s25, exec_lo, s1
	s_cbranch_execz .LBB84_104
; %bb.99:                               ;   in Loop: Header=BB84_89 Depth=1
	v_cmp_neq_f64_e32 vcc_lo, 0, v[30:31]
	v_cmp_neq_f64_e64 s1, 0, v[32:33]
                                        ; implicit-def: $vgpr46_vgpr47
                                        ; implicit-def: $vgpr54_vgpr55
	s_or_b32 s1, s1, vcc_lo
	s_delay_alu instid0(SALU_CYCLE_1) | instskip(NEXT) | instid1(SALU_CYCLE_1)
	s_and_saveexec_b32 s26, s1
	s_xor_b32 s1, exec_lo, s26
	s_cbranch_execz .LBB84_101
; %bb.100:                              ;   in Loop: Header=BB84_89 Depth=1
	v_div_scale_f64 v[46:47], null, v[30:31], v[30:31], v[32:33]
	v_div_scale_f64 v[56:57], vcc_lo, v[32:33], v[30:31], v[32:33]
	s_delay_alu instid0(VALU_DEP_2) | instskip(SKIP_1) | instid1(TRANS32_DEP_1)
	v_rcp_f64_e32 v[48:49], v[46:47]
	v_nop
	v_fma_f64 v[54:55], -v[46:47], v[48:49], 1.0
	s_delay_alu instid0(VALU_DEP_1) | instskip(NEXT) | instid1(VALU_DEP_1)
	v_fmac_f64_e32 v[48:49], v[48:49], v[54:55]
	v_fma_f64 v[54:55], -v[46:47], v[48:49], 1.0
	s_delay_alu instid0(VALU_DEP_1) | instskip(NEXT) | instid1(VALU_DEP_1)
	v_fmac_f64_e32 v[48:49], v[48:49], v[54:55]
	v_mul_f64_e32 v[54:55], v[56:57], v[48:49]
	s_delay_alu instid0(VALU_DEP_1) | instskip(NEXT) | instid1(VALU_DEP_1)
	v_fma_f64 v[46:47], -v[46:47], v[54:55], v[56:57]
	v_div_fmas_f64 v[46:47], v[46:47], v[48:49], v[54:55]
	s_delay_alu instid0(VALU_DEP_1) | instskip(NEXT) | instid1(VALU_DEP_1)
	v_div_fixup_f64 v[46:47], v[46:47], v[30:31], v[32:33]
	v_fma_f64 v[48:49], v[32:33], v[46:47], v[30:31]
	s_delay_alu instid0(VALU_DEP_1) | instskip(SKIP_1) | instid1(VALU_DEP_2)
	v_div_scale_f64 v[54:55], null, v[48:49], v[48:49], 1.0
	v_div_scale_f64 v[60:61], vcc_lo, 1.0, v[48:49], 1.0
	v_rcp_f64_e32 v[56:57], v[54:55]
	v_nop
	s_delay_alu instid0(TRANS32_DEP_1) | instskip(NEXT) | instid1(VALU_DEP_1)
	v_fma_f64 v[58:59], -v[54:55], v[56:57], 1.0
	v_fmac_f64_e32 v[56:57], v[56:57], v[58:59]
	s_delay_alu instid0(VALU_DEP_1) | instskip(NEXT) | instid1(VALU_DEP_1)
	v_fma_f64 v[58:59], -v[54:55], v[56:57], 1.0
	v_fmac_f64_e32 v[56:57], v[56:57], v[58:59]
	s_delay_alu instid0(VALU_DEP_1) | instskip(NEXT) | instid1(VALU_DEP_1)
	v_mul_f64_e32 v[58:59], v[60:61], v[56:57]
	v_fma_f64 v[54:55], -v[54:55], v[58:59], v[60:61]
	s_delay_alu instid0(VALU_DEP_1) | instskip(SKIP_2) | instid1(VALU_DEP_3)
	v_div_fmas_f64 v[54:55], v[54:55], v[56:57], v[58:59]
	v_fma_f64 v[56:57], s[10:11], v[46:47], s[8:9]
	v_fma_f64 v[46:47], -s[8:9], v[46:47], s[10:11]
	v_div_fixup_f64 v[48:49], v[54:55], v[48:49], 1.0
	s_delay_alu instid0(VALU_DEP_1) | instskip(NEXT) | instid1(VALU_DEP_3)
	v_mul_f64_e32 v[54:55], v[56:57], v[48:49]
	v_mul_f64_e32 v[46:47], v[46:47], v[48:49]
.LBB84_101:                             ;   in Loop: Header=BB84_89 Depth=1
	s_and_not1_saveexec_b32 s26, s1
	s_cbranch_execz .LBB84_103
; %bb.102:                              ;   in Loop: Header=BB84_89 Depth=1
	v_div_scale_f64 v[46:47], null, v[50:51], v[50:51], s[8:9]
	v_div_scale_f64 v[48:49], null, v[52:53], v[52:53], s[10:11]
	v_div_scale_f64 v[62:63], vcc_lo, s[8:9], v[50:51], s[8:9]
	s_delay_alu instid0(VALU_DEP_3) | instskip(NEXT) | instid1(VALU_DEP_2)
	v_rcp_f64_e32 v[54:55], v[46:47]
	v_rcp_f64_e32 v[56:57], v[48:49]
	s_delay_alu instid0(TRANS32_DEP_2) | instskip(NEXT) | instid1(TRANS32_DEP_1)
	v_fma_f64 v[58:59], -v[46:47], v[54:55], 1.0
	v_fma_f64 v[60:61], -v[48:49], v[56:57], 1.0
	s_delay_alu instid0(VALU_DEP_2) | instskip(NEXT) | instid1(VALU_DEP_2)
	v_fmac_f64_e32 v[54:55], v[54:55], v[58:59]
	v_fmac_f64_e32 v[56:57], v[56:57], v[60:61]
	s_delay_alu instid0(VALU_DEP_2) | instskip(NEXT) | instid1(VALU_DEP_2)
	v_fma_f64 v[58:59], -v[46:47], v[54:55], 1.0
	v_fma_f64 v[60:61], -v[48:49], v[56:57], 1.0
	s_delay_alu instid0(VALU_DEP_2) | instskip(SKIP_1) | instid1(VALU_DEP_3)
	v_fmac_f64_e32 v[54:55], v[54:55], v[58:59]
	v_div_scale_f64 v[58:59], s1, s[10:11], v[52:53], s[10:11]
	v_fmac_f64_e32 v[56:57], v[56:57], v[60:61]
	s_delay_alu instid0(VALU_DEP_3) | instskip(NEXT) | instid1(VALU_DEP_2)
	v_mul_f64_e32 v[60:61], v[62:63], v[54:55]
	v_mul_f64_e32 v[64:65], v[58:59], v[56:57]
	s_delay_alu instid0(VALU_DEP_2) | instskip(NEXT) | instid1(VALU_DEP_2)
	v_fma_f64 v[46:47], -v[46:47], v[60:61], v[62:63]
	v_fma_f64 v[48:49], -v[48:49], v[64:65], v[58:59]
	s_delay_alu instid0(VALU_DEP_2) | instskip(SKIP_1) | instid1(VALU_DEP_2)
	v_div_fmas_f64 v[46:47], v[46:47], v[54:55], v[60:61]
	s_mov_b32 vcc_lo, s1
	v_div_fmas_f64 v[48:49], v[48:49], v[56:57], v[64:65]
	s_delay_alu instid0(VALU_DEP_2) | instskip(NEXT) | instid1(VALU_DEP_2)
	v_div_fixup_f64 v[54:55], v[46:47], v[50:51], s[8:9]
	v_div_fixup_f64 v[46:47], v[48:49], v[52:53], s[10:11]
.LBB84_103:                             ;   in Loop: Header=BB84_89 Depth=1
	s_or_b32 exec_lo, exec_lo, s26
.LBB84_104:                             ;   in Loop: Header=BB84_89 Depth=1
	s_and_not1_saveexec_b32 s1, s25
	s_cbranch_execz .LBB84_106
; %bb.105:                              ;   in Loop: Header=BB84_89 Depth=1
	v_div_scale_f64 v[46:47], null, v[32:33], v[32:33], v[30:31]
	v_div_scale_f64 v[56:57], vcc_lo, v[30:31], v[32:33], v[30:31]
	s_delay_alu instid0(VALU_DEP_2) | instskip(SKIP_1) | instid1(TRANS32_DEP_1)
	v_rcp_f64_e32 v[48:49], v[46:47]
	v_nop
	v_fma_f64 v[54:55], -v[46:47], v[48:49], 1.0
	s_delay_alu instid0(VALU_DEP_1) | instskip(NEXT) | instid1(VALU_DEP_1)
	v_fmac_f64_e32 v[48:49], v[48:49], v[54:55]
	v_fma_f64 v[54:55], -v[46:47], v[48:49], 1.0
	s_delay_alu instid0(VALU_DEP_1) | instskip(NEXT) | instid1(VALU_DEP_1)
	v_fmac_f64_e32 v[48:49], v[48:49], v[54:55]
	v_mul_f64_e32 v[54:55], v[56:57], v[48:49]
	s_delay_alu instid0(VALU_DEP_1) | instskip(NEXT) | instid1(VALU_DEP_1)
	v_fma_f64 v[46:47], -v[46:47], v[54:55], v[56:57]
	v_div_fmas_f64 v[46:47], v[46:47], v[48:49], v[54:55]
	s_delay_alu instid0(VALU_DEP_1) | instskip(NEXT) | instid1(VALU_DEP_1)
	v_div_fixup_f64 v[46:47], v[46:47], v[32:33], v[30:31]
	v_fma_f64 v[48:49], v[30:31], v[46:47], v[32:33]
	s_delay_alu instid0(VALU_DEP_1) | instskip(SKIP_1) | instid1(VALU_DEP_2)
	v_div_scale_f64 v[54:55], null, v[48:49], v[48:49], 1.0
	v_div_scale_f64 v[60:61], vcc_lo, 1.0, v[48:49], 1.0
	v_rcp_f64_e32 v[56:57], v[54:55]
	v_nop
	s_delay_alu instid0(TRANS32_DEP_1) | instskip(NEXT) | instid1(VALU_DEP_1)
	v_fma_f64 v[58:59], -v[54:55], v[56:57], 1.0
	v_fmac_f64_e32 v[56:57], v[56:57], v[58:59]
	s_delay_alu instid0(VALU_DEP_1) | instskip(NEXT) | instid1(VALU_DEP_1)
	v_fma_f64 v[58:59], -v[54:55], v[56:57], 1.0
	v_fmac_f64_e32 v[56:57], v[56:57], v[58:59]
	s_delay_alu instid0(VALU_DEP_1) | instskip(NEXT) | instid1(VALU_DEP_1)
	v_mul_f64_e32 v[58:59], v[60:61], v[56:57]
	v_fma_f64 v[54:55], -v[54:55], v[58:59], v[60:61]
	s_delay_alu instid0(VALU_DEP_1) | instskip(SKIP_2) | instid1(VALU_DEP_3)
	v_div_fmas_f64 v[54:55], v[54:55], v[56:57], v[58:59]
	v_fma_f64 v[56:57], s[8:9], v[46:47], s[10:11]
	v_fma_f64 v[46:47], s[10:11], v[46:47], -s[8:9]
	v_div_fixup_f64 v[48:49], v[54:55], v[48:49], 1.0
	s_delay_alu instid0(VALU_DEP_1) | instskip(NEXT) | instid1(VALU_DEP_3)
	v_mul_f64_e32 v[54:55], v[56:57], v[48:49]
	v_mul_f64_e32 v[46:47], v[46:47], v[48:49]
.LBB84_106:                             ;   in Loop: Header=BB84_89 Depth=1
	s_or_b32 exec_lo, exec_lo, s1
	s_delay_alu instid0(VALU_DEP_1) | instskip(SKIP_2) | instid1(VALU_DEP_2)
	v_mul_f64_e32 v[48:49], s[6:7], v[46:47]
	v_mul_f64_e32 v[46:47], s[4:5], v[46:47]
	s_mov_b32 s1, 0
	v_fma_f64 v[48:49], s[4:5], v[54:55], -v[48:49]
	s_delay_alu instid0(VALU_DEP_2)
	v_fmac_f64_e32 v[46:47], s[6:7], v[54:55]
.LBB84_107:                             ;   in Loop: Header=BB84_89 Depth=1
	s_and_b32 vcc_lo, exec_lo, s1
	s_cbranch_vccz .LBB84_117
; %bb.108:                              ;   in Loop: Header=BB84_89 Depth=1
                                        ; implicit-def: $vgpr46_vgpr47
                                        ; implicit-def: $vgpr48_vgpr49
	s_and_saveexec_b32 s1, s0
	s_delay_alu instid0(SALU_CYCLE_1)
	s_xor_b32 s1, exec_lo, s1
	s_cbranch_execz .LBB84_114
; %bb.109:                              ;   in Loop: Header=BB84_89 Depth=1
	v_cmp_neq_f64_e32 vcc_lo, 0, v[30:31]
	v_cmp_neq_f64_e64 s0, 0, v[32:33]
                                        ; implicit-def: $vgpr46_vgpr47
                                        ; implicit-def: $vgpr48_vgpr49
	s_or_b32 s0, s0, vcc_lo
	s_delay_alu instid0(SALU_CYCLE_1) | instskip(NEXT) | instid1(SALU_CYCLE_1)
	s_and_saveexec_b32 s25, s0
	s_xor_b32 s0, exec_lo, s25
	s_cbranch_execz .LBB84_111
; %bb.110:                              ;   in Loop: Header=BB84_89 Depth=1
	v_div_scale_f64 v[46:47], null, v[30:31], v[30:31], v[32:33]
	v_div_scale_f64 v[52:53], vcc_lo, v[32:33], v[30:31], v[32:33]
	s_delay_alu instid0(VALU_DEP_2) | instskip(SKIP_1) | instid1(TRANS32_DEP_1)
	v_rcp_f64_e32 v[48:49], v[46:47]
	v_nop
	v_fma_f64 v[50:51], -v[46:47], v[48:49], 1.0
	s_delay_alu instid0(VALU_DEP_1) | instskip(NEXT) | instid1(VALU_DEP_1)
	v_fmac_f64_e32 v[48:49], v[48:49], v[50:51]
	v_fma_f64 v[50:51], -v[46:47], v[48:49], 1.0
	s_delay_alu instid0(VALU_DEP_1) | instskip(NEXT) | instid1(VALU_DEP_1)
	v_fmac_f64_e32 v[48:49], v[48:49], v[50:51]
	v_mul_f64_e32 v[50:51], v[52:53], v[48:49]
	s_delay_alu instid0(VALU_DEP_1) | instskip(NEXT) | instid1(VALU_DEP_1)
	v_fma_f64 v[46:47], -v[46:47], v[50:51], v[52:53]
	v_div_fmas_f64 v[46:47], v[46:47], v[48:49], v[50:51]
	s_delay_alu instid0(VALU_DEP_1) | instskip(NEXT) | instid1(VALU_DEP_1)
	v_div_fixup_f64 v[46:47], v[46:47], v[30:31], v[32:33]
	v_fmac_f64_e32 v[30:31], v[32:33], v[46:47]
	s_delay_alu instid0(VALU_DEP_1) | instskip(SKIP_1) | instid1(VALU_DEP_2)
	v_div_scale_f64 v[32:33], null, v[30:31], v[30:31], 1.0
	v_div_scale_f64 v[52:53], vcc_lo, 1.0, v[30:31], 1.0
	v_rcp_f64_e32 v[48:49], v[32:33]
	v_nop
	s_delay_alu instid0(TRANS32_DEP_1) | instskip(NEXT) | instid1(VALU_DEP_1)
	v_fma_f64 v[50:51], -v[32:33], v[48:49], 1.0
	v_fmac_f64_e32 v[48:49], v[48:49], v[50:51]
	s_delay_alu instid0(VALU_DEP_1) | instskip(NEXT) | instid1(VALU_DEP_1)
	v_fma_f64 v[50:51], -v[32:33], v[48:49], 1.0
	v_fmac_f64_e32 v[48:49], v[48:49], v[50:51]
	s_delay_alu instid0(VALU_DEP_1) | instskip(NEXT) | instid1(VALU_DEP_1)
	v_mul_f64_e32 v[50:51], v[52:53], v[48:49]
	v_fma_f64 v[32:33], -v[32:33], v[50:51], v[52:53]
                                        ; implicit-def: $vgpr52_vgpr53
	s_delay_alu instid0(VALU_DEP_1) | instskip(SKIP_1) | instid1(VALU_DEP_2)
	v_div_fmas_f64 v[32:33], v[32:33], v[48:49], v[50:51]
	v_fma_f64 v[48:49], s[10:11], v[46:47], s[8:9]
                                        ; implicit-def: $vgpr50_vgpr51
	v_div_fixup_f64 v[30:31], v[32:33], v[30:31], 1.0
	v_fma_f64 v[32:33], -s[8:9], v[46:47], s[10:11]
	s_delay_alu instid0(VALU_DEP_2) | instskip(NEXT) | instid1(VALU_DEP_2)
	v_mul_f64_e32 v[48:49], v[48:49], v[30:31]
	v_mul_f64_e32 v[46:47], v[32:33], v[30:31]
.LBB84_111:                             ;   in Loop: Header=BB84_89 Depth=1
	s_and_not1_saveexec_b32 s25, s0
	s_cbranch_execz .LBB84_113
; %bb.112:                              ;   in Loop: Header=BB84_89 Depth=1
	v_div_scale_f64 v[30:31], null, v[50:51], v[50:51], s[8:9]
	v_div_scale_f64 v[32:33], null, v[52:53], v[52:53], s[10:11]
	v_div_scale_f64 v[58:59], vcc_lo, s[8:9], v[50:51], s[8:9]
	s_delay_alu instid0(VALU_DEP_3) | instskip(NEXT) | instid1(VALU_DEP_2)
	v_rcp_f64_e32 v[46:47], v[30:31]
	v_rcp_f64_e32 v[48:49], v[32:33]
	s_delay_alu instid0(TRANS32_DEP_2) | instskip(NEXT) | instid1(TRANS32_DEP_1)
	v_fma_f64 v[54:55], -v[30:31], v[46:47], 1.0
	v_fma_f64 v[56:57], -v[32:33], v[48:49], 1.0
	s_delay_alu instid0(VALU_DEP_2) | instskip(NEXT) | instid1(VALU_DEP_2)
	v_fmac_f64_e32 v[46:47], v[46:47], v[54:55]
	v_fmac_f64_e32 v[48:49], v[48:49], v[56:57]
	s_delay_alu instid0(VALU_DEP_2) | instskip(NEXT) | instid1(VALU_DEP_2)
	v_fma_f64 v[54:55], -v[30:31], v[46:47], 1.0
	v_fma_f64 v[56:57], -v[32:33], v[48:49], 1.0
	s_delay_alu instid0(VALU_DEP_2) | instskip(SKIP_1) | instid1(VALU_DEP_3)
	v_fmac_f64_e32 v[46:47], v[46:47], v[54:55]
	v_div_scale_f64 v[54:55], s0, s[10:11], v[52:53], s[10:11]
	v_fmac_f64_e32 v[48:49], v[48:49], v[56:57]
	s_delay_alu instid0(VALU_DEP_3) | instskip(NEXT) | instid1(VALU_DEP_2)
	v_mul_f64_e32 v[56:57], v[58:59], v[46:47]
	v_mul_f64_e32 v[60:61], v[54:55], v[48:49]
	s_delay_alu instid0(VALU_DEP_2) | instskip(NEXT) | instid1(VALU_DEP_2)
	v_fma_f64 v[30:31], -v[30:31], v[56:57], v[58:59]
	v_fma_f64 v[32:33], -v[32:33], v[60:61], v[54:55]
	s_delay_alu instid0(VALU_DEP_2) | instskip(SKIP_1) | instid1(VALU_DEP_2)
	v_div_fmas_f64 v[30:31], v[30:31], v[46:47], v[56:57]
	s_mov_b32 vcc_lo, s0
	v_div_fmas_f64 v[32:33], v[32:33], v[48:49], v[60:61]
	s_delay_alu instid0(VALU_DEP_2) | instskip(NEXT) | instid1(VALU_DEP_2)
	v_div_fixup_f64 v[48:49], v[30:31], v[50:51], s[8:9]
	v_div_fixup_f64 v[46:47], v[32:33], v[52:53], s[10:11]
.LBB84_113:                             ;   in Loop: Header=BB84_89 Depth=1
	s_or_b32 exec_lo, exec_lo, s25
                                        ; implicit-def: $vgpr32_vgpr33
.LBB84_114:                             ;   in Loop: Header=BB84_89 Depth=1
	s_and_not1_saveexec_b32 s0, s1
	s_cbranch_execz .LBB84_116
; %bb.115:                              ;   in Loop: Header=BB84_89 Depth=1
	v_div_scale_f64 v[46:47], null, v[32:33], v[32:33], v[30:31]
	v_div_scale_f64 v[52:53], vcc_lo, v[30:31], v[32:33], v[30:31]
	s_delay_alu instid0(VALU_DEP_2) | instskip(SKIP_1) | instid1(TRANS32_DEP_1)
	v_rcp_f64_e32 v[48:49], v[46:47]
	v_nop
	v_fma_f64 v[50:51], -v[46:47], v[48:49], 1.0
	s_delay_alu instid0(VALU_DEP_1) | instskip(NEXT) | instid1(VALU_DEP_1)
	v_fmac_f64_e32 v[48:49], v[48:49], v[50:51]
	v_fma_f64 v[50:51], -v[46:47], v[48:49], 1.0
	s_delay_alu instid0(VALU_DEP_1) | instskip(NEXT) | instid1(VALU_DEP_1)
	v_fmac_f64_e32 v[48:49], v[48:49], v[50:51]
	v_mul_f64_e32 v[50:51], v[52:53], v[48:49]
	s_delay_alu instid0(VALU_DEP_1) | instskip(NEXT) | instid1(VALU_DEP_1)
	v_fma_f64 v[46:47], -v[46:47], v[50:51], v[52:53]
	v_div_fmas_f64 v[46:47], v[46:47], v[48:49], v[50:51]
	s_delay_alu instid0(VALU_DEP_1) | instskip(NEXT) | instid1(VALU_DEP_1)
	v_div_fixup_f64 v[46:47], v[46:47], v[32:33], v[30:31]
	v_fmac_f64_e32 v[32:33], v[30:31], v[46:47]
	s_delay_alu instid0(VALU_DEP_1) | instskip(SKIP_1) | instid1(VALU_DEP_2)
	v_div_scale_f64 v[30:31], null, v[32:33], v[32:33], 1.0
	v_div_scale_f64 v[52:53], vcc_lo, 1.0, v[32:33], 1.0
	v_rcp_f64_e32 v[48:49], v[30:31]
	v_nop
	s_delay_alu instid0(TRANS32_DEP_1) | instskip(NEXT) | instid1(VALU_DEP_1)
	v_fma_f64 v[50:51], -v[30:31], v[48:49], 1.0
	v_fmac_f64_e32 v[48:49], v[48:49], v[50:51]
	s_delay_alu instid0(VALU_DEP_1) | instskip(NEXT) | instid1(VALU_DEP_1)
	v_fma_f64 v[50:51], -v[30:31], v[48:49], 1.0
	v_fmac_f64_e32 v[48:49], v[48:49], v[50:51]
	s_delay_alu instid0(VALU_DEP_1) | instskip(NEXT) | instid1(VALU_DEP_1)
	v_mul_f64_e32 v[50:51], v[52:53], v[48:49]
	v_fma_f64 v[30:31], -v[30:31], v[50:51], v[52:53]
	s_delay_alu instid0(VALU_DEP_1) | instskip(SKIP_1) | instid1(VALU_DEP_2)
	v_div_fmas_f64 v[30:31], v[30:31], v[48:49], v[50:51]
	v_fma_f64 v[48:49], s[8:9], v[46:47], s[10:11]
	v_div_fixup_f64 v[30:31], v[30:31], v[32:33], 1.0
	v_fma_f64 v[32:33], s[10:11], v[46:47], -s[8:9]
	s_delay_alu instid0(VALU_DEP_2) | instskip(NEXT) | instid1(VALU_DEP_2)
	v_mul_f64_e32 v[48:49], v[48:49], v[30:31]
	v_mul_f64_e32 v[46:47], v[32:33], v[30:31]
.LBB84_116:                             ;   in Loop: Header=BB84_89 Depth=1
	s_or_b32 exec_lo, exec_lo, s0
.LBB84_117:                             ;   in Loop: Header=BB84_89 Depth=1
	v_cmp_gt_f64_e32 vcc_lo, 0, v[26:27]
	v_xor_b32_e32 v30, 0x80000000, v27
	v_mov_b32_e32 v50, v26
	v_xor_b32_e32 v31, 0x80000000, v29
	s_mov_b32 s1, -1
                                        ; implicit-def: $vgpr32_vgpr33
	s_delay_alu instid0(VALU_DEP_3) | instskip(SKIP_1) | instid1(VALU_DEP_3)
	v_dual_mov_b32 v52, v28 :: v_dual_cndmask_b32 v51, v27, v30
	v_cmp_gt_f64_e32 vcc_lo, 0, v[28:29]
	v_cndmask_b32_e32 v53, v29, v31, vcc_lo
	s_and_not1_b32 vcc_lo, exec_lo, s24
                                        ; implicit-def: $vgpr30_vgpr31
	s_delay_alu instid0(VALU_DEP_1)
	v_cmp_ge_f64_e64 s0, v[50:51], v[52:53]
	s_cbranch_vccnz .LBB84_127
; %bb.118:                              ;   in Loop: Header=BB84_89 Depth=1
                                        ; implicit-def: $vgpr30_vgpr31
                                        ; implicit-def: $vgpr54_vgpr55
	s_and_saveexec_b32 s1, s0
	s_delay_alu instid0(SALU_CYCLE_1)
	s_xor_b32 s25, exec_lo, s1
	s_cbranch_execz .LBB84_124
; %bb.119:                              ;   in Loop: Header=BB84_89 Depth=1
	v_cmp_neq_f64_e32 vcc_lo, 0, v[26:27]
	v_cmp_neq_f64_e64 s1, 0, v[28:29]
                                        ; implicit-def: $vgpr30_vgpr31
                                        ; implicit-def: $vgpr54_vgpr55
	s_or_b32 s1, s1, vcc_lo
	s_delay_alu instid0(SALU_CYCLE_1) | instskip(NEXT) | instid1(SALU_CYCLE_1)
	s_and_saveexec_b32 s26, s1
	s_xor_b32 s1, exec_lo, s26
	s_cbranch_execz .LBB84_121
; %bb.120:                              ;   in Loop: Header=BB84_89 Depth=1
	v_div_scale_f64 v[30:31], null, v[26:27], v[26:27], v[28:29]
	v_div_scale_f64 v[56:57], vcc_lo, v[28:29], v[26:27], v[28:29]
	s_delay_alu instid0(VALU_DEP_2) | instskip(SKIP_1) | instid1(TRANS32_DEP_1)
	v_rcp_f64_e32 v[32:33], v[30:31]
	v_nop
	v_fma_f64 v[54:55], -v[30:31], v[32:33], 1.0
	s_delay_alu instid0(VALU_DEP_1) | instskip(NEXT) | instid1(VALU_DEP_1)
	v_fmac_f64_e32 v[32:33], v[32:33], v[54:55]
	v_fma_f64 v[54:55], -v[30:31], v[32:33], 1.0
	s_delay_alu instid0(VALU_DEP_1) | instskip(NEXT) | instid1(VALU_DEP_1)
	v_fmac_f64_e32 v[32:33], v[32:33], v[54:55]
	v_mul_f64_e32 v[54:55], v[56:57], v[32:33]
	s_delay_alu instid0(VALU_DEP_1) | instskip(NEXT) | instid1(VALU_DEP_1)
	v_fma_f64 v[30:31], -v[30:31], v[54:55], v[56:57]
	v_div_fmas_f64 v[30:31], v[30:31], v[32:33], v[54:55]
	s_delay_alu instid0(VALU_DEP_1) | instskip(NEXT) | instid1(VALU_DEP_1)
	v_div_fixup_f64 v[30:31], v[30:31], v[26:27], v[28:29]
	v_fma_f64 v[32:33], v[28:29], v[30:31], v[26:27]
	s_delay_alu instid0(VALU_DEP_1) | instskip(SKIP_1) | instid1(VALU_DEP_2)
	v_div_scale_f64 v[54:55], null, v[32:33], v[32:33], 1.0
	v_div_scale_f64 v[60:61], vcc_lo, 1.0, v[32:33], 1.0
	v_rcp_f64_e32 v[56:57], v[54:55]
	v_nop
	s_delay_alu instid0(TRANS32_DEP_1) | instskip(NEXT) | instid1(VALU_DEP_1)
	v_fma_f64 v[58:59], -v[54:55], v[56:57], 1.0
	v_fmac_f64_e32 v[56:57], v[56:57], v[58:59]
	s_delay_alu instid0(VALU_DEP_1) | instskip(NEXT) | instid1(VALU_DEP_1)
	v_fma_f64 v[58:59], -v[54:55], v[56:57], 1.0
	v_fmac_f64_e32 v[56:57], v[56:57], v[58:59]
	s_delay_alu instid0(VALU_DEP_1) | instskip(NEXT) | instid1(VALU_DEP_1)
	v_mul_f64_e32 v[58:59], v[60:61], v[56:57]
	v_fma_f64 v[54:55], -v[54:55], v[58:59], v[60:61]
	s_delay_alu instid0(VALU_DEP_1) | instskip(SKIP_2) | instid1(VALU_DEP_3)
	v_div_fmas_f64 v[54:55], v[54:55], v[56:57], v[58:59]
	v_fma_f64 v[56:57], s[10:11], v[30:31], s[8:9]
	v_fma_f64 v[30:31], -s[8:9], v[30:31], s[10:11]
	v_div_fixup_f64 v[32:33], v[54:55], v[32:33], 1.0
	s_delay_alu instid0(VALU_DEP_1) | instskip(NEXT) | instid1(VALU_DEP_3)
	v_mul_f64_e32 v[54:55], v[56:57], v[32:33]
	v_mul_f64_e32 v[30:31], v[30:31], v[32:33]
.LBB84_121:                             ;   in Loop: Header=BB84_89 Depth=1
	s_and_not1_saveexec_b32 s26, s1
	s_cbranch_execz .LBB84_123
; %bb.122:                              ;   in Loop: Header=BB84_89 Depth=1
	v_div_scale_f64 v[30:31], null, v[50:51], v[50:51], s[8:9]
	v_div_scale_f64 v[32:33], null, v[52:53], v[52:53], s[10:11]
	v_div_scale_f64 v[62:63], vcc_lo, s[8:9], v[50:51], s[8:9]
	s_delay_alu instid0(VALU_DEP_3) | instskip(NEXT) | instid1(VALU_DEP_2)
	v_rcp_f64_e32 v[54:55], v[30:31]
	v_rcp_f64_e32 v[56:57], v[32:33]
	s_delay_alu instid0(TRANS32_DEP_2) | instskip(NEXT) | instid1(TRANS32_DEP_1)
	v_fma_f64 v[58:59], -v[30:31], v[54:55], 1.0
	v_fma_f64 v[60:61], -v[32:33], v[56:57], 1.0
	s_delay_alu instid0(VALU_DEP_2) | instskip(NEXT) | instid1(VALU_DEP_2)
	v_fmac_f64_e32 v[54:55], v[54:55], v[58:59]
	v_fmac_f64_e32 v[56:57], v[56:57], v[60:61]
	s_delay_alu instid0(VALU_DEP_2) | instskip(NEXT) | instid1(VALU_DEP_2)
	v_fma_f64 v[58:59], -v[30:31], v[54:55], 1.0
	v_fma_f64 v[60:61], -v[32:33], v[56:57], 1.0
	s_delay_alu instid0(VALU_DEP_2) | instskip(SKIP_1) | instid1(VALU_DEP_3)
	v_fmac_f64_e32 v[54:55], v[54:55], v[58:59]
	v_div_scale_f64 v[58:59], s1, s[10:11], v[52:53], s[10:11]
	v_fmac_f64_e32 v[56:57], v[56:57], v[60:61]
	s_delay_alu instid0(VALU_DEP_3) | instskip(NEXT) | instid1(VALU_DEP_2)
	v_mul_f64_e32 v[60:61], v[62:63], v[54:55]
	v_mul_f64_e32 v[64:65], v[58:59], v[56:57]
	s_delay_alu instid0(VALU_DEP_2) | instskip(NEXT) | instid1(VALU_DEP_2)
	v_fma_f64 v[30:31], -v[30:31], v[60:61], v[62:63]
	v_fma_f64 v[32:33], -v[32:33], v[64:65], v[58:59]
	s_delay_alu instid0(VALU_DEP_2) | instskip(SKIP_1) | instid1(VALU_DEP_2)
	v_div_fmas_f64 v[30:31], v[30:31], v[54:55], v[60:61]
	s_mov_b32 vcc_lo, s1
	v_div_fmas_f64 v[32:33], v[32:33], v[56:57], v[64:65]
	s_delay_alu instid0(VALU_DEP_2) | instskip(NEXT) | instid1(VALU_DEP_2)
	v_div_fixup_f64 v[54:55], v[30:31], v[50:51], s[8:9]
	v_div_fixup_f64 v[30:31], v[32:33], v[52:53], s[10:11]
.LBB84_123:                             ;   in Loop: Header=BB84_89 Depth=1
	s_or_b32 exec_lo, exec_lo, s26
.LBB84_124:                             ;   in Loop: Header=BB84_89 Depth=1
	s_and_not1_saveexec_b32 s1, s25
	s_cbranch_execz .LBB84_126
; %bb.125:                              ;   in Loop: Header=BB84_89 Depth=1
	v_div_scale_f64 v[30:31], null, v[28:29], v[28:29], v[26:27]
	v_div_scale_f64 v[56:57], vcc_lo, v[26:27], v[28:29], v[26:27]
	s_delay_alu instid0(VALU_DEP_2) | instskip(SKIP_1) | instid1(TRANS32_DEP_1)
	v_rcp_f64_e32 v[32:33], v[30:31]
	v_nop
	v_fma_f64 v[54:55], -v[30:31], v[32:33], 1.0
	s_delay_alu instid0(VALU_DEP_1) | instskip(NEXT) | instid1(VALU_DEP_1)
	v_fmac_f64_e32 v[32:33], v[32:33], v[54:55]
	v_fma_f64 v[54:55], -v[30:31], v[32:33], 1.0
	s_delay_alu instid0(VALU_DEP_1) | instskip(NEXT) | instid1(VALU_DEP_1)
	v_fmac_f64_e32 v[32:33], v[32:33], v[54:55]
	v_mul_f64_e32 v[54:55], v[56:57], v[32:33]
	s_delay_alu instid0(VALU_DEP_1) | instskip(NEXT) | instid1(VALU_DEP_1)
	v_fma_f64 v[30:31], -v[30:31], v[54:55], v[56:57]
	v_div_fmas_f64 v[30:31], v[30:31], v[32:33], v[54:55]
	s_delay_alu instid0(VALU_DEP_1) | instskip(NEXT) | instid1(VALU_DEP_1)
	v_div_fixup_f64 v[30:31], v[30:31], v[28:29], v[26:27]
	v_fma_f64 v[32:33], v[26:27], v[30:31], v[28:29]
	s_delay_alu instid0(VALU_DEP_1) | instskip(SKIP_1) | instid1(VALU_DEP_2)
	v_div_scale_f64 v[54:55], null, v[32:33], v[32:33], 1.0
	v_div_scale_f64 v[60:61], vcc_lo, 1.0, v[32:33], 1.0
	v_rcp_f64_e32 v[56:57], v[54:55]
	v_nop
	s_delay_alu instid0(TRANS32_DEP_1) | instskip(NEXT) | instid1(VALU_DEP_1)
	v_fma_f64 v[58:59], -v[54:55], v[56:57], 1.0
	v_fmac_f64_e32 v[56:57], v[56:57], v[58:59]
	s_delay_alu instid0(VALU_DEP_1) | instskip(NEXT) | instid1(VALU_DEP_1)
	v_fma_f64 v[58:59], -v[54:55], v[56:57], 1.0
	v_fmac_f64_e32 v[56:57], v[56:57], v[58:59]
	s_delay_alu instid0(VALU_DEP_1) | instskip(NEXT) | instid1(VALU_DEP_1)
	v_mul_f64_e32 v[58:59], v[60:61], v[56:57]
	v_fma_f64 v[54:55], -v[54:55], v[58:59], v[60:61]
	s_delay_alu instid0(VALU_DEP_1) | instskip(SKIP_2) | instid1(VALU_DEP_3)
	v_div_fmas_f64 v[54:55], v[54:55], v[56:57], v[58:59]
	v_fma_f64 v[56:57], s[8:9], v[30:31], s[10:11]
	v_fma_f64 v[30:31], s[10:11], v[30:31], -s[8:9]
	v_div_fixup_f64 v[32:33], v[54:55], v[32:33], 1.0
	s_delay_alu instid0(VALU_DEP_1) | instskip(NEXT) | instid1(VALU_DEP_3)
	v_mul_f64_e32 v[54:55], v[56:57], v[32:33]
	v_mul_f64_e32 v[30:31], v[30:31], v[32:33]
.LBB84_126:                             ;   in Loop: Header=BB84_89 Depth=1
	s_or_b32 exec_lo, exec_lo, s1
	s_delay_alu instid0(VALU_DEP_1) | instskip(SKIP_2) | instid1(VALU_DEP_2)
	v_mul_f64_e32 v[32:33], s[6:7], v[30:31]
	v_mul_f64_e32 v[30:31], s[4:5], v[30:31]
	s_mov_b32 s1, 0
	v_fma_f64 v[32:33], s[4:5], v[54:55], -v[32:33]
	s_delay_alu instid0(VALU_DEP_2)
	v_fmac_f64_e32 v[30:31], s[6:7], v[54:55]
.LBB84_127:                             ;   in Loop: Header=BB84_89 Depth=1
	s_and_b32 vcc_lo, exec_lo, s1
	s_cbranch_vccz .LBB84_137
; %bb.128:                              ;   in Loop: Header=BB84_89 Depth=1
                                        ; implicit-def: $vgpr30_vgpr31
                                        ; implicit-def: $vgpr32_vgpr33
	s_and_saveexec_b32 s1, s0
	s_delay_alu instid0(SALU_CYCLE_1)
	s_xor_b32 s1, exec_lo, s1
	s_cbranch_execz .LBB84_134
; %bb.129:                              ;   in Loop: Header=BB84_89 Depth=1
	v_cmp_neq_f64_e32 vcc_lo, 0, v[26:27]
	v_cmp_neq_f64_e64 s0, 0, v[28:29]
                                        ; implicit-def: $vgpr30_vgpr31
                                        ; implicit-def: $vgpr32_vgpr33
	s_or_b32 s0, s0, vcc_lo
	s_delay_alu instid0(SALU_CYCLE_1) | instskip(NEXT) | instid1(SALU_CYCLE_1)
	s_and_saveexec_b32 s25, s0
	s_xor_b32 s0, exec_lo, s25
	s_cbranch_execz .LBB84_131
; %bb.130:                              ;   in Loop: Header=BB84_89 Depth=1
	v_div_scale_f64 v[30:31], null, v[26:27], v[26:27], v[28:29]
	v_div_scale_f64 v[52:53], vcc_lo, v[28:29], v[26:27], v[28:29]
	s_delay_alu instid0(VALU_DEP_2) | instskip(SKIP_1) | instid1(TRANS32_DEP_1)
	v_rcp_f64_e32 v[32:33], v[30:31]
	v_nop
	v_fma_f64 v[50:51], -v[30:31], v[32:33], 1.0
	s_delay_alu instid0(VALU_DEP_1) | instskip(NEXT) | instid1(VALU_DEP_1)
	v_fmac_f64_e32 v[32:33], v[32:33], v[50:51]
	v_fma_f64 v[50:51], -v[30:31], v[32:33], 1.0
	s_delay_alu instid0(VALU_DEP_1) | instskip(NEXT) | instid1(VALU_DEP_1)
	v_fmac_f64_e32 v[32:33], v[32:33], v[50:51]
	v_mul_f64_e32 v[50:51], v[52:53], v[32:33]
	s_delay_alu instid0(VALU_DEP_1) | instskip(NEXT) | instid1(VALU_DEP_1)
	v_fma_f64 v[30:31], -v[30:31], v[50:51], v[52:53]
	v_div_fmas_f64 v[30:31], v[30:31], v[32:33], v[50:51]
	s_delay_alu instid0(VALU_DEP_1) | instskip(NEXT) | instid1(VALU_DEP_1)
	v_div_fixup_f64 v[30:31], v[30:31], v[26:27], v[28:29]
	v_fmac_f64_e32 v[26:27], v[28:29], v[30:31]
	s_delay_alu instid0(VALU_DEP_1) | instskip(SKIP_1) | instid1(VALU_DEP_2)
	v_div_scale_f64 v[28:29], null, v[26:27], v[26:27], 1.0
	v_div_scale_f64 v[52:53], vcc_lo, 1.0, v[26:27], 1.0
	v_rcp_f64_e32 v[32:33], v[28:29]
	v_nop
	s_delay_alu instid0(TRANS32_DEP_1) | instskip(NEXT) | instid1(VALU_DEP_1)
	v_fma_f64 v[50:51], -v[28:29], v[32:33], 1.0
	v_fmac_f64_e32 v[32:33], v[32:33], v[50:51]
	s_delay_alu instid0(VALU_DEP_1) | instskip(NEXT) | instid1(VALU_DEP_1)
	v_fma_f64 v[50:51], -v[28:29], v[32:33], 1.0
	v_fmac_f64_e32 v[32:33], v[32:33], v[50:51]
	s_delay_alu instid0(VALU_DEP_1) | instskip(NEXT) | instid1(VALU_DEP_1)
	v_mul_f64_e32 v[50:51], v[52:53], v[32:33]
	v_fma_f64 v[28:29], -v[28:29], v[50:51], v[52:53]
                                        ; implicit-def: $vgpr52_vgpr53
	s_delay_alu instid0(VALU_DEP_1) | instskip(SKIP_1) | instid1(VALU_DEP_2)
	v_div_fmas_f64 v[28:29], v[28:29], v[32:33], v[50:51]
	v_fma_f64 v[32:33], s[10:11], v[30:31], s[8:9]
                                        ; implicit-def: $vgpr50_vgpr51
	v_div_fixup_f64 v[26:27], v[28:29], v[26:27], 1.0
	v_fma_f64 v[28:29], -s[8:9], v[30:31], s[10:11]
	s_delay_alu instid0(VALU_DEP_2) | instskip(NEXT) | instid1(VALU_DEP_2)
	v_mul_f64_e32 v[32:33], v[32:33], v[26:27]
	v_mul_f64_e32 v[30:31], v[28:29], v[26:27]
.LBB84_131:                             ;   in Loop: Header=BB84_89 Depth=1
	s_and_not1_saveexec_b32 s25, s0
	s_cbranch_execz .LBB84_133
; %bb.132:                              ;   in Loop: Header=BB84_89 Depth=1
	v_div_scale_f64 v[26:27], null, v[50:51], v[50:51], s[8:9]
	v_div_scale_f64 v[28:29], null, v[52:53], v[52:53], s[10:11]
	v_div_scale_f64 v[58:59], vcc_lo, s[8:9], v[50:51], s[8:9]
	s_delay_alu instid0(VALU_DEP_3) | instskip(NEXT) | instid1(VALU_DEP_2)
	v_rcp_f64_e32 v[30:31], v[26:27]
	v_rcp_f64_e32 v[32:33], v[28:29]
	s_delay_alu instid0(TRANS32_DEP_2) | instskip(NEXT) | instid1(TRANS32_DEP_1)
	v_fma_f64 v[54:55], -v[26:27], v[30:31], 1.0
	v_fma_f64 v[56:57], -v[28:29], v[32:33], 1.0
	s_delay_alu instid0(VALU_DEP_2) | instskip(NEXT) | instid1(VALU_DEP_2)
	v_fmac_f64_e32 v[30:31], v[30:31], v[54:55]
	v_fmac_f64_e32 v[32:33], v[32:33], v[56:57]
	s_delay_alu instid0(VALU_DEP_2) | instskip(NEXT) | instid1(VALU_DEP_2)
	v_fma_f64 v[54:55], -v[26:27], v[30:31], 1.0
	v_fma_f64 v[56:57], -v[28:29], v[32:33], 1.0
	s_delay_alu instid0(VALU_DEP_2) | instskip(SKIP_1) | instid1(VALU_DEP_3)
	v_fmac_f64_e32 v[30:31], v[30:31], v[54:55]
	v_div_scale_f64 v[54:55], s0, s[10:11], v[52:53], s[10:11]
	v_fmac_f64_e32 v[32:33], v[32:33], v[56:57]
	s_delay_alu instid0(VALU_DEP_3) | instskip(NEXT) | instid1(VALU_DEP_2)
	v_mul_f64_e32 v[56:57], v[58:59], v[30:31]
	v_mul_f64_e32 v[60:61], v[54:55], v[32:33]
	s_delay_alu instid0(VALU_DEP_2) | instskip(NEXT) | instid1(VALU_DEP_2)
	v_fma_f64 v[26:27], -v[26:27], v[56:57], v[58:59]
	v_fma_f64 v[28:29], -v[28:29], v[60:61], v[54:55]
	s_delay_alu instid0(VALU_DEP_2) | instskip(SKIP_1) | instid1(VALU_DEP_2)
	v_div_fmas_f64 v[26:27], v[26:27], v[30:31], v[56:57]
	s_mov_b32 vcc_lo, s0
	v_div_fmas_f64 v[28:29], v[28:29], v[32:33], v[60:61]
	s_delay_alu instid0(VALU_DEP_2) | instskip(NEXT) | instid1(VALU_DEP_2)
	v_div_fixup_f64 v[32:33], v[26:27], v[50:51], s[8:9]
	v_div_fixup_f64 v[30:31], v[28:29], v[52:53], s[10:11]
.LBB84_133:                             ;   in Loop: Header=BB84_89 Depth=1
	s_or_b32 exec_lo, exec_lo, s25
                                        ; implicit-def: $vgpr28_vgpr29
.LBB84_134:                             ;   in Loop: Header=BB84_89 Depth=1
	s_and_not1_saveexec_b32 s0, s1
	s_cbranch_execz .LBB84_136
; %bb.135:                              ;   in Loop: Header=BB84_89 Depth=1
	v_div_scale_f64 v[30:31], null, v[28:29], v[28:29], v[26:27]
	v_div_scale_f64 v[52:53], vcc_lo, v[26:27], v[28:29], v[26:27]
	s_delay_alu instid0(VALU_DEP_2) | instskip(SKIP_1) | instid1(TRANS32_DEP_1)
	v_rcp_f64_e32 v[32:33], v[30:31]
	v_nop
	v_fma_f64 v[50:51], -v[30:31], v[32:33], 1.0
	s_delay_alu instid0(VALU_DEP_1) | instskip(NEXT) | instid1(VALU_DEP_1)
	v_fmac_f64_e32 v[32:33], v[32:33], v[50:51]
	v_fma_f64 v[50:51], -v[30:31], v[32:33], 1.0
	s_delay_alu instid0(VALU_DEP_1) | instskip(NEXT) | instid1(VALU_DEP_1)
	v_fmac_f64_e32 v[32:33], v[32:33], v[50:51]
	v_mul_f64_e32 v[50:51], v[52:53], v[32:33]
	s_delay_alu instid0(VALU_DEP_1) | instskip(NEXT) | instid1(VALU_DEP_1)
	v_fma_f64 v[30:31], -v[30:31], v[50:51], v[52:53]
	v_div_fmas_f64 v[30:31], v[30:31], v[32:33], v[50:51]
	s_delay_alu instid0(VALU_DEP_1) | instskip(NEXT) | instid1(VALU_DEP_1)
	v_div_fixup_f64 v[30:31], v[30:31], v[28:29], v[26:27]
	v_fmac_f64_e32 v[28:29], v[26:27], v[30:31]
	s_delay_alu instid0(VALU_DEP_1) | instskip(SKIP_1) | instid1(VALU_DEP_2)
	v_div_scale_f64 v[26:27], null, v[28:29], v[28:29], 1.0
	v_div_scale_f64 v[52:53], vcc_lo, 1.0, v[28:29], 1.0
	v_rcp_f64_e32 v[32:33], v[26:27]
	v_nop
	s_delay_alu instid0(TRANS32_DEP_1) | instskip(NEXT) | instid1(VALU_DEP_1)
	v_fma_f64 v[50:51], -v[26:27], v[32:33], 1.0
	v_fmac_f64_e32 v[32:33], v[32:33], v[50:51]
	s_delay_alu instid0(VALU_DEP_1) | instskip(NEXT) | instid1(VALU_DEP_1)
	v_fma_f64 v[50:51], -v[26:27], v[32:33], 1.0
	v_fmac_f64_e32 v[32:33], v[32:33], v[50:51]
	s_delay_alu instid0(VALU_DEP_1) | instskip(NEXT) | instid1(VALU_DEP_1)
	v_mul_f64_e32 v[50:51], v[52:53], v[32:33]
	v_fma_f64 v[26:27], -v[26:27], v[50:51], v[52:53]
	s_delay_alu instid0(VALU_DEP_1) | instskip(SKIP_1) | instid1(VALU_DEP_2)
	v_div_fmas_f64 v[26:27], v[26:27], v[32:33], v[50:51]
	v_fma_f64 v[32:33], s[8:9], v[30:31], s[10:11]
	v_div_fixup_f64 v[26:27], v[26:27], v[28:29], 1.0
	v_fma_f64 v[28:29], s[10:11], v[30:31], -s[8:9]
	s_delay_alu instid0(VALU_DEP_2) | instskip(NEXT) | instid1(VALU_DEP_2)
	v_mul_f64_e32 v[32:33], v[32:33], v[26:27]
	v_mul_f64_e32 v[30:31], v[28:29], v[26:27]
.LBB84_136:                             ;   in Loop: Header=BB84_89 Depth=1
	s_or_b32 exec_lo, exec_lo, s0
.LBB84_137:                             ;   in Loop: Header=BB84_89 Depth=1
	v_cmp_gt_f64_e32 vcc_lo, 0, v[22:23]
	v_xor_b32_e32 v26, 0x80000000, v23
	v_mov_b32_e32 v50, v22
	v_xor_b32_e32 v27, 0x80000000, v25
	s_mov_b32 s1, -1
                                        ; implicit-def: $vgpr28_vgpr29
	s_delay_alu instid0(VALU_DEP_3) | instskip(SKIP_1) | instid1(VALU_DEP_3)
	v_dual_mov_b32 v52, v24 :: v_dual_cndmask_b32 v51, v23, v26
	v_cmp_gt_f64_e32 vcc_lo, 0, v[24:25]
	v_cndmask_b32_e32 v53, v25, v27, vcc_lo
	s_and_not1_b32 vcc_lo, exec_lo, s24
                                        ; implicit-def: $vgpr26_vgpr27
	s_delay_alu instid0(VALU_DEP_1)
	v_cmp_ge_f64_e64 s0, v[50:51], v[52:53]
	s_cbranch_vccnz .LBB84_147
; %bb.138:                              ;   in Loop: Header=BB84_89 Depth=1
                                        ; implicit-def: $vgpr26_vgpr27
                                        ; implicit-def: $vgpr54_vgpr55
	s_and_saveexec_b32 s1, s0
	s_delay_alu instid0(SALU_CYCLE_1)
	s_xor_b32 s25, exec_lo, s1
	s_cbranch_execz .LBB84_144
; %bb.139:                              ;   in Loop: Header=BB84_89 Depth=1
	v_cmp_neq_f64_e32 vcc_lo, 0, v[22:23]
	v_cmp_neq_f64_e64 s1, 0, v[24:25]
                                        ; implicit-def: $vgpr26_vgpr27
                                        ; implicit-def: $vgpr54_vgpr55
	s_or_b32 s1, s1, vcc_lo
	s_delay_alu instid0(SALU_CYCLE_1) | instskip(NEXT) | instid1(SALU_CYCLE_1)
	s_and_saveexec_b32 s26, s1
	s_xor_b32 s1, exec_lo, s26
	s_cbranch_execz .LBB84_141
; %bb.140:                              ;   in Loop: Header=BB84_89 Depth=1
	v_div_scale_f64 v[26:27], null, v[22:23], v[22:23], v[24:25]
	v_div_scale_f64 v[56:57], vcc_lo, v[24:25], v[22:23], v[24:25]
	s_delay_alu instid0(VALU_DEP_2) | instskip(SKIP_1) | instid1(TRANS32_DEP_1)
	v_rcp_f64_e32 v[28:29], v[26:27]
	v_nop
	v_fma_f64 v[54:55], -v[26:27], v[28:29], 1.0
	s_delay_alu instid0(VALU_DEP_1) | instskip(NEXT) | instid1(VALU_DEP_1)
	v_fmac_f64_e32 v[28:29], v[28:29], v[54:55]
	v_fma_f64 v[54:55], -v[26:27], v[28:29], 1.0
	s_delay_alu instid0(VALU_DEP_1) | instskip(NEXT) | instid1(VALU_DEP_1)
	v_fmac_f64_e32 v[28:29], v[28:29], v[54:55]
	v_mul_f64_e32 v[54:55], v[56:57], v[28:29]
	s_delay_alu instid0(VALU_DEP_1) | instskip(NEXT) | instid1(VALU_DEP_1)
	v_fma_f64 v[26:27], -v[26:27], v[54:55], v[56:57]
	v_div_fmas_f64 v[26:27], v[26:27], v[28:29], v[54:55]
	s_delay_alu instid0(VALU_DEP_1) | instskip(NEXT) | instid1(VALU_DEP_1)
	v_div_fixup_f64 v[26:27], v[26:27], v[22:23], v[24:25]
	v_fma_f64 v[28:29], v[24:25], v[26:27], v[22:23]
	s_delay_alu instid0(VALU_DEP_1) | instskip(SKIP_1) | instid1(VALU_DEP_2)
	v_div_scale_f64 v[54:55], null, v[28:29], v[28:29], 1.0
	v_div_scale_f64 v[60:61], vcc_lo, 1.0, v[28:29], 1.0
	v_rcp_f64_e32 v[56:57], v[54:55]
	v_nop
	s_delay_alu instid0(TRANS32_DEP_1) | instskip(NEXT) | instid1(VALU_DEP_1)
	v_fma_f64 v[58:59], -v[54:55], v[56:57], 1.0
	v_fmac_f64_e32 v[56:57], v[56:57], v[58:59]
	s_delay_alu instid0(VALU_DEP_1) | instskip(NEXT) | instid1(VALU_DEP_1)
	v_fma_f64 v[58:59], -v[54:55], v[56:57], 1.0
	v_fmac_f64_e32 v[56:57], v[56:57], v[58:59]
	s_delay_alu instid0(VALU_DEP_1) | instskip(NEXT) | instid1(VALU_DEP_1)
	v_mul_f64_e32 v[58:59], v[60:61], v[56:57]
	v_fma_f64 v[54:55], -v[54:55], v[58:59], v[60:61]
	s_delay_alu instid0(VALU_DEP_1) | instskip(SKIP_2) | instid1(VALU_DEP_3)
	v_div_fmas_f64 v[54:55], v[54:55], v[56:57], v[58:59]
	v_fma_f64 v[56:57], s[10:11], v[26:27], s[8:9]
	v_fma_f64 v[26:27], -s[8:9], v[26:27], s[10:11]
	v_div_fixup_f64 v[28:29], v[54:55], v[28:29], 1.0
	s_delay_alu instid0(VALU_DEP_1) | instskip(NEXT) | instid1(VALU_DEP_3)
	v_mul_f64_e32 v[54:55], v[56:57], v[28:29]
	v_mul_f64_e32 v[26:27], v[26:27], v[28:29]
.LBB84_141:                             ;   in Loop: Header=BB84_89 Depth=1
	s_and_not1_saveexec_b32 s26, s1
	s_cbranch_execz .LBB84_143
; %bb.142:                              ;   in Loop: Header=BB84_89 Depth=1
	v_div_scale_f64 v[26:27], null, v[50:51], v[50:51], s[8:9]
	v_div_scale_f64 v[28:29], null, v[52:53], v[52:53], s[10:11]
	v_div_scale_f64 v[62:63], vcc_lo, s[8:9], v[50:51], s[8:9]
	s_delay_alu instid0(VALU_DEP_3) | instskip(NEXT) | instid1(VALU_DEP_2)
	v_rcp_f64_e32 v[54:55], v[26:27]
	v_rcp_f64_e32 v[56:57], v[28:29]
	s_delay_alu instid0(TRANS32_DEP_2) | instskip(NEXT) | instid1(TRANS32_DEP_1)
	v_fma_f64 v[58:59], -v[26:27], v[54:55], 1.0
	v_fma_f64 v[60:61], -v[28:29], v[56:57], 1.0
	s_delay_alu instid0(VALU_DEP_2) | instskip(NEXT) | instid1(VALU_DEP_2)
	v_fmac_f64_e32 v[54:55], v[54:55], v[58:59]
	v_fmac_f64_e32 v[56:57], v[56:57], v[60:61]
	s_delay_alu instid0(VALU_DEP_2) | instskip(NEXT) | instid1(VALU_DEP_2)
	v_fma_f64 v[58:59], -v[26:27], v[54:55], 1.0
	v_fma_f64 v[60:61], -v[28:29], v[56:57], 1.0
	s_delay_alu instid0(VALU_DEP_2) | instskip(SKIP_1) | instid1(VALU_DEP_3)
	v_fmac_f64_e32 v[54:55], v[54:55], v[58:59]
	v_div_scale_f64 v[58:59], s1, s[10:11], v[52:53], s[10:11]
	v_fmac_f64_e32 v[56:57], v[56:57], v[60:61]
	s_delay_alu instid0(VALU_DEP_3) | instskip(NEXT) | instid1(VALU_DEP_2)
	v_mul_f64_e32 v[60:61], v[62:63], v[54:55]
	v_mul_f64_e32 v[64:65], v[58:59], v[56:57]
	s_delay_alu instid0(VALU_DEP_2) | instskip(NEXT) | instid1(VALU_DEP_2)
	v_fma_f64 v[26:27], -v[26:27], v[60:61], v[62:63]
	v_fma_f64 v[28:29], -v[28:29], v[64:65], v[58:59]
	s_delay_alu instid0(VALU_DEP_2) | instskip(SKIP_1) | instid1(VALU_DEP_2)
	v_div_fmas_f64 v[26:27], v[26:27], v[54:55], v[60:61]
	s_mov_b32 vcc_lo, s1
	v_div_fmas_f64 v[28:29], v[28:29], v[56:57], v[64:65]
	s_delay_alu instid0(VALU_DEP_2) | instskip(NEXT) | instid1(VALU_DEP_2)
	v_div_fixup_f64 v[54:55], v[26:27], v[50:51], s[8:9]
	v_div_fixup_f64 v[26:27], v[28:29], v[52:53], s[10:11]
.LBB84_143:                             ;   in Loop: Header=BB84_89 Depth=1
	s_or_b32 exec_lo, exec_lo, s26
.LBB84_144:                             ;   in Loop: Header=BB84_89 Depth=1
	s_and_not1_saveexec_b32 s1, s25
	s_cbranch_execz .LBB84_146
; %bb.145:                              ;   in Loop: Header=BB84_89 Depth=1
	v_div_scale_f64 v[26:27], null, v[24:25], v[24:25], v[22:23]
	v_div_scale_f64 v[56:57], vcc_lo, v[22:23], v[24:25], v[22:23]
	s_delay_alu instid0(VALU_DEP_2) | instskip(SKIP_1) | instid1(TRANS32_DEP_1)
	v_rcp_f64_e32 v[28:29], v[26:27]
	v_nop
	v_fma_f64 v[54:55], -v[26:27], v[28:29], 1.0
	s_delay_alu instid0(VALU_DEP_1) | instskip(NEXT) | instid1(VALU_DEP_1)
	v_fmac_f64_e32 v[28:29], v[28:29], v[54:55]
	v_fma_f64 v[54:55], -v[26:27], v[28:29], 1.0
	s_delay_alu instid0(VALU_DEP_1) | instskip(NEXT) | instid1(VALU_DEP_1)
	v_fmac_f64_e32 v[28:29], v[28:29], v[54:55]
	v_mul_f64_e32 v[54:55], v[56:57], v[28:29]
	s_delay_alu instid0(VALU_DEP_1) | instskip(NEXT) | instid1(VALU_DEP_1)
	v_fma_f64 v[26:27], -v[26:27], v[54:55], v[56:57]
	v_div_fmas_f64 v[26:27], v[26:27], v[28:29], v[54:55]
	s_delay_alu instid0(VALU_DEP_1) | instskip(NEXT) | instid1(VALU_DEP_1)
	v_div_fixup_f64 v[26:27], v[26:27], v[24:25], v[22:23]
	v_fma_f64 v[28:29], v[22:23], v[26:27], v[24:25]
	s_delay_alu instid0(VALU_DEP_1) | instskip(SKIP_1) | instid1(VALU_DEP_2)
	v_div_scale_f64 v[54:55], null, v[28:29], v[28:29], 1.0
	v_div_scale_f64 v[60:61], vcc_lo, 1.0, v[28:29], 1.0
	v_rcp_f64_e32 v[56:57], v[54:55]
	v_nop
	s_delay_alu instid0(TRANS32_DEP_1) | instskip(NEXT) | instid1(VALU_DEP_1)
	v_fma_f64 v[58:59], -v[54:55], v[56:57], 1.0
	v_fmac_f64_e32 v[56:57], v[56:57], v[58:59]
	s_delay_alu instid0(VALU_DEP_1) | instskip(NEXT) | instid1(VALU_DEP_1)
	v_fma_f64 v[58:59], -v[54:55], v[56:57], 1.0
	v_fmac_f64_e32 v[56:57], v[56:57], v[58:59]
	s_delay_alu instid0(VALU_DEP_1) | instskip(NEXT) | instid1(VALU_DEP_1)
	v_mul_f64_e32 v[58:59], v[60:61], v[56:57]
	v_fma_f64 v[54:55], -v[54:55], v[58:59], v[60:61]
	s_delay_alu instid0(VALU_DEP_1) | instskip(SKIP_2) | instid1(VALU_DEP_3)
	v_div_fmas_f64 v[54:55], v[54:55], v[56:57], v[58:59]
	v_fma_f64 v[56:57], s[8:9], v[26:27], s[10:11]
	v_fma_f64 v[26:27], s[10:11], v[26:27], -s[8:9]
	v_div_fixup_f64 v[28:29], v[54:55], v[28:29], 1.0
	s_delay_alu instid0(VALU_DEP_1) | instskip(NEXT) | instid1(VALU_DEP_3)
	v_mul_f64_e32 v[54:55], v[56:57], v[28:29]
	v_mul_f64_e32 v[26:27], v[26:27], v[28:29]
.LBB84_146:                             ;   in Loop: Header=BB84_89 Depth=1
	s_or_b32 exec_lo, exec_lo, s1
	s_delay_alu instid0(VALU_DEP_1) | instskip(SKIP_2) | instid1(VALU_DEP_2)
	v_mul_f64_e32 v[28:29], s[6:7], v[26:27]
	v_mul_f64_e32 v[26:27], s[4:5], v[26:27]
	s_mov_b32 s1, 0
	v_fma_f64 v[28:29], s[4:5], v[54:55], -v[28:29]
	s_delay_alu instid0(VALU_DEP_2)
	v_fmac_f64_e32 v[26:27], s[6:7], v[54:55]
.LBB84_147:                             ;   in Loop: Header=BB84_89 Depth=1
	s_and_b32 vcc_lo, exec_lo, s1
	s_cbranch_vccz .LBB84_157
; %bb.148:                              ;   in Loop: Header=BB84_89 Depth=1
                                        ; implicit-def: $vgpr26_vgpr27
                                        ; implicit-def: $vgpr28_vgpr29
	s_and_saveexec_b32 s1, s0
	s_delay_alu instid0(SALU_CYCLE_1)
	s_xor_b32 s1, exec_lo, s1
	s_cbranch_execz .LBB84_154
; %bb.149:                              ;   in Loop: Header=BB84_89 Depth=1
	v_cmp_neq_f64_e32 vcc_lo, 0, v[22:23]
	v_cmp_neq_f64_e64 s0, 0, v[24:25]
                                        ; implicit-def: $vgpr26_vgpr27
                                        ; implicit-def: $vgpr28_vgpr29
	s_or_b32 s0, s0, vcc_lo
	s_delay_alu instid0(SALU_CYCLE_1) | instskip(NEXT) | instid1(SALU_CYCLE_1)
	s_and_saveexec_b32 s25, s0
	s_xor_b32 s0, exec_lo, s25
	s_cbranch_execz .LBB84_151
; %bb.150:                              ;   in Loop: Header=BB84_89 Depth=1
	v_div_scale_f64 v[26:27], null, v[22:23], v[22:23], v[24:25]
	v_div_scale_f64 v[52:53], vcc_lo, v[24:25], v[22:23], v[24:25]
	s_delay_alu instid0(VALU_DEP_2) | instskip(SKIP_1) | instid1(TRANS32_DEP_1)
	v_rcp_f64_e32 v[28:29], v[26:27]
	v_nop
	v_fma_f64 v[50:51], -v[26:27], v[28:29], 1.0
	s_delay_alu instid0(VALU_DEP_1) | instskip(NEXT) | instid1(VALU_DEP_1)
	v_fmac_f64_e32 v[28:29], v[28:29], v[50:51]
	v_fma_f64 v[50:51], -v[26:27], v[28:29], 1.0
	s_delay_alu instid0(VALU_DEP_1) | instskip(NEXT) | instid1(VALU_DEP_1)
	v_fmac_f64_e32 v[28:29], v[28:29], v[50:51]
	v_mul_f64_e32 v[50:51], v[52:53], v[28:29]
	s_delay_alu instid0(VALU_DEP_1) | instskip(NEXT) | instid1(VALU_DEP_1)
	v_fma_f64 v[26:27], -v[26:27], v[50:51], v[52:53]
	v_div_fmas_f64 v[26:27], v[26:27], v[28:29], v[50:51]
	s_delay_alu instid0(VALU_DEP_1) | instskip(NEXT) | instid1(VALU_DEP_1)
	v_div_fixup_f64 v[26:27], v[26:27], v[22:23], v[24:25]
	v_fmac_f64_e32 v[22:23], v[24:25], v[26:27]
	s_delay_alu instid0(VALU_DEP_1) | instskip(SKIP_1) | instid1(VALU_DEP_2)
	v_div_scale_f64 v[24:25], null, v[22:23], v[22:23], 1.0
	v_div_scale_f64 v[52:53], vcc_lo, 1.0, v[22:23], 1.0
	v_rcp_f64_e32 v[28:29], v[24:25]
	v_nop
	s_delay_alu instid0(TRANS32_DEP_1) | instskip(NEXT) | instid1(VALU_DEP_1)
	v_fma_f64 v[50:51], -v[24:25], v[28:29], 1.0
	v_fmac_f64_e32 v[28:29], v[28:29], v[50:51]
	s_delay_alu instid0(VALU_DEP_1) | instskip(NEXT) | instid1(VALU_DEP_1)
	v_fma_f64 v[50:51], -v[24:25], v[28:29], 1.0
	v_fmac_f64_e32 v[28:29], v[28:29], v[50:51]
	s_delay_alu instid0(VALU_DEP_1) | instskip(NEXT) | instid1(VALU_DEP_1)
	v_mul_f64_e32 v[50:51], v[52:53], v[28:29]
	v_fma_f64 v[24:25], -v[24:25], v[50:51], v[52:53]
                                        ; implicit-def: $vgpr52_vgpr53
	s_delay_alu instid0(VALU_DEP_1) | instskip(SKIP_1) | instid1(VALU_DEP_2)
	v_div_fmas_f64 v[24:25], v[24:25], v[28:29], v[50:51]
	v_fma_f64 v[28:29], s[10:11], v[26:27], s[8:9]
                                        ; implicit-def: $vgpr50_vgpr51
	v_div_fixup_f64 v[22:23], v[24:25], v[22:23], 1.0
	v_fma_f64 v[24:25], -s[8:9], v[26:27], s[10:11]
	s_delay_alu instid0(VALU_DEP_2) | instskip(NEXT) | instid1(VALU_DEP_2)
	v_mul_f64_e32 v[28:29], v[28:29], v[22:23]
	v_mul_f64_e32 v[26:27], v[24:25], v[22:23]
.LBB84_151:                             ;   in Loop: Header=BB84_89 Depth=1
	s_and_not1_saveexec_b32 s25, s0
	s_cbranch_execz .LBB84_153
; %bb.152:                              ;   in Loop: Header=BB84_89 Depth=1
	v_div_scale_f64 v[22:23], null, v[50:51], v[50:51], s[8:9]
	v_div_scale_f64 v[24:25], null, v[52:53], v[52:53], s[10:11]
	v_div_scale_f64 v[58:59], vcc_lo, s[8:9], v[50:51], s[8:9]
	s_delay_alu instid0(VALU_DEP_3) | instskip(NEXT) | instid1(VALU_DEP_2)
	v_rcp_f64_e32 v[26:27], v[22:23]
	v_rcp_f64_e32 v[28:29], v[24:25]
	s_delay_alu instid0(TRANS32_DEP_2) | instskip(NEXT) | instid1(TRANS32_DEP_1)
	v_fma_f64 v[54:55], -v[22:23], v[26:27], 1.0
	v_fma_f64 v[56:57], -v[24:25], v[28:29], 1.0
	s_delay_alu instid0(VALU_DEP_2) | instskip(NEXT) | instid1(VALU_DEP_2)
	v_fmac_f64_e32 v[26:27], v[26:27], v[54:55]
	v_fmac_f64_e32 v[28:29], v[28:29], v[56:57]
	s_delay_alu instid0(VALU_DEP_2) | instskip(NEXT) | instid1(VALU_DEP_2)
	v_fma_f64 v[54:55], -v[22:23], v[26:27], 1.0
	v_fma_f64 v[56:57], -v[24:25], v[28:29], 1.0
	s_delay_alu instid0(VALU_DEP_2) | instskip(SKIP_1) | instid1(VALU_DEP_3)
	v_fmac_f64_e32 v[26:27], v[26:27], v[54:55]
	v_div_scale_f64 v[54:55], s0, s[10:11], v[52:53], s[10:11]
	v_fmac_f64_e32 v[28:29], v[28:29], v[56:57]
	s_delay_alu instid0(VALU_DEP_3) | instskip(NEXT) | instid1(VALU_DEP_2)
	v_mul_f64_e32 v[56:57], v[58:59], v[26:27]
	v_mul_f64_e32 v[60:61], v[54:55], v[28:29]
	s_delay_alu instid0(VALU_DEP_2) | instskip(NEXT) | instid1(VALU_DEP_2)
	v_fma_f64 v[22:23], -v[22:23], v[56:57], v[58:59]
	v_fma_f64 v[24:25], -v[24:25], v[60:61], v[54:55]
	s_delay_alu instid0(VALU_DEP_2) | instskip(SKIP_1) | instid1(VALU_DEP_2)
	v_div_fmas_f64 v[22:23], v[22:23], v[26:27], v[56:57]
	s_mov_b32 vcc_lo, s0
	v_div_fmas_f64 v[24:25], v[24:25], v[28:29], v[60:61]
	s_delay_alu instid0(VALU_DEP_2) | instskip(NEXT) | instid1(VALU_DEP_2)
	v_div_fixup_f64 v[28:29], v[22:23], v[50:51], s[8:9]
	v_div_fixup_f64 v[26:27], v[24:25], v[52:53], s[10:11]
.LBB84_153:                             ;   in Loop: Header=BB84_89 Depth=1
	s_or_b32 exec_lo, exec_lo, s25
                                        ; implicit-def: $vgpr24_vgpr25
.LBB84_154:                             ;   in Loop: Header=BB84_89 Depth=1
	s_and_not1_saveexec_b32 s0, s1
	s_cbranch_execz .LBB84_156
; %bb.155:                              ;   in Loop: Header=BB84_89 Depth=1
	v_div_scale_f64 v[26:27], null, v[24:25], v[24:25], v[22:23]
	v_div_scale_f64 v[52:53], vcc_lo, v[22:23], v[24:25], v[22:23]
	s_delay_alu instid0(VALU_DEP_2) | instskip(SKIP_1) | instid1(TRANS32_DEP_1)
	v_rcp_f64_e32 v[28:29], v[26:27]
	v_nop
	v_fma_f64 v[50:51], -v[26:27], v[28:29], 1.0
	s_delay_alu instid0(VALU_DEP_1) | instskip(NEXT) | instid1(VALU_DEP_1)
	v_fmac_f64_e32 v[28:29], v[28:29], v[50:51]
	v_fma_f64 v[50:51], -v[26:27], v[28:29], 1.0
	s_delay_alu instid0(VALU_DEP_1) | instskip(NEXT) | instid1(VALU_DEP_1)
	v_fmac_f64_e32 v[28:29], v[28:29], v[50:51]
	v_mul_f64_e32 v[50:51], v[52:53], v[28:29]
	s_delay_alu instid0(VALU_DEP_1) | instskip(NEXT) | instid1(VALU_DEP_1)
	v_fma_f64 v[26:27], -v[26:27], v[50:51], v[52:53]
	v_div_fmas_f64 v[26:27], v[26:27], v[28:29], v[50:51]
	s_delay_alu instid0(VALU_DEP_1) | instskip(NEXT) | instid1(VALU_DEP_1)
	v_div_fixup_f64 v[26:27], v[26:27], v[24:25], v[22:23]
	v_fmac_f64_e32 v[24:25], v[22:23], v[26:27]
	s_delay_alu instid0(VALU_DEP_1) | instskip(SKIP_1) | instid1(VALU_DEP_2)
	v_div_scale_f64 v[22:23], null, v[24:25], v[24:25], 1.0
	v_div_scale_f64 v[52:53], vcc_lo, 1.0, v[24:25], 1.0
	v_rcp_f64_e32 v[28:29], v[22:23]
	v_nop
	s_delay_alu instid0(TRANS32_DEP_1) | instskip(NEXT) | instid1(VALU_DEP_1)
	v_fma_f64 v[50:51], -v[22:23], v[28:29], 1.0
	v_fmac_f64_e32 v[28:29], v[28:29], v[50:51]
	s_delay_alu instid0(VALU_DEP_1) | instskip(NEXT) | instid1(VALU_DEP_1)
	v_fma_f64 v[50:51], -v[22:23], v[28:29], 1.0
	v_fmac_f64_e32 v[28:29], v[28:29], v[50:51]
	s_delay_alu instid0(VALU_DEP_1) | instskip(NEXT) | instid1(VALU_DEP_1)
	v_mul_f64_e32 v[50:51], v[52:53], v[28:29]
	v_fma_f64 v[22:23], -v[22:23], v[50:51], v[52:53]
	s_delay_alu instid0(VALU_DEP_1) | instskip(SKIP_1) | instid1(VALU_DEP_2)
	v_div_fmas_f64 v[22:23], v[22:23], v[28:29], v[50:51]
	v_fma_f64 v[28:29], s[8:9], v[26:27], s[10:11]
	v_div_fixup_f64 v[22:23], v[22:23], v[24:25], 1.0
	v_fma_f64 v[24:25], s[10:11], v[26:27], -s[8:9]
	s_delay_alu instid0(VALU_DEP_2) | instskip(NEXT) | instid1(VALU_DEP_2)
	v_mul_f64_e32 v[28:29], v[28:29], v[22:23]
	v_mul_f64_e32 v[26:27], v[24:25], v[22:23]
.LBB84_156:                             ;   in Loop: Header=BB84_89 Depth=1
	s_or_b32 exec_lo, exec_lo, s0
.LBB84_157:                             ;   in Loop: Header=BB84_89 Depth=1
	v_cmp_gt_f64_e32 vcc_lo, 0, v[18:19]
	v_xor_b32_e32 v23, 0x80000000, v19
	v_mov_b32_e32 v22, v18
	v_xor_b32_e32 v24, 0x80000000, v21
	s_mov_b32 s1, -1
                                        ; implicit-def: $vgpr50_vgpr51
                                        ; implicit-def: $vgpr52_vgpr53
	s_delay_alu instid0(VALU_DEP_3) | instskip(SKIP_1) | instid1(VALU_DEP_3)
	v_cndmask_b32_e32 v23, v19, v23, vcc_lo
	v_cmp_gt_f64_e32 vcc_lo, 0, v[20:21]
	v_dual_cndmask_b32 v25, v21, v24 :: v_dual_mov_b32 v24, v20
	s_and_not1_b32 vcc_lo, exec_lo, s24
	s_delay_alu instid0(VALU_DEP_1)
	v_cmp_ge_f64_e64 s0, v[22:23], v[24:25]
	s_cbranch_vccz .LBB84_163
; %bb.158:                              ;   in Loop: Header=BB84_89 Depth=1
	s_and_b32 vcc_lo, exec_lo, s1
	s_cbranch_vccnz .LBB84_172
.LBB84_159:                             ;   in Loop: Header=BB84_89 Depth=1
	s_mov_b32 s0, exec_lo
	v_cmpx_lt_u64_e64 v[38:39], v[36:37]
	s_xor_b32 s0, exec_lo, s0
	s_cbranch_execnz .LBB84_181
.LBB84_160:                             ;   in Loop: Header=BB84_89 Depth=1
	s_or_b32 exec_lo, exec_lo, s0
	s_delay_alu instid0(SALU_CYCLE_1)
	s_mov_b32 s0, exec_lo
	v_cmpx_lt_u64_e64 v[40:41], v[36:37]
	s_cbranch_execnz .LBB84_182
.LBB84_161:                             ;   in Loop: Header=BB84_89 Depth=1
	s_or_b32 exec_lo, exec_lo, s0
	s_delay_alu instid0(SALU_CYCLE_1)
	s_mov_b32 s0, exec_lo
	v_cmpx_lt_u64_e64 v[42:43], v[36:37]
	s_cbranch_execnz .LBB84_183
.LBB84_162:                             ;   in Loop: Header=BB84_89 Depth=1
	s_or_b32 exec_lo, exec_lo, s0
	s_delay_alu instid0(SALU_CYCLE_1)
	s_mov_b32 s0, exec_lo
	v_cmpx_lt_u64_e64 v[44:45], v[36:37]
	s_cbranch_execz .LBB84_88
	s_branch .LBB84_184
.LBB84_163:                             ;   in Loop: Header=BB84_89 Depth=1
                                        ; implicit-def: $vgpr50_vgpr51
                                        ; implicit-def: $vgpr54_vgpr55
	s_and_saveexec_b32 s1, s0
	s_delay_alu instid0(SALU_CYCLE_1)
	s_xor_b32 s25, exec_lo, s1
	s_cbranch_execz .LBB84_169
; %bb.164:                              ;   in Loop: Header=BB84_89 Depth=1
	v_cmp_neq_f64_e32 vcc_lo, 0, v[18:19]
	v_cmp_neq_f64_e64 s1, 0, v[20:21]
                                        ; implicit-def: $vgpr50_vgpr51
                                        ; implicit-def: $vgpr54_vgpr55
	s_or_b32 s1, s1, vcc_lo
	s_delay_alu instid0(SALU_CYCLE_1) | instskip(NEXT) | instid1(SALU_CYCLE_1)
	s_and_saveexec_b32 s26, s1
	s_xor_b32 s1, exec_lo, s26
	s_cbranch_execz .LBB84_166
; %bb.165:                              ;   in Loop: Header=BB84_89 Depth=1
	v_div_scale_f64 v[50:51], null, v[18:19], v[18:19], v[20:21]
	v_div_scale_f64 v[56:57], vcc_lo, v[20:21], v[18:19], v[20:21]
	s_delay_alu instid0(VALU_DEP_2) | instskip(SKIP_1) | instid1(TRANS32_DEP_1)
	v_rcp_f64_e32 v[52:53], v[50:51]
	v_nop
	v_fma_f64 v[54:55], -v[50:51], v[52:53], 1.0
	s_delay_alu instid0(VALU_DEP_1) | instskip(NEXT) | instid1(VALU_DEP_1)
	v_fmac_f64_e32 v[52:53], v[52:53], v[54:55]
	v_fma_f64 v[54:55], -v[50:51], v[52:53], 1.0
	s_delay_alu instid0(VALU_DEP_1) | instskip(NEXT) | instid1(VALU_DEP_1)
	v_fmac_f64_e32 v[52:53], v[52:53], v[54:55]
	v_mul_f64_e32 v[54:55], v[56:57], v[52:53]
	s_delay_alu instid0(VALU_DEP_1) | instskip(NEXT) | instid1(VALU_DEP_1)
	v_fma_f64 v[50:51], -v[50:51], v[54:55], v[56:57]
	v_div_fmas_f64 v[50:51], v[50:51], v[52:53], v[54:55]
	s_delay_alu instid0(VALU_DEP_1) | instskip(NEXT) | instid1(VALU_DEP_1)
	v_div_fixup_f64 v[50:51], v[50:51], v[18:19], v[20:21]
	v_fma_f64 v[52:53], v[20:21], v[50:51], v[18:19]
	s_delay_alu instid0(VALU_DEP_1) | instskip(SKIP_1) | instid1(VALU_DEP_2)
	v_div_scale_f64 v[54:55], null, v[52:53], v[52:53], 1.0
	v_div_scale_f64 v[60:61], vcc_lo, 1.0, v[52:53], 1.0
	v_rcp_f64_e32 v[56:57], v[54:55]
	v_nop
	s_delay_alu instid0(TRANS32_DEP_1) | instskip(NEXT) | instid1(VALU_DEP_1)
	v_fma_f64 v[58:59], -v[54:55], v[56:57], 1.0
	v_fmac_f64_e32 v[56:57], v[56:57], v[58:59]
	s_delay_alu instid0(VALU_DEP_1) | instskip(NEXT) | instid1(VALU_DEP_1)
	v_fma_f64 v[58:59], -v[54:55], v[56:57], 1.0
	v_fmac_f64_e32 v[56:57], v[56:57], v[58:59]
	s_delay_alu instid0(VALU_DEP_1) | instskip(NEXT) | instid1(VALU_DEP_1)
	v_mul_f64_e32 v[58:59], v[60:61], v[56:57]
	v_fma_f64 v[54:55], -v[54:55], v[58:59], v[60:61]
	s_delay_alu instid0(VALU_DEP_1) | instskip(SKIP_2) | instid1(VALU_DEP_3)
	v_div_fmas_f64 v[54:55], v[54:55], v[56:57], v[58:59]
	v_fma_f64 v[56:57], s[10:11], v[50:51], s[8:9]
	v_fma_f64 v[50:51], -s[8:9], v[50:51], s[10:11]
	v_div_fixup_f64 v[52:53], v[54:55], v[52:53], 1.0
	s_delay_alu instid0(VALU_DEP_1) | instskip(NEXT) | instid1(VALU_DEP_3)
	v_mul_f64_e32 v[54:55], v[56:57], v[52:53]
	v_mul_f64_e32 v[50:51], v[50:51], v[52:53]
.LBB84_166:                             ;   in Loop: Header=BB84_89 Depth=1
	s_and_not1_saveexec_b32 s26, s1
	s_cbranch_execz .LBB84_168
; %bb.167:                              ;   in Loop: Header=BB84_89 Depth=1
	v_div_scale_f64 v[50:51], null, v[22:23], v[22:23], s[8:9]
	v_div_scale_f64 v[52:53], null, v[24:25], v[24:25], s[10:11]
	v_div_scale_f64 v[62:63], vcc_lo, s[8:9], v[22:23], s[8:9]
	s_delay_alu instid0(VALU_DEP_3) | instskip(NEXT) | instid1(VALU_DEP_2)
	v_rcp_f64_e32 v[54:55], v[50:51]
	v_rcp_f64_e32 v[56:57], v[52:53]
	s_delay_alu instid0(TRANS32_DEP_2) | instskip(NEXT) | instid1(TRANS32_DEP_1)
	v_fma_f64 v[58:59], -v[50:51], v[54:55], 1.0
	v_fma_f64 v[60:61], -v[52:53], v[56:57], 1.0
	s_delay_alu instid0(VALU_DEP_2) | instskip(NEXT) | instid1(VALU_DEP_2)
	v_fmac_f64_e32 v[54:55], v[54:55], v[58:59]
	v_fmac_f64_e32 v[56:57], v[56:57], v[60:61]
	s_delay_alu instid0(VALU_DEP_2) | instskip(NEXT) | instid1(VALU_DEP_2)
	v_fma_f64 v[58:59], -v[50:51], v[54:55], 1.0
	v_fma_f64 v[60:61], -v[52:53], v[56:57], 1.0
	s_delay_alu instid0(VALU_DEP_2) | instskip(SKIP_1) | instid1(VALU_DEP_3)
	v_fmac_f64_e32 v[54:55], v[54:55], v[58:59]
	v_div_scale_f64 v[58:59], s1, s[10:11], v[24:25], s[10:11]
	v_fmac_f64_e32 v[56:57], v[56:57], v[60:61]
	s_delay_alu instid0(VALU_DEP_3) | instskip(NEXT) | instid1(VALU_DEP_2)
	v_mul_f64_e32 v[60:61], v[62:63], v[54:55]
	v_mul_f64_e32 v[64:65], v[58:59], v[56:57]
	s_delay_alu instid0(VALU_DEP_2) | instskip(NEXT) | instid1(VALU_DEP_2)
	v_fma_f64 v[50:51], -v[50:51], v[60:61], v[62:63]
	v_fma_f64 v[52:53], -v[52:53], v[64:65], v[58:59]
	s_delay_alu instid0(VALU_DEP_2) | instskip(SKIP_1) | instid1(VALU_DEP_2)
	v_div_fmas_f64 v[50:51], v[50:51], v[54:55], v[60:61]
	s_mov_b32 vcc_lo, s1
	v_div_fmas_f64 v[52:53], v[52:53], v[56:57], v[64:65]
	s_delay_alu instid0(VALU_DEP_2) | instskip(NEXT) | instid1(VALU_DEP_2)
	v_div_fixup_f64 v[54:55], v[50:51], v[22:23], s[8:9]
	v_div_fixup_f64 v[50:51], v[52:53], v[24:25], s[10:11]
.LBB84_168:                             ;   in Loop: Header=BB84_89 Depth=1
	s_or_b32 exec_lo, exec_lo, s26
.LBB84_169:                             ;   in Loop: Header=BB84_89 Depth=1
	s_and_not1_saveexec_b32 s1, s25
	s_cbranch_execz .LBB84_171
; %bb.170:                              ;   in Loop: Header=BB84_89 Depth=1
	v_div_scale_f64 v[50:51], null, v[20:21], v[20:21], v[18:19]
	v_div_scale_f64 v[56:57], vcc_lo, v[18:19], v[20:21], v[18:19]
	s_delay_alu instid0(VALU_DEP_2) | instskip(SKIP_1) | instid1(TRANS32_DEP_1)
	v_rcp_f64_e32 v[52:53], v[50:51]
	v_nop
	v_fma_f64 v[54:55], -v[50:51], v[52:53], 1.0
	s_delay_alu instid0(VALU_DEP_1) | instskip(NEXT) | instid1(VALU_DEP_1)
	v_fmac_f64_e32 v[52:53], v[52:53], v[54:55]
	v_fma_f64 v[54:55], -v[50:51], v[52:53], 1.0
	s_delay_alu instid0(VALU_DEP_1) | instskip(NEXT) | instid1(VALU_DEP_1)
	v_fmac_f64_e32 v[52:53], v[52:53], v[54:55]
	v_mul_f64_e32 v[54:55], v[56:57], v[52:53]
	s_delay_alu instid0(VALU_DEP_1) | instskip(NEXT) | instid1(VALU_DEP_1)
	v_fma_f64 v[50:51], -v[50:51], v[54:55], v[56:57]
	v_div_fmas_f64 v[50:51], v[50:51], v[52:53], v[54:55]
	s_delay_alu instid0(VALU_DEP_1) | instskip(NEXT) | instid1(VALU_DEP_1)
	v_div_fixup_f64 v[50:51], v[50:51], v[20:21], v[18:19]
	v_fma_f64 v[52:53], v[18:19], v[50:51], v[20:21]
	s_delay_alu instid0(VALU_DEP_1) | instskip(SKIP_1) | instid1(VALU_DEP_2)
	v_div_scale_f64 v[54:55], null, v[52:53], v[52:53], 1.0
	v_div_scale_f64 v[60:61], vcc_lo, 1.0, v[52:53], 1.0
	v_rcp_f64_e32 v[56:57], v[54:55]
	v_nop
	s_delay_alu instid0(TRANS32_DEP_1) | instskip(NEXT) | instid1(VALU_DEP_1)
	v_fma_f64 v[58:59], -v[54:55], v[56:57], 1.0
	v_fmac_f64_e32 v[56:57], v[56:57], v[58:59]
	s_delay_alu instid0(VALU_DEP_1) | instskip(NEXT) | instid1(VALU_DEP_1)
	v_fma_f64 v[58:59], -v[54:55], v[56:57], 1.0
	v_fmac_f64_e32 v[56:57], v[56:57], v[58:59]
	s_delay_alu instid0(VALU_DEP_1) | instskip(NEXT) | instid1(VALU_DEP_1)
	v_mul_f64_e32 v[58:59], v[60:61], v[56:57]
	v_fma_f64 v[54:55], -v[54:55], v[58:59], v[60:61]
	s_delay_alu instid0(VALU_DEP_1) | instskip(SKIP_2) | instid1(VALU_DEP_3)
	v_div_fmas_f64 v[54:55], v[54:55], v[56:57], v[58:59]
	v_fma_f64 v[56:57], s[8:9], v[50:51], s[10:11]
	v_fma_f64 v[50:51], s[10:11], v[50:51], -s[8:9]
	v_div_fixup_f64 v[52:53], v[54:55], v[52:53], 1.0
	s_delay_alu instid0(VALU_DEP_1) | instskip(NEXT) | instid1(VALU_DEP_3)
	v_mul_f64_e32 v[54:55], v[56:57], v[52:53]
	v_mul_f64_e32 v[50:51], v[50:51], v[52:53]
.LBB84_171:                             ;   in Loop: Header=BB84_89 Depth=1
	s_or_b32 exec_lo, exec_lo, s1
	s_delay_alu instid0(VALU_DEP_1) | instskip(SKIP_1) | instid1(VALU_DEP_2)
	v_mul_f64_e32 v[52:53], s[6:7], v[50:51]
	v_mul_f64_e32 v[50:51], s[4:5], v[50:51]
	v_fma_f64 v[52:53], s[4:5], v[54:55], -v[52:53]
	s_delay_alu instid0(VALU_DEP_2)
	v_fmac_f64_e32 v[50:51], s[6:7], v[54:55]
	s_branch .LBB84_159
.LBB84_172:                             ;   in Loop: Header=BB84_89 Depth=1
                                        ; implicit-def: $vgpr50_vgpr51
                                        ; implicit-def: $vgpr52_vgpr53
	s_and_saveexec_b32 s1, s0
	s_delay_alu instid0(SALU_CYCLE_1)
	s_xor_b32 s1, exec_lo, s1
	s_cbranch_execz .LBB84_178
; %bb.173:                              ;   in Loop: Header=BB84_89 Depth=1
	v_cmp_neq_f64_e32 vcc_lo, 0, v[18:19]
	v_cmp_neq_f64_e64 s0, 0, v[20:21]
                                        ; implicit-def: $vgpr50_vgpr51
                                        ; implicit-def: $vgpr52_vgpr53
	s_or_b32 s0, s0, vcc_lo
	s_delay_alu instid0(SALU_CYCLE_1) | instskip(NEXT) | instid1(SALU_CYCLE_1)
	s_and_saveexec_b32 s25, s0
	s_xor_b32 s0, exec_lo, s25
	s_cbranch_execz .LBB84_175
; %bb.174:                              ;   in Loop: Header=BB84_89 Depth=1
	v_div_scale_f64 v[22:23], null, v[18:19], v[18:19], v[20:21]
	v_div_scale_f64 v[52:53], vcc_lo, v[20:21], v[18:19], v[20:21]
	s_delay_alu instid0(VALU_DEP_2) | instskip(SKIP_1) | instid1(TRANS32_DEP_1)
	v_rcp_f64_e32 v[24:25], v[22:23]
	v_nop
	v_fma_f64 v[50:51], -v[22:23], v[24:25], 1.0
	s_delay_alu instid0(VALU_DEP_1) | instskip(NEXT) | instid1(VALU_DEP_1)
	v_fmac_f64_e32 v[24:25], v[24:25], v[50:51]
	v_fma_f64 v[50:51], -v[22:23], v[24:25], 1.0
	s_delay_alu instid0(VALU_DEP_1) | instskip(NEXT) | instid1(VALU_DEP_1)
	v_fmac_f64_e32 v[24:25], v[24:25], v[50:51]
	v_mul_f64_e32 v[50:51], v[52:53], v[24:25]
	s_delay_alu instid0(VALU_DEP_1) | instskip(NEXT) | instid1(VALU_DEP_1)
	v_fma_f64 v[22:23], -v[22:23], v[50:51], v[52:53]
	v_div_fmas_f64 v[22:23], v[22:23], v[24:25], v[50:51]
	s_delay_alu instid0(VALU_DEP_1) | instskip(NEXT) | instid1(VALU_DEP_1)
	v_div_fixup_f64 v[22:23], v[22:23], v[18:19], v[20:21]
	v_fmac_f64_e32 v[18:19], v[20:21], v[22:23]
	s_delay_alu instid0(VALU_DEP_1) | instskip(SKIP_1) | instid1(VALU_DEP_2)
	v_div_scale_f64 v[20:21], null, v[18:19], v[18:19], 1.0
	v_div_scale_f64 v[52:53], vcc_lo, 1.0, v[18:19], 1.0
	v_rcp_f64_e32 v[24:25], v[20:21]
	v_nop
	s_delay_alu instid0(TRANS32_DEP_1) | instskip(NEXT) | instid1(VALU_DEP_1)
	v_fma_f64 v[50:51], -v[20:21], v[24:25], 1.0
	v_fmac_f64_e32 v[24:25], v[24:25], v[50:51]
	s_delay_alu instid0(VALU_DEP_1) | instskip(NEXT) | instid1(VALU_DEP_1)
	v_fma_f64 v[50:51], -v[20:21], v[24:25], 1.0
	v_fmac_f64_e32 v[24:25], v[24:25], v[50:51]
	s_delay_alu instid0(VALU_DEP_1) | instskip(NEXT) | instid1(VALU_DEP_1)
	v_mul_f64_e32 v[50:51], v[52:53], v[24:25]
	v_fma_f64 v[20:21], -v[20:21], v[50:51], v[52:53]
	s_delay_alu instid0(VALU_DEP_1) | instskip(SKIP_1) | instid1(VALU_DEP_2)
	v_div_fmas_f64 v[20:21], v[20:21], v[24:25], v[50:51]
	v_fma_f64 v[24:25], s[10:11], v[22:23], s[8:9]
	v_div_fixup_f64 v[18:19], v[20:21], v[18:19], 1.0
	v_fma_f64 v[20:21], -s[8:9], v[22:23], s[10:11]
                                        ; implicit-def: $vgpr22_vgpr23
	s_delay_alu instid0(VALU_DEP_2) | instskip(NEXT) | instid1(VALU_DEP_2)
	v_mul_f64_e32 v[52:53], v[24:25], v[18:19]
	v_mul_f64_e32 v[50:51], v[20:21], v[18:19]
                                        ; implicit-def: $vgpr24_vgpr25
.LBB84_175:                             ;   in Loop: Header=BB84_89 Depth=1
	s_and_not1_saveexec_b32 s25, s0
	s_cbranch_execz .LBB84_177
; %bb.176:                              ;   in Loop: Header=BB84_89 Depth=1
	v_div_scale_f64 v[18:19], null, v[22:23], v[22:23], s[8:9]
	v_div_scale_f64 v[20:21], null, v[24:25], v[24:25], s[10:11]
	v_div_scale_f64 v[58:59], vcc_lo, s[8:9], v[22:23], s[8:9]
	s_delay_alu instid0(VALU_DEP_3) | instskip(NEXT) | instid1(VALU_DEP_2)
	v_rcp_f64_e32 v[50:51], v[18:19]
	v_rcp_f64_e32 v[52:53], v[20:21]
	s_delay_alu instid0(TRANS32_DEP_2) | instskip(NEXT) | instid1(TRANS32_DEP_1)
	v_fma_f64 v[54:55], -v[18:19], v[50:51], 1.0
	v_fma_f64 v[56:57], -v[20:21], v[52:53], 1.0
	s_delay_alu instid0(VALU_DEP_2) | instskip(NEXT) | instid1(VALU_DEP_2)
	v_fmac_f64_e32 v[50:51], v[50:51], v[54:55]
	v_fmac_f64_e32 v[52:53], v[52:53], v[56:57]
	s_delay_alu instid0(VALU_DEP_2) | instskip(NEXT) | instid1(VALU_DEP_2)
	v_fma_f64 v[54:55], -v[18:19], v[50:51], 1.0
	v_fma_f64 v[56:57], -v[20:21], v[52:53], 1.0
	s_delay_alu instid0(VALU_DEP_2) | instskip(SKIP_1) | instid1(VALU_DEP_3)
	v_fmac_f64_e32 v[50:51], v[50:51], v[54:55]
	v_div_scale_f64 v[54:55], s0, s[10:11], v[24:25], s[10:11]
	v_fmac_f64_e32 v[52:53], v[52:53], v[56:57]
	s_delay_alu instid0(VALU_DEP_3) | instskip(NEXT) | instid1(VALU_DEP_2)
	v_mul_f64_e32 v[56:57], v[58:59], v[50:51]
	v_mul_f64_e32 v[60:61], v[54:55], v[52:53]
	s_delay_alu instid0(VALU_DEP_2) | instskip(NEXT) | instid1(VALU_DEP_2)
	v_fma_f64 v[18:19], -v[18:19], v[56:57], v[58:59]
	v_fma_f64 v[20:21], -v[20:21], v[60:61], v[54:55]
	s_delay_alu instid0(VALU_DEP_2) | instskip(SKIP_1) | instid1(VALU_DEP_2)
	v_div_fmas_f64 v[18:19], v[18:19], v[50:51], v[56:57]
	s_mov_b32 vcc_lo, s0
	v_div_fmas_f64 v[20:21], v[20:21], v[52:53], v[60:61]
	s_delay_alu instid0(VALU_DEP_2) | instskip(NEXT) | instid1(VALU_DEP_2)
	v_div_fixup_f64 v[52:53], v[18:19], v[22:23], s[8:9]
	v_div_fixup_f64 v[50:51], v[20:21], v[24:25], s[10:11]
.LBB84_177:                             ;   in Loop: Header=BB84_89 Depth=1
	s_or_b32 exec_lo, exec_lo, s25
                                        ; implicit-def: $vgpr20_vgpr21
.LBB84_178:                             ;   in Loop: Header=BB84_89 Depth=1
	s_and_not1_saveexec_b32 s0, s1
	s_cbranch_execz .LBB84_180
; %bb.179:                              ;   in Loop: Header=BB84_89 Depth=1
	v_div_scale_f64 v[22:23], null, v[20:21], v[20:21], v[18:19]
	v_div_scale_f64 v[52:53], vcc_lo, v[18:19], v[20:21], v[18:19]
	s_delay_alu instid0(VALU_DEP_2) | instskip(SKIP_1) | instid1(TRANS32_DEP_1)
	v_rcp_f64_e32 v[24:25], v[22:23]
	v_nop
	v_fma_f64 v[50:51], -v[22:23], v[24:25], 1.0
	s_delay_alu instid0(VALU_DEP_1) | instskip(NEXT) | instid1(VALU_DEP_1)
	v_fmac_f64_e32 v[24:25], v[24:25], v[50:51]
	v_fma_f64 v[50:51], -v[22:23], v[24:25], 1.0
	s_delay_alu instid0(VALU_DEP_1) | instskip(NEXT) | instid1(VALU_DEP_1)
	v_fmac_f64_e32 v[24:25], v[24:25], v[50:51]
	v_mul_f64_e32 v[50:51], v[52:53], v[24:25]
	s_delay_alu instid0(VALU_DEP_1) | instskip(NEXT) | instid1(VALU_DEP_1)
	v_fma_f64 v[22:23], -v[22:23], v[50:51], v[52:53]
	v_div_fmas_f64 v[22:23], v[22:23], v[24:25], v[50:51]
	s_delay_alu instid0(VALU_DEP_1) | instskip(NEXT) | instid1(VALU_DEP_1)
	v_div_fixup_f64 v[22:23], v[22:23], v[20:21], v[18:19]
	v_fmac_f64_e32 v[20:21], v[18:19], v[22:23]
	s_delay_alu instid0(VALU_DEP_1) | instskip(SKIP_1) | instid1(VALU_DEP_2)
	v_div_scale_f64 v[18:19], null, v[20:21], v[20:21], 1.0
	v_div_scale_f64 v[52:53], vcc_lo, 1.0, v[20:21], 1.0
	v_rcp_f64_e32 v[24:25], v[18:19]
	v_nop
	s_delay_alu instid0(TRANS32_DEP_1) | instskip(NEXT) | instid1(VALU_DEP_1)
	v_fma_f64 v[50:51], -v[18:19], v[24:25], 1.0
	v_fmac_f64_e32 v[24:25], v[24:25], v[50:51]
	s_delay_alu instid0(VALU_DEP_1) | instskip(NEXT) | instid1(VALU_DEP_1)
	v_fma_f64 v[50:51], -v[18:19], v[24:25], 1.0
	v_fmac_f64_e32 v[24:25], v[24:25], v[50:51]
	s_delay_alu instid0(VALU_DEP_1) | instskip(NEXT) | instid1(VALU_DEP_1)
	v_mul_f64_e32 v[50:51], v[52:53], v[24:25]
	v_fma_f64 v[18:19], -v[18:19], v[50:51], v[52:53]
	s_delay_alu instid0(VALU_DEP_1) | instskip(SKIP_1) | instid1(VALU_DEP_2)
	v_div_fmas_f64 v[18:19], v[18:19], v[24:25], v[50:51]
	v_fma_f64 v[24:25], s[8:9], v[22:23], s[10:11]
	v_div_fixup_f64 v[18:19], v[18:19], v[20:21], 1.0
	v_fma_f64 v[20:21], s[10:11], v[22:23], -s[8:9]
	s_delay_alu instid0(VALU_DEP_2) | instskip(NEXT) | instid1(VALU_DEP_2)
	v_mul_f64_e32 v[52:53], v[24:25], v[18:19]
	v_mul_f64_e32 v[50:51], v[20:21], v[18:19]
.LBB84_180:                             ;   in Loop: Header=BB84_89 Depth=1
	s_or_b32 exec_lo, exec_lo, s0
	s_delay_alu instid0(SALU_CYCLE_1)
	s_mov_b32 s0, exec_lo
	v_cmpx_lt_u64_e64 v[38:39], v[36:37]
	s_xor_b32 s0, exec_lo, s0
	s_cbranch_execz .LBB84_160
.LBB84_181:                             ;   in Loop: Header=BB84_89 Depth=1
	v_add_f64_e32 v[4:5], v[4:5], v[46:47]
	v_add_f64_e32 v[2:3], v[2:3], v[48:49]
	v_lshl_add_u64 v[18:19], v[38:39], 4, s[14:15]
	global_store_b128 v[18:19], v[2:5], off
	s_wait_xcnt 0x0
	s_or_b32 exec_lo, exec_lo, s0
	s_delay_alu instid0(SALU_CYCLE_1)
	s_mov_b32 s0, exec_lo
	v_cmpx_lt_u64_e64 v[40:41], v[36:37]
	s_cbranch_execz .LBB84_161
.LBB84_182:                             ;   in Loop: Header=BB84_89 Depth=1
	v_add_f64_e32 v[4:5], v[8:9], v[30:31]
	v_add_f64_e32 v[2:3], v[6:7], v[32:33]
	v_lshl_add_u64 v[6:7], v[40:41], 4, s[14:15]
	global_store_b128 v[6:7], v[2:5], off
	s_wait_xcnt 0x0
	s_or_b32 exec_lo, exec_lo, s0
	s_delay_alu instid0(SALU_CYCLE_1)
	s_mov_b32 s0, exec_lo
	v_cmpx_lt_u64_e64 v[42:43], v[36:37]
	s_cbranch_execz .LBB84_162
.LBB84_183:                             ;   in Loop: Header=BB84_89 Depth=1
	v_add_f64_e32 v[4:5], v[12:13], v[26:27]
	v_add_f64_e32 v[2:3], v[10:11], v[28:29]
	v_lshl_add_u64 v[6:7], v[42:43], 4, s[14:15]
	global_store_b128 v[6:7], v[2:5], off
	s_wait_xcnt 0x0
	s_or_b32 exec_lo, exec_lo, s0
	s_delay_alu instid0(SALU_CYCLE_1)
	s_mov_b32 s0, exec_lo
	v_cmpx_lt_u64_e64 v[44:45], v[36:37]
	s_cbranch_execz .LBB84_88
.LBB84_184:                             ;   in Loop: Header=BB84_89 Depth=1
	v_add_f64_e32 v[4:5], v[16:17], v[50:51]
	v_add_f64_e32 v[2:3], v[14:15], v[52:53]
	v_lshl_add_u64 v[6:7], v[44:45], 4, s[14:15]
	global_store_b128 v[6:7], v[2:5], off
	s_branch .LBB84_88
.LBB84_185:
	s_sendmsg sendmsg(MSG_DEALLOC_VGPRS)
	s_endpgm
	.section	.rodata,"a",@progbits
	.p2align	6, 0x0
	.amdhsa_kernel _ZN2at6native12_GLOBAL__N_125multi_tensor_apply_kernelINS1_18TensorListMetadataILi3EEENS1_32PointwiseOpScalar0dTensorFunctorIN3c107complexIdEELi3ELi2ELi0EEEJSt7dividesIS8_ES8_EEEvT_T0_DpT1_
		.amdhsa_group_segment_fixed_size 0
		.amdhsa_private_segment_fixed_size 0
		.amdhsa_kernarg_size 3424
		.amdhsa_user_sgpr_count 2
		.amdhsa_user_sgpr_dispatch_ptr 0
		.amdhsa_user_sgpr_queue_ptr 0
		.amdhsa_user_sgpr_kernarg_segment_ptr 1
		.amdhsa_user_sgpr_dispatch_id 0
		.amdhsa_user_sgpr_kernarg_preload_length 0
		.amdhsa_user_sgpr_kernarg_preload_offset 0
		.amdhsa_user_sgpr_private_segment_size 0
		.amdhsa_wavefront_size32 1
		.amdhsa_uses_dynamic_stack 0
		.amdhsa_enable_private_segment 0
		.amdhsa_system_sgpr_workgroup_id_x 1
		.amdhsa_system_sgpr_workgroup_id_y 0
		.amdhsa_system_sgpr_workgroup_id_z 0
		.amdhsa_system_sgpr_workgroup_info 0
		.amdhsa_system_vgpr_workitem_id 0
		.amdhsa_next_free_vgpr 66
		.amdhsa_next_free_sgpr 31
		.amdhsa_named_barrier_count 0
		.amdhsa_reserve_vcc 1
		.amdhsa_float_round_mode_32 0
		.amdhsa_float_round_mode_16_64 0
		.amdhsa_float_denorm_mode_32 3
		.amdhsa_float_denorm_mode_16_64 3
		.amdhsa_fp16_overflow 0
		.amdhsa_memory_ordered 1
		.amdhsa_forward_progress 1
		.amdhsa_inst_pref_size 107
		.amdhsa_round_robin_scheduling 0
		.amdhsa_exception_fp_ieee_invalid_op 0
		.amdhsa_exception_fp_denorm_src 0
		.amdhsa_exception_fp_ieee_div_zero 0
		.amdhsa_exception_fp_ieee_overflow 0
		.amdhsa_exception_fp_ieee_underflow 0
		.amdhsa_exception_fp_ieee_inexact 0
		.amdhsa_exception_int_div_zero 0
	.end_amdhsa_kernel
	.section	.text._ZN2at6native12_GLOBAL__N_125multi_tensor_apply_kernelINS1_18TensorListMetadataILi3EEENS1_32PointwiseOpScalar0dTensorFunctorIN3c107complexIdEELi3ELi2ELi0EEEJSt7dividesIS8_ES8_EEEvT_T0_DpT1_,"axG",@progbits,_ZN2at6native12_GLOBAL__N_125multi_tensor_apply_kernelINS1_18TensorListMetadataILi3EEENS1_32PointwiseOpScalar0dTensorFunctorIN3c107complexIdEELi3ELi2ELi0EEEJSt7dividesIS8_ES8_EEEvT_T0_DpT1_,comdat
.Lfunc_end84:
	.size	_ZN2at6native12_GLOBAL__N_125multi_tensor_apply_kernelINS1_18TensorListMetadataILi3EEENS1_32PointwiseOpScalar0dTensorFunctorIN3c107complexIdEELi3ELi2ELi0EEEJSt7dividesIS8_ES8_EEEvT_T0_DpT1_, .Lfunc_end84-_ZN2at6native12_GLOBAL__N_125multi_tensor_apply_kernelINS1_18TensorListMetadataILi3EEENS1_32PointwiseOpScalar0dTensorFunctorIN3c107complexIdEELi3ELi2ELi0EEEJSt7dividesIS8_ES8_EEEvT_T0_DpT1_
                                        ; -- End function
	.set _ZN2at6native12_GLOBAL__N_125multi_tensor_apply_kernelINS1_18TensorListMetadataILi3EEENS1_32PointwiseOpScalar0dTensorFunctorIN3c107complexIdEELi3ELi2ELi0EEEJSt7dividesIS8_ES8_EEEvT_T0_DpT1_.num_vgpr, 66
	.set _ZN2at6native12_GLOBAL__N_125multi_tensor_apply_kernelINS1_18TensorListMetadataILi3EEENS1_32PointwiseOpScalar0dTensorFunctorIN3c107complexIdEELi3ELi2ELi0EEEJSt7dividesIS8_ES8_EEEvT_T0_DpT1_.num_agpr, 0
	.set _ZN2at6native12_GLOBAL__N_125multi_tensor_apply_kernelINS1_18TensorListMetadataILi3EEENS1_32PointwiseOpScalar0dTensorFunctorIN3c107complexIdEELi3ELi2ELi0EEEJSt7dividesIS8_ES8_EEEvT_T0_DpT1_.numbered_sgpr, 31
	.set _ZN2at6native12_GLOBAL__N_125multi_tensor_apply_kernelINS1_18TensorListMetadataILi3EEENS1_32PointwiseOpScalar0dTensorFunctorIN3c107complexIdEELi3ELi2ELi0EEEJSt7dividesIS8_ES8_EEEvT_T0_DpT1_.num_named_barrier, 0
	.set _ZN2at6native12_GLOBAL__N_125multi_tensor_apply_kernelINS1_18TensorListMetadataILi3EEENS1_32PointwiseOpScalar0dTensorFunctorIN3c107complexIdEELi3ELi2ELi0EEEJSt7dividesIS8_ES8_EEEvT_T0_DpT1_.private_seg_size, 0
	.set _ZN2at6native12_GLOBAL__N_125multi_tensor_apply_kernelINS1_18TensorListMetadataILi3EEENS1_32PointwiseOpScalar0dTensorFunctorIN3c107complexIdEELi3ELi2ELi0EEEJSt7dividesIS8_ES8_EEEvT_T0_DpT1_.uses_vcc, 1
	.set _ZN2at6native12_GLOBAL__N_125multi_tensor_apply_kernelINS1_18TensorListMetadataILi3EEENS1_32PointwiseOpScalar0dTensorFunctorIN3c107complexIdEELi3ELi2ELi0EEEJSt7dividesIS8_ES8_EEEvT_T0_DpT1_.uses_flat_scratch, 0
	.set _ZN2at6native12_GLOBAL__N_125multi_tensor_apply_kernelINS1_18TensorListMetadataILi3EEENS1_32PointwiseOpScalar0dTensorFunctorIN3c107complexIdEELi3ELi2ELi0EEEJSt7dividesIS8_ES8_EEEvT_T0_DpT1_.has_dyn_sized_stack, 0
	.set _ZN2at6native12_GLOBAL__N_125multi_tensor_apply_kernelINS1_18TensorListMetadataILi3EEENS1_32PointwiseOpScalar0dTensorFunctorIN3c107complexIdEELi3ELi2ELi0EEEJSt7dividesIS8_ES8_EEEvT_T0_DpT1_.has_recursion, 0
	.set _ZN2at6native12_GLOBAL__N_125multi_tensor_apply_kernelINS1_18TensorListMetadataILi3EEENS1_32PointwiseOpScalar0dTensorFunctorIN3c107complexIdEELi3ELi2ELi0EEEJSt7dividesIS8_ES8_EEEvT_T0_DpT1_.has_indirect_call, 0
	.section	.AMDGPU.csdata,"",@progbits
; Kernel info:
; codeLenInByte = 13664
; TotalNumSgprs: 33
; NumVgprs: 66
; ScratchSize: 0
; MemoryBound: 1
; FloatMode: 240
; IeeeMode: 1
; LDSByteSize: 0 bytes/workgroup (compile time only)
; SGPRBlocks: 0
; VGPRBlocks: 4
; NumSGPRsForWavesPerEU: 33
; NumVGPRsForWavesPerEU: 66
; NamedBarCnt: 0
; Occupancy: 12
; WaveLimiterHint : 0
; COMPUTE_PGM_RSRC2:SCRATCH_EN: 0
; COMPUTE_PGM_RSRC2:USER_SGPR: 2
; COMPUTE_PGM_RSRC2:TRAP_HANDLER: 0
; COMPUTE_PGM_RSRC2:TGID_X_EN: 1
; COMPUTE_PGM_RSRC2:TGID_Y_EN: 0
; COMPUTE_PGM_RSRC2:TGID_Z_EN: 0
; COMPUTE_PGM_RSRC2:TIDIG_COMP_CNT: 0
	.section	.text._ZN2at6native12_GLOBAL__N_125multi_tensor_apply_kernelINS1_18TensorListMetadataILi3EEENS1_32PointwiseOpScalar0dTensorFunctorIN3c107complexIfEELi3ELi2ELi0EEEJSt7dividesIS8_ES8_EEEvT_T0_DpT1_,"axG",@progbits,_ZN2at6native12_GLOBAL__N_125multi_tensor_apply_kernelINS1_18TensorListMetadataILi3EEENS1_32PointwiseOpScalar0dTensorFunctorIN3c107complexIfEELi3ELi2ELi0EEEJSt7dividesIS8_ES8_EEEvT_T0_DpT1_,comdat
	.globl	_ZN2at6native12_GLOBAL__N_125multi_tensor_apply_kernelINS1_18TensorListMetadataILi3EEENS1_32PointwiseOpScalar0dTensorFunctorIN3c107complexIfEELi3ELi2ELi0EEEJSt7dividesIS8_ES8_EEEvT_T0_DpT1_ ; -- Begin function _ZN2at6native12_GLOBAL__N_125multi_tensor_apply_kernelINS1_18TensorListMetadataILi3EEENS1_32PointwiseOpScalar0dTensorFunctorIN3c107complexIfEELi3ELi2ELi0EEEJSt7dividesIS8_ES8_EEEvT_T0_DpT1_
	.p2align	8
	.type	_ZN2at6native12_GLOBAL__N_125multi_tensor_apply_kernelINS1_18TensorListMetadataILi3EEENS1_32PointwiseOpScalar0dTensorFunctorIN3c107complexIfEELi3ELi2ELi0EEEJSt7dividesIS8_ES8_EEEvT_T0_DpT1_,@function
_ZN2at6native12_GLOBAL__N_125multi_tensor_apply_kernelINS1_18TensorListMetadataILi3EEENS1_32PointwiseOpScalar0dTensorFunctorIN3c107complexIfEELi3ELi2ELi0EEEJSt7dividesIS8_ES8_EEEvT_T0_DpT1_: ; @_ZN2at6native12_GLOBAL__N_125multi_tensor_apply_kernelINS1_18TensorListMetadataILi3EEENS1_32PointwiseOpScalar0dTensorFunctorIN3c107complexIfEELi3ELi2ELi0EEEJSt7dividesIS8_ES8_EEEvT_T0_DpT1_
; %bb.0:
	s_bfe_u32 s2, ttmp6, 0x4000c
	s_and_b32 s3, ttmp6, 15
	s_add_co_i32 s2, s2, 1
	s_getreg_b32 s4, hwreg(HW_REG_IB_STS2, 6, 4)
	s_mul_i32 s2, ttmp9, s2
	s_mov_b32 s13, 0
	s_add_co_i32 s3, s3, s2
	s_cmp_eq_u32 s4, 0
	s_cselect_b32 s12, ttmp9, s3
	s_load_u8 s6, s[0:1], s12 offset:0x600
	s_add_nc_u64 s[2:3], s[0:1], s[12:13]
	s_mul_u64 s[4:5], s[12:13], 3
	s_delay_alu instid0(SALU_CYCLE_1)
	s_add_nc_u64 s[2:3], s[2:3], s[4:5]
	s_clause 0x1
	s_load_b32 s8, s[2:3], 0x740
	s_load_b64 s[4:5], s[0:1], 0xc50
	s_wait_kmcnt 0x0
	s_clause 0x3
	s_load_b64 s[10:11], s[0:1], s6 offset:0x180 scale_offset
	s_load_b64 s[14:15], s[0:1], s6 offset:0x300 scale_offset
	;; [unrolled: 1-line block ×4, first 2 shown]
	s_ashr_i32 s9, s8, 31
	s_delay_alu instid0(SALU_CYCLE_1)
	s_lshl_b64 s[2:3], s[8:9], 19
	s_lshl_b64 s[22:23], s[8:9], 16
	s_wait_kmcnt 0x0
	s_add_nc_u64 s[20:21], s[10:11], s[2:3]
	s_add_nc_u64 s[6:7], s[14:15], s[2:3]
	s_load_b64 s[10:11], s[10:11], 0x0
	s_or_b32 s12, s6, s20
	s_add_nc_u64 s[8:9], s[16:17], s[2:3]
	s_and_b32 s12, s12, 31
	s_and_b64 s[20:21], s[8:9], 31
	s_cmp_lg_u32 s12, 0
	s_cselect_b32 s24, -1, 0
	s_and_b32 s12, s18, 3
	s_delay_alu instid0(SALU_CYCLE_1) | instskip(NEXT) | instid1(SALU_CYCLE_1)
	s_or_b64 s[12:13], s[20:21], s[12:13]
	s_cmp_lg_u64 s[12:13], 0
	s_cselect_b32 s12, -1, 0
	s_delay_alu instid0(SALU_CYCLE_1)
	s_or_b32 s20, s24, s12
	s_sub_nc_u64 s[12:13], s[18:19], s[22:23]
	s_and_not1_b32 vcc_lo, exec_lo, s20
	s_mov_b32 s18, -1
	s_cbranch_vccz .LBB85_85
; %bb.1:
	v_min_i64 v[18:19], 0x10000, s[12:13]
	v_dual_mov_b32 v3, 0 :: v_dual_lshlrev_b32 v2, 2, v0
	s_mov_b32 s26, exec_lo
	s_delay_alu instid0(VALU_DEP_1)
	v_cmpx_lt_i64_e64 v[2:3], v[18:19]
	s_cbranch_execz .LBB85_84
; %bb.2:
	s_load_b32 s18, s[0:1], 0xc64
	v_dual_mov_b32 v1, v3 :: v_dual_lshlrev_b32 v2, 5, v0
	s_and_b32 s23, s5, 0x7fffffff
	s_mov_b32 s19, 0
	s_cmp_lg_u32 s23, 0
	s_delay_alu instid0(VALU_DEP_1)
	v_mov_b64_e32 v[22:23], v[0:1]
	s_cselect_b32 s24, -1, 0
	s_cmp_neq_f32 s4, 1.0
	v_add_nc_u64_e32 v[20:21], s[2:3], v[2:3]
	s_wait_kmcnt 0x0
	s_mov_b32 s20, s11
	s_mov_b32 s21, s10
	s_cselect_b32 s2, -1, 0
	s_mov_b32 s22, s5
	s_mov_b32 s23, s4
	;; [unrolled: 1-line block ×3, first 2 shown]
	s_or_b32 s27, s2, s24
	s_mov_b32 s28, s19
	s_and_b32 s18, s18, 0xffff
	s_delay_alu instid0(SALU_CYCLE_1)
	s_lshl_b32 s24, s18, 5
	s_branch .LBB85_5
.LBB85_3:                               ;   in Loop: Header=BB85_5 Depth=1
	s_or_b32 exec_lo, exec_lo, s2
.LBB85_4:                               ;   in Loop: Header=BB85_5 Depth=1
	v_add_nc_u64_e32 v[22:23], s[18:19], v[22:23]
	v_add_nc_u64_e32 v[20:21], s[24:25], v[20:21]
	s_wait_loadcnt 0x0
	v_pk_add_f32 v[8:9], v[8:9], v[28:29]
	v_pk_add_f32 v[6:7], v[6:7], v[26:27]
	;; [unrolled: 1-line block ×4, first 2 shown]
	s_clause 0x1
	global_store_b128 v[24:25], v[6:9], off
	global_store_b128 v[24:25], v[2:5], off offset:16
	v_lshlrev_b64_e32 v[10:11], 2, v[22:23]
	s_delay_alu instid0(VALU_DEP_1)
	v_cmp_ge_i64_e32 vcc_lo, v[10:11], v[18:19]
	s_or_b32 s28, vcc_lo, s28
	s_wait_xcnt 0x0
	s_and_not1_b32 exec_lo, exec_lo, s28
	s_cbranch_execz .LBB85_84
.LBB85_5:                               ; =>This Inner Loop Header: Depth=1
	v_add_nc_u64_e32 v[26:27], s[14:15], v[20:21]
	v_add_nc_u64_e32 v[24:25], s[16:17], v[20:21]
	s_mov_b32 s3, -1
	s_clause 0x1
	global_load_b128 v[14:17], v[26:27], off
	global_load_b128 v[10:13], v[26:27], off offset:16
	s_clause 0x1
	global_load_b128 v[2:5], v[24:25], off offset:16
	global_load_b128 v[6:9], v[24:25], off
                                        ; implicit-def: $vgpr27
	s_wait_loadcnt 0x3
	v_cmp_gt_f32_e32 vcc_lo, 0, v15
	v_cndmask_b32_e64 v1, v15, -v15, vcc_lo
	v_cmp_gt_f32_e32 vcc_lo, 0, v14
	v_cndmask_b32_e64 v28, v14, -v14, vcc_lo
	s_and_b32 vcc_lo, exec_lo, s27
	s_delay_alu instid0(VALU_DEP_1)
	v_cmp_ge_f32_e64 s2, v28, v1
	s_cbranch_vccz .LBB85_15
; %bb.6:                                ;   in Loop: Header=BB85_5 Depth=1
                                        ; implicit-def: $vgpr26_vgpr27
	s_wait_xcnt 0x0
	s_and_saveexec_b32 s3, s2
	s_delay_alu instid0(SALU_CYCLE_1)
	s_xor_b32 s29, exec_lo, s3
	s_cbranch_execz .LBB85_12
; %bb.7:                                ;   in Loop: Header=BB85_5 Depth=1
	v_cmp_neq_f32_e32 vcc_lo, 0, v14
	v_cmp_neq_f32_e64 s3, 0, v15
                                        ; implicit-def: $vgpr26_vgpr27
	s_or_b32 s3, vcc_lo, s3
	s_delay_alu instid0(SALU_CYCLE_1) | instskip(NEXT) | instid1(SALU_CYCLE_1)
	s_and_saveexec_b32 s30, s3
	s_xor_b32 s3, exec_lo, s30
	s_cbranch_execz .LBB85_9
; %bb.8:                                ;   in Loop: Header=BB85_5 Depth=1
	v_div_scale_f32 v26, null, v14, v14, v15
	v_div_scale_f32 v30, vcc_lo, v15, v14, v15
	s_delay_alu instid0(VALU_DEP_2) | instskip(SKIP_1) | instid1(TRANS32_DEP_1)
	v_rcp_f32_e32 v27, v26
	v_nop
	v_fma_f32 v29, -v26, v27, 1.0
	s_delay_alu instid0(VALU_DEP_1) | instskip(NEXT) | instid1(VALU_DEP_1)
	v_fmac_f32_e32 v27, v29, v27
	v_mul_f32_e32 v29, v30, v27
	s_delay_alu instid0(VALU_DEP_1) | instskip(NEXT) | instid1(VALU_DEP_1)
	v_fma_f32 v31, -v26, v29, v30
	v_fmac_f32_e32 v29, v31, v27
	s_delay_alu instid0(VALU_DEP_1) | instskip(NEXT) | instid1(VALU_DEP_1)
	v_fma_f32 v26, -v26, v29, v30
	v_div_fmas_f32 v26, v26, v27, v29
	s_delay_alu instid0(VALU_DEP_1) | instskip(NEXT) | instid1(VALU_DEP_1)
	v_div_fixup_f32 v26, v26, v14, v15
	v_fma_f32 v29, v15, v26, v14
	s_delay_alu instid0(VALU_DEP_1) | instskip(SKIP_1) | instid1(VALU_DEP_2)
	v_div_scale_f32 v27, null, v29, v29, 1.0
	v_div_scale_f32 v32, vcc_lo, 1.0, v29, 1.0
	v_rcp_f32_e32 v34, v27
	v_nop
	s_delay_alu instid0(TRANS32_DEP_1) | instskip(NEXT) | instid1(VALU_DEP_1)
	v_fma_f32 v30, -v27, v34, 1.0
	v_fmac_f32_e32 v34, v30, v34
	s_delay_alu instid0(VALU_DEP_1) | instskip(NEXT) | instid1(VALU_DEP_1)
	v_mul_f32_e32 v35, v32, v34
	v_fma_f32 v30, -v27, v35, v32
	s_delay_alu instid0(VALU_DEP_1) | instskip(SKIP_1) | instid1(VALU_DEP_2)
	v_fmac_f32_e32 v35, v30, v34
	v_mov_b64_e32 v[30:31], s[10:11]
	v_fma_f32 v27, -v27, v35, v32
	v_mov_b64_e32 v[32:33], s[20:21]
	s_delay_alu instid0(VALU_DEP_2) | instskip(NEXT) | instid1(VALU_DEP_2)
	v_div_fmas_f32 v36, v27, v34, v35
	v_pk_fma_f32 v[34:35], v[26:27], v[32:33], v[30:31] op_sel_hi:[0,1,1] neg_lo:[1,0,0] neg_hi:[1,0,0]
	v_pk_fma_f32 v[26:27], v[26:27], v[32:33], v[30:31]
	s_delay_alu instid0(VALU_DEP_3) | instskip(NEXT) | instid1(VALU_DEP_3)
	v_div_fixup_f32 v30, v36, v29, 1.0
	v_mov_b32_e32 v27, v35
	s_delay_alu instid0(VALU_DEP_1)
	v_pk_mul_f32 v[26:27], v[26:27], v[30:31] op_sel_hi:[1,0]
.LBB85_9:                               ;   in Loop: Header=BB85_5 Depth=1
	s_and_not1_saveexec_b32 s30, s3
	s_cbranch_execz .LBB85_11
; %bb.10:                               ;   in Loop: Header=BB85_5 Depth=1
	v_div_scale_f32 v26, null, v1, v1, s11
	v_div_scale_f32 v27, null, v28, v28, s10
	v_div_scale_f32 v33, vcc_lo, s11, v1, s11
	s_delay_alu instid0(VALU_DEP_3) | instskip(NEXT) | instid1(VALU_DEP_2)
	v_rcp_f32_e32 v29, v26
	v_rcp_f32_e32 v30, v27
	s_delay_alu instid0(TRANS32_DEP_2) | instskip(NEXT) | instid1(TRANS32_DEP_1)
	v_fma_f32 v31, -v26, v29, 1.0
	v_fma_f32 v32, -v27, v30, 1.0
	s_delay_alu instid0(VALU_DEP_1) | instskip(SKIP_1) | instid1(VALU_DEP_1)
	v_dual_fmac_f32 v29, v31, v29 :: v_dual_fmac_f32 v30, v32, v30
	v_div_scale_f32 v31, s3, s10, v28, s10
	v_dual_mul_f32 v32, v33, v29 :: v_dual_mul_f32 v34, v31, v30
	s_delay_alu instid0(VALU_DEP_1) | instskip(NEXT) | instid1(VALU_DEP_1)
	v_dual_fma_f32 v35, -v26, v32, v33 :: v_dual_fma_f32 v36, -v27, v34, v31
	v_dual_fmac_f32 v32, v35, v29 :: v_dual_fmac_f32 v34, v36, v30
	s_delay_alu instid0(VALU_DEP_1) | instskip(NEXT) | instid1(VALU_DEP_1)
	v_dual_fma_f32 v26, -v26, v32, v33 :: v_dual_fma_f32 v27, -v27, v34, v31
	v_div_fmas_f32 v26, v26, v29, v32
	s_mov_b32 vcc_lo, s3
	s_delay_alu instid0(VALU_DEP_2) | instskip(NEXT) | instid1(VALU_DEP_2)
	v_div_fmas_f32 v29, v27, v30, v34
	v_div_fixup_f32 v27, v26, v1, s11
	s_delay_alu instid0(VALU_DEP_2)
	v_div_fixup_f32 v26, v29, v28, s10
.LBB85_11:                              ;   in Loop: Header=BB85_5 Depth=1
	s_or_b32 exec_lo, exec_lo, s30
.LBB85_12:                              ;   in Loop: Header=BB85_5 Depth=1
	s_and_not1_saveexec_b32 s3, s29
	s_cbranch_execz .LBB85_14
; %bb.13:                               ;   in Loop: Header=BB85_5 Depth=1
	v_div_scale_f32 v26, null, v15, v15, v14
	v_div_scale_f32 v30, vcc_lo, v14, v15, v14
	s_delay_alu instid0(VALU_DEP_2) | instskip(SKIP_1) | instid1(TRANS32_DEP_1)
	v_rcp_f32_e32 v27, v26
	v_nop
	v_fma_f32 v29, -v26, v27, 1.0
	s_delay_alu instid0(VALU_DEP_1) | instskip(NEXT) | instid1(VALU_DEP_1)
	v_fmac_f32_e32 v27, v29, v27
	v_mul_f32_e32 v29, v30, v27
	s_delay_alu instid0(VALU_DEP_1) | instskip(NEXT) | instid1(VALU_DEP_1)
	v_fma_f32 v31, -v26, v29, v30
	v_fmac_f32_e32 v29, v31, v27
	s_delay_alu instid0(VALU_DEP_1) | instskip(NEXT) | instid1(VALU_DEP_1)
	v_fma_f32 v26, -v26, v29, v30
	v_div_fmas_f32 v26, v26, v27, v29
	s_delay_alu instid0(VALU_DEP_1) | instskip(NEXT) | instid1(VALU_DEP_1)
	v_div_fixup_f32 v26, v26, v15, v14
	v_fma_f32 v29, v14, v26, v15
	s_delay_alu instid0(VALU_DEP_1) | instskip(SKIP_1) | instid1(VALU_DEP_2)
	v_div_scale_f32 v27, null, v29, v29, 1.0
	v_div_scale_f32 v32, vcc_lo, 1.0, v29, 1.0
	v_rcp_f32_e32 v34, v27
	v_nop
	s_delay_alu instid0(TRANS32_DEP_1) | instskip(NEXT) | instid1(VALU_DEP_1)
	v_fma_f32 v30, -v27, v34, 1.0
	v_fmac_f32_e32 v34, v30, v34
	s_delay_alu instid0(VALU_DEP_1) | instskip(NEXT) | instid1(VALU_DEP_1)
	v_mul_f32_e32 v35, v32, v34
	v_fma_f32 v30, -v27, v35, v32
	s_delay_alu instid0(VALU_DEP_1) | instskip(SKIP_1) | instid1(VALU_DEP_2)
	v_fmac_f32_e32 v35, v30, v34
	v_mov_b64_e32 v[30:31], s[20:21]
	v_fma_f32 v27, -v27, v35, v32
	v_mov_b64_e32 v[32:33], s[10:11]
	s_delay_alu instid0(VALU_DEP_2) | instskip(NEXT) | instid1(VALU_DEP_2)
	v_div_fmas_f32 v36, v27, v34, v35
	v_pk_fma_f32 v[34:35], v[26:27], v[32:33], v[30:31] op_sel_hi:[0,1,1] neg_lo:[0,0,1] neg_hi:[0,0,1]
	v_pk_fma_f32 v[26:27], v[26:27], v[32:33], v[30:31]
	s_delay_alu instid0(VALU_DEP_3) | instskip(NEXT) | instid1(VALU_DEP_3)
	v_div_fixup_f32 v30, v36, v29, 1.0
	v_mov_b32_e32 v27, v35
	s_delay_alu instid0(VALU_DEP_1)
	v_pk_mul_f32 v[26:27], v[26:27], v[30:31] op_sel_hi:[1,0]
.LBB85_14:                              ;   in Loop: Header=BB85_5 Depth=1
	s_or_b32 exec_lo, exec_lo, s3
	v_mov_b64_e32 v[30:31], s[22:23]
	v_mov_b64_e32 v[32:33], s[4:5]
	s_mov_b32 s3, 0
	s_delay_alu instid0(VALU_DEP_2) | instskip(NEXT) | instid1(VALU_DEP_2)
	v_pk_mul_f32 v[30:31], v[26:27], v[30:31] op_sel:[1,0]
	v_pk_mul_f32 v[34:35], v[26:27], v[32:33] op_sel_hi:[0,1]
	s_delay_alu instid0(VALU_DEP_2) | instskip(NEXT) | instid1(VALU_DEP_2)
	v_pk_fma_f32 v[26:27], v[26:27], v[32:33], v[30:31] op_sel_hi:[0,1,1]
	v_sub_f32_e32 v26, v34, v30
.LBB85_15:                              ;   in Loop: Header=BB85_5 Depth=1
	s_and_b32 vcc_lo, exec_lo, s3
	s_cbranch_vccz .LBB85_25
; %bb.16:                               ;   in Loop: Header=BB85_5 Depth=1
                                        ; implicit-def: $vgpr27
	s_wait_xcnt 0x0
	s_and_saveexec_b32 s3, s2
	s_delay_alu instid0(SALU_CYCLE_1)
	s_xor_b32 s3, exec_lo, s3
	s_cbranch_execz .LBB85_22
; %bb.17:                               ;   in Loop: Header=BB85_5 Depth=1
	v_cmp_neq_f32_e32 vcc_lo, 0, v14
	v_cmp_neq_f32_e64 s2, 0, v15
                                        ; implicit-def: $vgpr27
	s_or_b32 s2, vcc_lo, s2
	s_delay_alu instid0(SALU_CYCLE_1) | instskip(NEXT) | instid1(SALU_CYCLE_1)
	s_and_saveexec_b32 s29, s2
	s_xor_b32 s2, exec_lo, s29
	s_cbranch_execz .LBB85_19
; %bb.18:                               ;   in Loop: Header=BB85_5 Depth=1
	v_div_scale_f32 v1, null, v14, v14, v15
	v_div_scale_f32 v28, vcc_lo, v15, v14, v15
	s_delay_alu instid0(VALU_DEP_2) | instskip(SKIP_1) | instid1(TRANS32_DEP_1)
	v_rcp_f32_e32 v26, v1
	v_nop
	v_fma_f32 v27, -v1, v26, 1.0
	s_delay_alu instid0(VALU_DEP_1) | instskip(NEXT) | instid1(VALU_DEP_1)
	v_fmac_f32_e32 v26, v27, v26
	v_mul_f32_e32 v27, v28, v26
	s_delay_alu instid0(VALU_DEP_1) | instskip(NEXT) | instid1(VALU_DEP_1)
	v_fma_f32 v29, -v1, v27, v28
	v_fmac_f32_e32 v27, v29, v26
	s_delay_alu instid0(VALU_DEP_1) | instskip(NEXT) | instid1(VALU_DEP_1)
	v_fma_f32 v1, -v1, v27, v28
	v_div_fmas_f32 v1, v1, v26, v27
	s_delay_alu instid0(VALU_DEP_1) | instskip(NEXT) | instid1(VALU_DEP_1)
	v_div_fixup_f32 v26, v1, v14, v15
	v_fma_f32 v1, v15, v26, v14
	s_delay_alu instid0(VALU_DEP_1) | instskip(SKIP_1) | instid1(VALU_DEP_2)
	v_div_scale_f32 v27, null, v1, v1, 1.0
	v_div_scale_f32 v30, vcc_lo, 1.0, v1, 1.0
	v_rcp_f32_e32 v32, v27
	v_nop
	s_delay_alu instid0(TRANS32_DEP_1) | instskip(NEXT) | instid1(VALU_DEP_1)
	v_fma_f32 v28, -v27, v32, 1.0
	v_fmac_f32_e32 v32, v28, v32
	s_delay_alu instid0(VALU_DEP_1) | instskip(NEXT) | instid1(VALU_DEP_1)
	v_mul_f32_e32 v33, v30, v32
	v_fma_f32 v28, -v27, v33, v30
	s_delay_alu instid0(VALU_DEP_1) | instskip(SKIP_1) | instid1(VALU_DEP_2)
	v_fmac_f32_e32 v33, v28, v32
	v_mov_b64_e32 v[28:29], s[10:11]
	v_fma_f32 v27, -v27, v33, v30
	v_mov_b64_e32 v[30:31], s[20:21]
	s_delay_alu instid0(VALU_DEP_2) | instskip(NEXT) | instid1(VALU_DEP_2)
	v_div_fmas_f32 v34, v27, v32, v33
	v_pk_fma_f32 v[32:33], v[26:27], v[30:31], v[28:29] op_sel_hi:[0,1,1] neg_lo:[1,0,0] neg_hi:[1,0,0]
	v_pk_fma_f32 v[26:27], v[26:27], v[30:31], v[28:29]
	s_delay_alu instid0(VALU_DEP_3) | instskip(NEXT) | instid1(VALU_DEP_3)
	v_div_fixup_f32 v28, v34, v1, 1.0
                                        ; implicit-def: $vgpr1
	v_mov_b32_e32 v27, v33
	s_delay_alu instid0(VALU_DEP_1)
	v_pk_mul_f32 v[26:27], v[26:27], v[28:29] op_sel_hi:[1,0]
                                        ; implicit-def: $vgpr28
.LBB85_19:                              ;   in Loop: Header=BB85_5 Depth=1
	s_and_not1_saveexec_b32 s29, s2
	s_cbranch_execz .LBB85_21
; %bb.20:                               ;   in Loop: Header=BB85_5 Depth=1
	v_div_scale_f32 v26, null, v28, v28, s10
	v_div_scale_f32 v27, null, v1, v1, s11
	v_div_scale_f32 v33, vcc_lo, s10, v28, s10
	s_delay_alu instid0(VALU_DEP_3) | instskip(NEXT) | instid1(VALU_DEP_2)
	v_rcp_f32_e32 v29, v26
	v_rcp_f32_e32 v30, v27
	s_delay_alu instid0(TRANS32_DEP_2) | instskip(NEXT) | instid1(TRANS32_DEP_1)
	v_fma_f32 v31, -v26, v29, 1.0
	v_fma_f32 v32, -v27, v30, 1.0
	s_delay_alu instid0(VALU_DEP_1) | instskip(SKIP_1) | instid1(VALU_DEP_1)
	v_dual_fmac_f32 v29, v31, v29 :: v_dual_fmac_f32 v30, v32, v30
	v_div_scale_f32 v31, s2, s11, v1, s11
	v_dual_mul_f32 v32, v33, v29 :: v_dual_mul_f32 v34, v31, v30
	s_delay_alu instid0(VALU_DEP_1) | instskip(NEXT) | instid1(VALU_DEP_1)
	v_dual_fma_f32 v35, -v26, v32, v33 :: v_dual_fma_f32 v36, -v27, v34, v31
	v_dual_fmac_f32 v32, v35, v29 :: v_dual_fmac_f32 v34, v36, v30
	s_delay_alu instid0(VALU_DEP_1) | instskip(NEXT) | instid1(VALU_DEP_1)
	v_dual_fma_f32 v26, -v26, v32, v33 :: v_dual_fma_f32 v27, -v27, v34, v31
	v_div_fmas_f32 v26, v26, v29, v32
	s_mov_b32 vcc_lo, s2
	s_delay_alu instid0(VALU_DEP_2) | instskip(NEXT) | instid1(VALU_DEP_2)
	v_div_fmas_f32 v27, v27, v30, v34
	v_div_fixup_f32 v26, v26, v28, s10
	s_delay_alu instid0(VALU_DEP_2)
	v_div_fixup_f32 v27, v27, v1, s11
.LBB85_21:                              ;   in Loop: Header=BB85_5 Depth=1
	s_or_b32 exec_lo, exec_lo, s29
.LBB85_22:                              ;   in Loop: Header=BB85_5 Depth=1
	s_and_not1_saveexec_b32 s2, s3
	s_cbranch_execz .LBB85_24
; %bb.23:                               ;   in Loop: Header=BB85_5 Depth=1
	v_div_scale_f32 v1, null, v15, v15, v14
	v_div_scale_f32 v28, vcc_lo, v14, v15, v14
	s_delay_alu instid0(VALU_DEP_2) | instskip(SKIP_1) | instid1(TRANS32_DEP_1)
	v_rcp_f32_e32 v26, v1
	v_nop
	v_fma_f32 v27, -v1, v26, 1.0
	s_delay_alu instid0(VALU_DEP_1) | instskip(NEXT) | instid1(VALU_DEP_1)
	v_fmac_f32_e32 v26, v27, v26
	v_mul_f32_e32 v27, v28, v26
	s_delay_alu instid0(VALU_DEP_1) | instskip(NEXT) | instid1(VALU_DEP_1)
	v_fma_f32 v29, -v1, v27, v28
	v_fmac_f32_e32 v27, v29, v26
	s_delay_alu instid0(VALU_DEP_1) | instskip(NEXT) | instid1(VALU_DEP_1)
	v_fma_f32 v1, -v1, v27, v28
	v_div_fmas_f32 v1, v1, v26, v27
	s_delay_alu instid0(VALU_DEP_1) | instskip(NEXT) | instid1(VALU_DEP_1)
	v_div_fixup_f32 v26, v1, v15, v14
	v_fma_f32 v1, v14, v26, v15
	s_delay_alu instid0(VALU_DEP_1) | instskip(SKIP_1) | instid1(VALU_DEP_2)
	v_div_scale_f32 v27, null, v1, v1, 1.0
	v_div_scale_f32 v28, vcc_lo, 1.0, v1, 1.0
	v_rcp_f32_e32 v30, v27
	v_nop
	s_delay_alu instid0(TRANS32_DEP_1) | instskip(NEXT) | instid1(VALU_DEP_1)
	v_fma_f32 v14, -v27, v30, 1.0
	v_fmac_f32_e32 v30, v14, v30
	s_delay_alu instid0(VALU_DEP_1) | instskip(NEXT) | instid1(VALU_DEP_1)
	v_mul_f32_e32 v31, v28, v30
	v_fma_f32 v14, -v27, v31, v28
	s_delay_alu instid0(VALU_DEP_1) | instskip(SKIP_1) | instid1(VALU_DEP_2)
	v_fmac_f32_e32 v31, v14, v30
	v_mov_b64_e32 v[14:15], s[20:21]
	v_fma_f32 v27, -v27, v31, v28
	v_mov_b64_e32 v[28:29], s[10:11]
	s_delay_alu instid0(VALU_DEP_2) | instskip(NEXT) | instid1(VALU_DEP_1)
	v_div_fmas_f32 v27, v27, v30, v31
	v_pk_fma_f32 v[30:31], v[26:27], v[28:29], v[14:15] op_sel_hi:[0,1,1] neg_lo:[0,0,1] neg_hi:[0,0,1]
	v_pk_fma_f32 v[14:15], v[26:27], v[28:29], v[14:15]
	v_div_fixup_f32 v26, v27, v1, 1.0
	s_delay_alu instid0(VALU_DEP_3) | instskip(NEXT) | instid1(VALU_DEP_1)
	v_mov_b32_e32 v15, v31
	v_pk_mul_f32 v[26:27], v[14:15], v[26:27] op_sel_hi:[1,0]
.LBB85_24:                              ;   in Loop: Header=BB85_5 Depth=1
	s_or_b32 exec_lo, exec_lo, s2
.LBB85_25:                              ;   in Loop: Header=BB85_5 Depth=1
	v_cmp_gt_f32_e32 vcc_lo, 0, v17
	s_mov_b32 s3, -1
                                        ; implicit-def: $vgpr29
	v_cndmask_b32_e64 v1, v17, -v17, vcc_lo
	v_cmp_gt_f32_e32 vcc_lo, 0, v16
	v_cndmask_b32_e64 v30, v16, -v16, vcc_lo
	s_and_not1_b32 vcc_lo, exec_lo, s27
	s_delay_alu instid0(VALU_DEP_1)
	v_cmp_ge_f32_e64 s2, v30, v1
	s_cbranch_vccnz .LBB85_35
; %bb.26:                               ;   in Loop: Header=BB85_5 Depth=1
                                        ; implicit-def: $vgpr14_vgpr15
	s_wait_xcnt 0x0
	s_and_saveexec_b32 s3, s2
	s_delay_alu instid0(SALU_CYCLE_1)
	s_xor_b32 s29, exec_lo, s3
	s_cbranch_execz .LBB85_32
; %bb.27:                               ;   in Loop: Header=BB85_5 Depth=1
	v_cmp_neq_f32_e32 vcc_lo, 0, v16
	v_cmp_neq_f32_e64 s3, 0, v17
                                        ; implicit-def: $vgpr14_vgpr15
	s_or_b32 s3, vcc_lo, s3
	s_delay_alu instid0(SALU_CYCLE_1) | instskip(NEXT) | instid1(SALU_CYCLE_1)
	s_and_saveexec_b32 s30, s3
	s_xor_b32 s3, exec_lo, s30
	s_cbranch_execz .LBB85_29
; %bb.28:                               ;   in Loop: Header=BB85_5 Depth=1
	v_div_scale_f32 v14, null, v16, v16, v17
	v_div_scale_f32 v29, vcc_lo, v17, v16, v17
	s_delay_alu instid0(VALU_DEP_2) | instskip(SKIP_1) | instid1(TRANS32_DEP_1)
	v_rcp_f32_e32 v15, v14
	v_nop
	v_fma_f32 v28, -v14, v15, 1.0
	s_delay_alu instid0(VALU_DEP_1) | instskip(NEXT) | instid1(VALU_DEP_1)
	v_fmac_f32_e32 v15, v28, v15
	v_mul_f32_e32 v28, v29, v15
	s_delay_alu instid0(VALU_DEP_1) | instskip(NEXT) | instid1(VALU_DEP_1)
	v_fma_f32 v31, -v14, v28, v29
	v_fmac_f32_e32 v28, v31, v15
	s_delay_alu instid0(VALU_DEP_1) | instskip(NEXT) | instid1(VALU_DEP_1)
	v_fma_f32 v14, -v14, v28, v29
	v_div_fmas_f32 v14, v14, v15, v28
	s_delay_alu instid0(VALU_DEP_1) | instskip(NEXT) | instid1(VALU_DEP_1)
	v_div_fixup_f32 v14, v14, v16, v17
	v_fma_f32 v31, v17, v14, v16
	s_delay_alu instid0(VALU_DEP_1) | instskip(SKIP_1) | instid1(VALU_DEP_2)
	v_div_scale_f32 v15, null, v31, v31, 1.0
	v_div_scale_f32 v32, vcc_lo, 1.0, v31, 1.0
	v_rcp_f32_e32 v34, v15
	v_nop
	s_delay_alu instid0(TRANS32_DEP_1) | instskip(NEXT) | instid1(VALU_DEP_1)
	v_fma_f32 v28, -v15, v34, 1.0
	v_fmac_f32_e32 v34, v28, v34
	s_delay_alu instid0(VALU_DEP_1) | instskip(NEXT) | instid1(VALU_DEP_1)
	v_mul_f32_e32 v35, v32, v34
	v_fma_f32 v28, -v15, v35, v32
	s_delay_alu instid0(VALU_DEP_1) | instskip(SKIP_1) | instid1(VALU_DEP_2)
	v_fmac_f32_e32 v35, v28, v34
	v_mov_b64_e32 v[28:29], s[10:11]
	v_fma_f32 v15, -v15, v35, v32
	v_mov_b64_e32 v[32:33], s[20:21]
	s_delay_alu instid0(VALU_DEP_2) | instskip(NEXT) | instid1(VALU_DEP_2)
	v_div_fmas_f32 v36, v15, v34, v35
	v_pk_fma_f32 v[34:35], v[14:15], v[32:33], v[28:29] op_sel_hi:[0,1,1] neg_lo:[1,0,0] neg_hi:[1,0,0]
	v_pk_fma_f32 v[14:15], v[14:15], v[32:33], v[28:29]
	s_delay_alu instid0(VALU_DEP_2) | instskip(NEXT) | instid1(VALU_DEP_4)
	v_mov_b32_e32 v15, v35
	v_div_fixup_f32 v28, v36, v31, 1.0
	s_delay_alu instid0(VALU_DEP_1)
	v_pk_mul_f32 v[14:15], v[14:15], v[28:29] op_sel_hi:[1,0]
.LBB85_29:                              ;   in Loop: Header=BB85_5 Depth=1
	s_and_not1_saveexec_b32 s30, s3
	s_cbranch_execz .LBB85_31
; %bb.30:                               ;   in Loop: Header=BB85_5 Depth=1
	v_div_scale_f32 v14, null, v1, v1, s11
	v_div_scale_f32 v15, null, v30, v30, s10
	v_div_scale_f32 v33, vcc_lo, s11, v1, s11
	s_delay_alu instid0(VALU_DEP_3) | instskip(NEXT) | instid1(VALU_DEP_2)
	v_rcp_f32_e32 v28, v14
	v_rcp_f32_e32 v29, v15
	s_delay_alu instid0(TRANS32_DEP_2) | instskip(NEXT) | instid1(TRANS32_DEP_1)
	v_fma_f32 v31, -v14, v28, 1.0
	v_fma_f32 v32, -v15, v29, 1.0
	s_delay_alu instid0(VALU_DEP_1) | instskip(SKIP_1) | instid1(VALU_DEP_1)
	v_dual_fmac_f32 v28, v31, v28 :: v_dual_fmac_f32 v29, v32, v29
	v_div_scale_f32 v31, s3, s10, v30, s10
	v_dual_mul_f32 v32, v33, v28 :: v_dual_mul_f32 v34, v31, v29
	s_delay_alu instid0(VALU_DEP_1) | instskip(NEXT) | instid1(VALU_DEP_1)
	v_dual_fma_f32 v35, -v14, v32, v33 :: v_dual_fma_f32 v36, -v15, v34, v31
	v_dual_fmac_f32 v32, v35, v28 :: v_dual_fmac_f32 v34, v36, v29
	s_delay_alu instid0(VALU_DEP_1) | instskip(NEXT) | instid1(VALU_DEP_1)
	v_dual_fma_f32 v14, -v14, v32, v33 :: v_dual_fma_f32 v15, -v15, v34, v31
	v_div_fmas_f32 v14, v14, v28, v32
	s_mov_b32 vcc_lo, s3
	s_delay_alu instid0(VALU_DEP_2) | instskip(NEXT) | instid1(VALU_DEP_2)
	v_div_fmas_f32 v28, v15, v29, v34
	v_div_fixup_f32 v15, v14, v1, s11
	s_delay_alu instid0(VALU_DEP_2)
	v_div_fixup_f32 v14, v28, v30, s10
.LBB85_31:                              ;   in Loop: Header=BB85_5 Depth=1
	s_or_b32 exec_lo, exec_lo, s30
.LBB85_32:                              ;   in Loop: Header=BB85_5 Depth=1
	s_and_not1_saveexec_b32 s3, s29
	s_cbranch_execz .LBB85_34
; %bb.33:                               ;   in Loop: Header=BB85_5 Depth=1
	v_div_scale_f32 v14, null, v17, v17, v16
	v_div_scale_f32 v29, vcc_lo, v16, v17, v16
	s_delay_alu instid0(VALU_DEP_2) | instskip(SKIP_1) | instid1(TRANS32_DEP_1)
	v_rcp_f32_e32 v15, v14
	v_nop
	v_fma_f32 v28, -v14, v15, 1.0
	s_delay_alu instid0(VALU_DEP_1) | instskip(NEXT) | instid1(VALU_DEP_1)
	v_fmac_f32_e32 v15, v28, v15
	v_mul_f32_e32 v28, v29, v15
	s_delay_alu instid0(VALU_DEP_1) | instskip(NEXT) | instid1(VALU_DEP_1)
	v_fma_f32 v31, -v14, v28, v29
	v_fmac_f32_e32 v28, v31, v15
	s_delay_alu instid0(VALU_DEP_1) | instskip(NEXT) | instid1(VALU_DEP_1)
	v_fma_f32 v14, -v14, v28, v29
	v_div_fmas_f32 v14, v14, v15, v28
	s_delay_alu instid0(VALU_DEP_1) | instskip(NEXT) | instid1(VALU_DEP_1)
	v_div_fixup_f32 v14, v14, v17, v16
	v_fma_f32 v31, v16, v14, v17
	s_delay_alu instid0(VALU_DEP_1) | instskip(SKIP_1) | instid1(VALU_DEP_2)
	v_div_scale_f32 v15, null, v31, v31, 1.0
	v_div_scale_f32 v32, vcc_lo, 1.0, v31, 1.0
	v_rcp_f32_e32 v34, v15
	v_nop
	s_delay_alu instid0(TRANS32_DEP_1) | instskip(NEXT) | instid1(VALU_DEP_1)
	v_fma_f32 v28, -v15, v34, 1.0
	v_fmac_f32_e32 v34, v28, v34
	s_delay_alu instid0(VALU_DEP_1) | instskip(NEXT) | instid1(VALU_DEP_1)
	v_mul_f32_e32 v35, v32, v34
	v_fma_f32 v28, -v15, v35, v32
	s_delay_alu instid0(VALU_DEP_1) | instskip(SKIP_1) | instid1(VALU_DEP_2)
	v_fmac_f32_e32 v35, v28, v34
	v_mov_b64_e32 v[28:29], s[20:21]
	v_fma_f32 v15, -v15, v35, v32
	v_mov_b64_e32 v[32:33], s[10:11]
	s_delay_alu instid0(VALU_DEP_2) | instskip(NEXT) | instid1(VALU_DEP_2)
	v_div_fmas_f32 v36, v15, v34, v35
	v_pk_fma_f32 v[34:35], v[14:15], v[32:33], v[28:29] op_sel_hi:[0,1,1] neg_lo:[0,0,1] neg_hi:[0,0,1]
	v_pk_fma_f32 v[14:15], v[14:15], v[32:33], v[28:29]
	s_delay_alu instid0(VALU_DEP_3) | instskip(NEXT) | instid1(VALU_DEP_3)
	v_div_fixup_f32 v28, v36, v31, 1.0
	v_mov_b32_e32 v15, v35
	s_delay_alu instid0(VALU_DEP_1)
	v_pk_mul_f32 v[14:15], v[14:15], v[28:29] op_sel_hi:[1,0]
.LBB85_34:                              ;   in Loop: Header=BB85_5 Depth=1
	s_or_b32 exec_lo, exec_lo, s3
	v_mov_b64_e32 v[28:29], s[22:23]
	v_mov_b64_e32 v[32:33], s[4:5]
	s_mov_b32 s3, 0
	s_delay_alu instid0(VALU_DEP_2) | instskip(NEXT) | instid1(VALU_DEP_2)
	v_pk_mul_f32 v[34:35], v[14:15], v[28:29] op_sel:[1,0]
	v_pk_mul_f32 v[36:37], v[14:15], v[32:33] op_sel_hi:[0,1]
	s_delay_alu instid0(VALU_DEP_2) | instskip(NEXT) | instid1(VALU_DEP_2)
	v_pk_fma_f32 v[28:29], v[14:15], v[32:33], v[34:35] op_sel_hi:[0,1,1]
	v_sub_f32_e32 v28, v36, v34
.LBB85_35:                              ;   in Loop: Header=BB85_5 Depth=1
	s_and_b32 vcc_lo, exec_lo, s3
	s_cbranch_vccz .LBB85_45
; %bb.36:                               ;   in Loop: Header=BB85_5 Depth=1
                                        ; implicit-def: $vgpr29
	s_wait_xcnt 0x0
	s_and_saveexec_b32 s3, s2
	s_delay_alu instid0(SALU_CYCLE_1)
	s_xor_b32 s3, exec_lo, s3
	s_cbranch_execz .LBB85_42
; %bb.37:                               ;   in Loop: Header=BB85_5 Depth=1
	v_cmp_neq_f32_e32 vcc_lo, 0, v16
	v_cmp_neq_f32_e64 s2, 0, v17
                                        ; implicit-def: $vgpr29
	s_or_b32 s2, vcc_lo, s2
	s_delay_alu instid0(SALU_CYCLE_1) | instskip(NEXT) | instid1(SALU_CYCLE_1)
	s_and_saveexec_b32 s29, s2
	s_xor_b32 s2, exec_lo, s29
	s_cbranch_execz .LBB85_39
; %bb.38:                               ;   in Loop: Header=BB85_5 Depth=1
	v_div_scale_f32 v1, null, v16, v16, v17
	v_div_scale_f32 v28, vcc_lo, v17, v16, v17
	s_delay_alu instid0(VALU_DEP_2) | instskip(SKIP_1) | instid1(TRANS32_DEP_1)
	v_rcp_f32_e32 v14, v1
	v_nop
	v_fma_f32 v15, -v1, v14, 1.0
	s_delay_alu instid0(VALU_DEP_1) | instskip(NEXT) | instid1(VALU_DEP_1)
	v_fmac_f32_e32 v14, v15, v14
	v_mul_f32_e32 v15, v28, v14
	s_delay_alu instid0(VALU_DEP_1) | instskip(NEXT) | instid1(VALU_DEP_1)
	v_fma_f32 v29, -v1, v15, v28
	v_fmac_f32_e32 v15, v29, v14
	s_delay_alu instid0(VALU_DEP_1) | instskip(NEXT) | instid1(VALU_DEP_1)
	v_fma_f32 v1, -v1, v15, v28
	v_div_fmas_f32 v1, v1, v14, v15
	s_delay_alu instid0(VALU_DEP_1) | instskip(NEXT) | instid1(VALU_DEP_1)
	v_div_fixup_f32 v14, v1, v16, v17
	v_fmac_f32_e32 v16, v17, v14
	s_delay_alu instid0(VALU_DEP_1) | instskip(SKIP_1) | instid1(VALU_DEP_2)
	v_div_scale_f32 v1, null, v16, v16, 1.0
	v_div_scale_f32 v30, vcc_lo, 1.0, v16, 1.0
	v_rcp_f32_e32 v15, v1
	v_nop
	s_delay_alu instid0(TRANS32_DEP_1) | instskip(NEXT) | instid1(VALU_DEP_1)
	v_fma_f32 v17, -v1, v15, 1.0
	v_fmac_f32_e32 v15, v17, v15
	s_delay_alu instid0(VALU_DEP_1) | instskip(NEXT) | instid1(VALU_DEP_1)
	v_mul_f32_e32 v17, v30, v15
	v_fma_f32 v28, -v1, v17, v30
	s_delay_alu instid0(VALU_DEP_1) | instskip(SKIP_1) | instid1(VALU_DEP_2)
	v_fmac_f32_e32 v17, v28, v15
	v_mov_b64_e32 v[28:29], s[10:11]
	v_fma_f32 v1, -v1, v17, v30
	v_mov_b64_e32 v[30:31], s[20:21]
	s_delay_alu instid0(VALU_DEP_2) | instskip(NEXT) | instid1(VALU_DEP_2)
	v_div_fmas_f32 v1, v1, v15, v17
	v_pk_fma_f32 v[32:33], v[14:15], v[30:31], v[28:29] op_sel_hi:[0,1,1] neg_lo:[1,0,0] neg_hi:[1,0,0]
	v_pk_fma_f32 v[14:15], v[14:15], v[30:31], v[28:29]
	s_delay_alu instid0(VALU_DEP_3) | instskip(NEXT) | instid1(VALU_DEP_3)
	v_div_fixup_f32 v16, v1, v16, 1.0
                                        ; implicit-def: $vgpr30
                                        ; implicit-def: $vgpr1
	v_mov_b32_e32 v15, v33
	s_delay_alu instid0(VALU_DEP_1)
	v_pk_mul_f32 v[28:29], v[14:15], v[16:17] op_sel_hi:[1,0]
.LBB85_39:                              ;   in Loop: Header=BB85_5 Depth=1
	s_and_not1_saveexec_b32 s29, s2
	s_cbranch_execz .LBB85_41
; %bb.40:                               ;   in Loop: Header=BB85_5 Depth=1
	v_div_scale_f32 v14, null, v30, v30, s10
	v_div_scale_f32 v15, null, v1, v1, s11
	v_div_scale_f32 v31, vcc_lo, s10, v30, s10
	s_delay_alu instid0(VALU_DEP_3) | instskip(NEXT) | instid1(VALU_DEP_2)
	v_rcp_f32_e32 v16, v14
	v_rcp_f32_e32 v17, v15
	s_delay_alu instid0(TRANS32_DEP_2) | instskip(NEXT) | instid1(TRANS32_DEP_1)
	v_fma_f32 v28, -v14, v16, 1.0
	v_fma_f32 v29, -v15, v17, 1.0
	s_delay_alu instid0(VALU_DEP_1) | instskip(SKIP_1) | instid1(VALU_DEP_1)
	v_dual_fmac_f32 v16, v28, v16 :: v_dual_fmac_f32 v17, v29, v17
	v_div_scale_f32 v28, s2, s11, v1, s11
	v_dual_mul_f32 v29, v31, v16 :: v_dual_mul_f32 v32, v28, v17
	s_delay_alu instid0(VALU_DEP_1) | instskip(NEXT) | instid1(VALU_DEP_1)
	v_dual_fma_f32 v33, -v14, v29, v31 :: v_dual_fma_f32 v34, -v15, v32, v28
	v_dual_fmac_f32 v29, v33, v16 :: v_dual_fmac_f32 v32, v34, v17
	s_delay_alu instid0(VALU_DEP_1) | instskip(NEXT) | instid1(VALU_DEP_1)
	v_dual_fma_f32 v14, -v14, v29, v31 :: v_dual_fma_f32 v15, -v15, v32, v28
	v_div_fmas_f32 v14, v14, v16, v29
	s_mov_b32 vcc_lo, s2
	s_delay_alu instid0(VALU_DEP_2) | instskip(NEXT) | instid1(VALU_DEP_2)
	v_div_fmas_f32 v15, v15, v17, v32
	v_div_fixup_f32 v28, v14, v30, s10
	s_delay_alu instid0(VALU_DEP_2)
	v_div_fixup_f32 v29, v15, v1, s11
.LBB85_41:                              ;   in Loop: Header=BB85_5 Depth=1
	s_or_b32 exec_lo, exec_lo, s29
                                        ; implicit-def: $vgpr14_vgpr15_vgpr16_vgpr17
.LBB85_42:                              ;   in Loop: Header=BB85_5 Depth=1
	s_and_not1_saveexec_b32 s2, s3
	s_cbranch_execz .LBB85_44
; %bb.43:                               ;   in Loop: Header=BB85_5 Depth=1
	v_div_scale_f32 v1, null, v17, v17, v16
	v_div_scale_f32 v28, vcc_lo, v16, v17, v16
	s_delay_alu instid0(VALU_DEP_2) | instskip(SKIP_1) | instid1(TRANS32_DEP_1)
	v_rcp_f32_e32 v14, v1
	v_nop
	v_fma_f32 v15, -v1, v14, 1.0
	s_delay_alu instid0(VALU_DEP_1) | instskip(NEXT) | instid1(VALU_DEP_1)
	v_fmac_f32_e32 v14, v15, v14
	v_mul_f32_e32 v15, v28, v14
	s_delay_alu instid0(VALU_DEP_1) | instskip(NEXT) | instid1(VALU_DEP_1)
	v_fma_f32 v29, -v1, v15, v28
	v_fmac_f32_e32 v15, v29, v14
	s_delay_alu instid0(VALU_DEP_1) | instskip(NEXT) | instid1(VALU_DEP_1)
	v_fma_f32 v1, -v1, v15, v28
	v_div_fmas_f32 v1, v1, v14, v15
	s_delay_alu instid0(VALU_DEP_1) | instskip(NEXT) | instid1(VALU_DEP_1)
	v_div_fixup_f32 v14, v1, v17, v16
	v_fmac_f32_e32 v17, v16, v14
	s_delay_alu instid0(VALU_DEP_1) | instskip(SKIP_1) | instid1(VALU_DEP_2)
	v_div_scale_f32 v1, null, v17, v17, 1.0
	v_div_scale_f32 v30, vcc_lo, 1.0, v17, 1.0
	v_rcp_f32_e32 v15, v1
	v_nop
	s_delay_alu instid0(TRANS32_DEP_1) | instskip(NEXT) | instid1(VALU_DEP_1)
	v_fma_f32 v16, -v1, v15, 1.0
	v_fmac_f32_e32 v15, v16, v15
	s_delay_alu instid0(VALU_DEP_1) | instskip(NEXT) | instid1(VALU_DEP_1)
	v_mul_f32_e32 v16, v30, v15
	v_fma_f32 v28, -v1, v16, v30
	s_delay_alu instid0(VALU_DEP_1) | instskip(SKIP_1) | instid1(VALU_DEP_2)
	v_fmac_f32_e32 v16, v28, v15
	v_mov_b64_e32 v[28:29], s[20:21]
	v_fma_f32 v1, -v1, v16, v30
	v_mov_b64_e32 v[30:31], s[10:11]
	s_delay_alu instid0(VALU_DEP_2) | instskip(NEXT) | instid1(VALU_DEP_2)
	v_div_fmas_f32 v1, v1, v15, v16
	v_pk_fma_f32 v[32:33], v[14:15], v[30:31], v[28:29] op_sel_hi:[0,1,1] neg_lo:[0,0,1] neg_hi:[0,0,1]
	v_pk_fma_f32 v[14:15], v[14:15], v[30:31], v[28:29]
	s_delay_alu instid0(VALU_DEP_3) | instskip(NEXT) | instid1(VALU_DEP_3)
	v_div_fixup_f32 v16, v1, v17, 1.0
	v_mov_b32_e32 v15, v33
	s_delay_alu instid0(VALU_DEP_1)
	v_pk_mul_f32 v[28:29], v[14:15], v[16:17] op_sel_hi:[1,0]
.LBB85_44:                              ;   in Loop: Header=BB85_5 Depth=1
	s_or_b32 exec_lo, exec_lo, s2
.LBB85_45:                              ;   in Loop: Header=BB85_5 Depth=1
	s_wait_loadcnt 0x2
	v_cmp_gt_f32_e32 vcc_lo, 0, v11
	s_mov_b32 s3, -1
                                        ; implicit-def: $vgpr15
	v_cndmask_b32_e64 v1, v11, -v11, vcc_lo
	v_cmp_gt_f32_e32 vcc_lo, 0, v10
	v_cndmask_b32_e64 v16, v10, -v10, vcc_lo
	s_and_not1_b32 vcc_lo, exec_lo, s27
	s_delay_alu instid0(VALU_DEP_1)
	v_cmp_ge_f32_e64 s2, v16, v1
	s_cbranch_vccnz .LBB85_55
; %bb.46:                               ;   in Loop: Header=BB85_5 Depth=1
                                        ; implicit-def: $vgpr14_vgpr15
	s_wait_xcnt 0x0
	s_and_saveexec_b32 s3, s2
	s_delay_alu instid0(SALU_CYCLE_1)
	s_xor_b32 s29, exec_lo, s3
	s_cbranch_execz .LBB85_52
; %bb.47:                               ;   in Loop: Header=BB85_5 Depth=1
	v_cmp_neq_f32_e32 vcc_lo, 0, v10
	v_cmp_neq_f32_e64 s3, 0, v11
                                        ; implicit-def: $vgpr14_vgpr15
	s_or_b32 s3, vcc_lo, s3
	s_delay_alu instid0(SALU_CYCLE_1) | instskip(NEXT) | instid1(SALU_CYCLE_1)
	s_and_saveexec_b32 s30, s3
	s_xor_b32 s3, exec_lo, s30
	s_cbranch_execz .LBB85_49
; %bb.48:                               ;   in Loop: Header=BB85_5 Depth=1
	v_div_scale_f32 v14, null, v10, v10, v11
	v_div_scale_f32 v30, vcc_lo, v11, v10, v11
	s_delay_alu instid0(VALU_DEP_2) | instskip(SKIP_1) | instid1(TRANS32_DEP_1)
	v_rcp_f32_e32 v15, v14
	v_nop
	v_fma_f32 v17, -v14, v15, 1.0
	s_delay_alu instid0(VALU_DEP_1) | instskip(NEXT) | instid1(VALU_DEP_1)
	v_fmac_f32_e32 v15, v17, v15
	v_mul_f32_e32 v17, v30, v15
	s_delay_alu instid0(VALU_DEP_1) | instskip(NEXT) | instid1(VALU_DEP_1)
	v_fma_f32 v31, -v14, v17, v30
	v_fmac_f32_e32 v17, v31, v15
	s_delay_alu instid0(VALU_DEP_1) | instskip(NEXT) | instid1(VALU_DEP_1)
	v_fma_f32 v14, -v14, v17, v30
	v_div_fmas_f32 v14, v14, v15, v17
	s_delay_alu instid0(VALU_DEP_1) | instskip(NEXT) | instid1(VALU_DEP_1)
	v_div_fixup_f32 v14, v14, v10, v11
	v_fma_f32 v17, v11, v14, v10
	s_delay_alu instid0(VALU_DEP_1) | instskip(SKIP_1) | instid1(VALU_DEP_2)
	v_div_scale_f32 v15, null, v17, v17, 1.0
	v_div_scale_f32 v32, vcc_lo, 1.0, v17, 1.0
	v_rcp_f32_e32 v34, v15
	v_nop
	s_delay_alu instid0(TRANS32_DEP_1) | instskip(NEXT) | instid1(VALU_DEP_1)
	v_fma_f32 v30, -v15, v34, 1.0
	v_fmac_f32_e32 v34, v30, v34
	s_delay_alu instid0(VALU_DEP_1) | instskip(NEXT) | instid1(VALU_DEP_1)
	v_mul_f32_e32 v35, v32, v34
	v_fma_f32 v30, -v15, v35, v32
	s_delay_alu instid0(VALU_DEP_1) | instskip(SKIP_1) | instid1(VALU_DEP_2)
	v_fmac_f32_e32 v35, v30, v34
	v_mov_b64_e32 v[30:31], s[10:11]
	v_fma_f32 v15, -v15, v35, v32
	v_mov_b64_e32 v[32:33], s[20:21]
	s_delay_alu instid0(VALU_DEP_2) | instskip(NEXT) | instid1(VALU_DEP_2)
	v_div_fmas_f32 v36, v15, v34, v35
	v_pk_fma_f32 v[34:35], v[14:15], v[32:33], v[30:31] op_sel_hi:[0,1,1] neg_lo:[1,0,0] neg_hi:[1,0,0]
	v_pk_fma_f32 v[14:15], v[14:15], v[32:33], v[30:31]
	s_delay_alu instid0(VALU_DEP_3) | instskip(NEXT) | instid1(VALU_DEP_3)
	v_div_fixup_f32 v30, v36, v17, 1.0
	v_mov_b32_e32 v15, v35
	s_delay_alu instid0(VALU_DEP_1)
	v_pk_mul_f32 v[14:15], v[14:15], v[30:31] op_sel_hi:[1,0]
.LBB85_49:                              ;   in Loop: Header=BB85_5 Depth=1
	s_and_not1_saveexec_b32 s30, s3
	s_cbranch_execz .LBB85_51
; %bb.50:                               ;   in Loop: Header=BB85_5 Depth=1
	v_div_scale_f32 v14, null, v1, v1, s11
	v_div_scale_f32 v15, null, v16, v16, s10
	v_div_scale_f32 v33, vcc_lo, s11, v1, s11
	s_delay_alu instid0(VALU_DEP_3) | instskip(NEXT) | instid1(VALU_DEP_2)
	v_rcp_f32_e32 v17, v14
	v_rcp_f32_e32 v30, v15
	s_delay_alu instid0(TRANS32_DEP_2) | instskip(NEXT) | instid1(TRANS32_DEP_1)
	v_fma_f32 v31, -v14, v17, 1.0
	v_fma_f32 v32, -v15, v30, 1.0
	s_delay_alu instid0(VALU_DEP_1) | instskip(SKIP_1) | instid1(VALU_DEP_1)
	v_dual_fmac_f32 v17, v31, v17 :: v_dual_fmac_f32 v30, v32, v30
	v_div_scale_f32 v31, s3, s10, v16, s10
	v_dual_mul_f32 v32, v33, v17 :: v_dual_mul_f32 v34, v31, v30
	s_delay_alu instid0(VALU_DEP_1) | instskip(NEXT) | instid1(VALU_DEP_1)
	v_dual_fma_f32 v35, -v14, v32, v33 :: v_dual_fma_f32 v36, -v15, v34, v31
	v_dual_fmac_f32 v32, v35, v17 :: v_dual_fmac_f32 v34, v36, v30
	s_delay_alu instid0(VALU_DEP_1) | instskip(NEXT) | instid1(VALU_DEP_1)
	v_dual_fma_f32 v14, -v14, v32, v33 :: v_dual_fma_f32 v15, -v15, v34, v31
	v_div_fmas_f32 v14, v14, v17, v32
	s_mov_b32 vcc_lo, s3
	s_delay_alu instid0(VALU_DEP_2) | instskip(NEXT) | instid1(VALU_DEP_2)
	v_div_fmas_f32 v17, v15, v30, v34
	v_div_fixup_f32 v15, v14, v1, s11
	s_delay_alu instid0(VALU_DEP_2)
	v_div_fixup_f32 v14, v17, v16, s10
.LBB85_51:                              ;   in Loop: Header=BB85_5 Depth=1
	s_or_b32 exec_lo, exec_lo, s30
.LBB85_52:                              ;   in Loop: Header=BB85_5 Depth=1
	s_and_not1_saveexec_b32 s3, s29
	s_cbranch_execz .LBB85_54
; %bb.53:                               ;   in Loop: Header=BB85_5 Depth=1
	v_div_scale_f32 v14, null, v11, v11, v10
	v_div_scale_f32 v30, vcc_lo, v10, v11, v10
	s_delay_alu instid0(VALU_DEP_2) | instskip(SKIP_1) | instid1(TRANS32_DEP_1)
	v_rcp_f32_e32 v15, v14
	v_nop
	v_fma_f32 v17, -v14, v15, 1.0
	s_delay_alu instid0(VALU_DEP_1) | instskip(NEXT) | instid1(VALU_DEP_1)
	v_fmac_f32_e32 v15, v17, v15
	v_mul_f32_e32 v17, v30, v15
	s_delay_alu instid0(VALU_DEP_1) | instskip(NEXT) | instid1(VALU_DEP_1)
	v_fma_f32 v31, -v14, v17, v30
	v_fmac_f32_e32 v17, v31, v15
	s_delay_alu instid0(VALU_DEP_1) | instskip(NEXT) | instid1(VALU_DEP_1)
	v_fma_f32 v14, -v14, v17, v30
	v_div_fmas_f32 v14, v14, v15, v17
	s_delay_alu instid0(VALU_DEP_1) | instskip(NEXT) | instid1(VALU_DEP_1)
	v_div_fixup_f32 v14, v14, v11, v10
	v_fma_f32 v17, v10, v14, v11
	s_delay_alu instid0(VALU_DEP_1) | instskip(SKIP_1) | instid1(VALU_DEP_2)
	v_div_scale_f32 v15, null, v17, v17, 1.0
	v_div_scale_f32 v32, vcc_lo, 1.0, v17, 1.0
	v_rcp_f32_e32 v34, v15
	v_nop
	s_delay_alu instid0(TRANS32_DEP_1) | instskip(NEXT) | instid1(VALU_DEP_1)
	v_fma_f32 v30, -v15, v34, 1.0
	v_fmac_f32_e32 v34, v30, v34
	s_delay_alu instid0(VALU_DEP_1) | instskip(NEXT) | instid1(VALU_DEP_1)
	v_mul_f32_e32 v35, v32, v34
	v_fma_f32 v30, -v15, v35, v32
	s_delay_alu instid0(VALU_DEP_1) | instskip(SKIP_1) | instid1(VALU_DEP_2)
	v_fmac_f32_e32 v35, v30, v34
	v_mov_b64_e32 v[30:31], s[20:21]
	v_fma_f32 v15, -v15, v35, v32
	v_mov_b64_e32 v[32:33], s[10:11]
	s_delay_alu instid0(VALU_DEP_2) | instskip(NEXT) | instid1(VALU_DEP_2)
	v_div_fmas_f32 v36, v15, v34, v35
	v_pk_fma_f32 v[34:35], v[14:15], v[32:33], v[30:31] op_sel_hi:[0,1,1] neg_lo:[0,0,1] neg_hi:[0,0,1]
	v_pk_fma_f32 v[14:15], v[14:15], v[32:33], v[30:31]
	s_delay_alu instid0(VALU_DEP_3) | instskip(NEXT) | instid1(VALU_DEP_3)
	v_div_fixup_f32 v30, v36, v17, 1.0
	v_mov_b32_e32 v15, v35
	s_delay_alu instid0(VALU_DEP_1)
	v_pk_mul_f32 v[14:15], v[14:15], v[30:31] op_sel_hi:[1,0]
.LBB85_54:                              ;   in Loop: Header=BB85_5 Depth=1
	s_or_b32 exec_lo, exec_lo, s3
	v_mov_b64_e32 v[30:31], s[22:23]
	v_mov_b64_e32 v[32:33], s[4:5]
	s_mov_b32 s3, 0
	s_delay_alu instid0(VALU_DEP_2) | instskip(NEXT) | instid1(VALU_DEP_2)
	v_pk_mul_f32 v[30:31], v[14:15], v[30:31] op_sel:[1,0]
	v_pk_mul_f32 v[34:35], v[14:15], v[32:33] op_sel_hi:[0,1]
	s_delay_alu instid0(VALU_DEP_2) | instskip(NEXT) | instid1(VALU_DEP_2)
	v_pk_fma_f32 v[14:15], v[14:15], v[32:33], v[30:31] op_sel_hi:[0,1,1]
	v_sub_f32_e32 v14, v34, v30
.LBB85_55:                              ;   in Loop: Header=BB85_5 Depth=1
	s_and_b32 vcc_lo, exec_lo, s3
	s_cbranch_vccz .LBB85_65
; %bb.56:                               ;   in Loop: Header=BB85_5 Depth=1
                                        ; implicit-def: $vgpr15
	s_wait_xcnt 0x0
	s_and_saveexec_b32 s3, s2
	s_delay_alu instid0(SALU_CYCLE_1)
	s_xor_b32 s3, exec_lo, s3
	s_cbranch_execz .LBB85_62
; %bb.57:                               ;   in Loop: Header=BB85_5 Depth=1
	v_cmp_neq_f32_e32 vcc_lo, 0, v10
	v_cmp_neq_f32_e64 s2, 0, v11
                                        ; implicit-def: $vgpr15
	s_or_b32 s2, vcc_lo, s2
	s_delay_alu instid0(SALU_CYCLE_1) | instskip(NEXT) | instid1(SALU_CYCLE_1)
	s_and_saveexec_b32 s29, s2
	s_xor_b32 s2, exec_lo, s29
	s_cbranch_execz .LBB85_59
; %bb.58:                               ;   in Loop: Header=BB85_5 Depth=1
	v_div_scale_f32 v1, null, v10, v10, v11
	v_div_scale_f32 v16, vcc_lo, v11, v10, v11
	s_delay_alu instid0(VALU_DEP_2) | instskip(SKIP_1) | instid1(TRANS32_DEP_1)
	v_rcp_f32_e32 v14, v1
	v_nop
	v_fma_f32 v15, -v1, v14, 1.0
	s_delay_alu instid0(VALU_DEP_1) | instskip(NEXT) | instid1(VALU_DEP_1)
	v_fmac_f32_e32 v14, v15, v14
	v_mul_f32_e32 v15, v16, v14
	s_delay_alu instid0(VALU_DEP_1) | instskip(NEXT) | instid1(VALU_DEP_1)
	v_fma_f32 v17, -v1, v15, v16
	v_fmac_f32_e32 v15, v17, v14
	s_delay_alu instid0(VALU_DEP_1) | instskip(NEXT) | instid1(VALU_DEP_1)
	v_fma_f32 v1, -v1, v15, v16
	v_div_fmas_f32 v1, v1, v14, v15
	s_delay_alu instid0(VALU_DEP_1) | instskip(NEXT) | instid1(VALU_DEP_1)
	v_div_fixup_f32 v14, v1, v10, v11
	v_fma_f32 v1, v11, v14, v10
	s_delay_alu instid0(VALU_DEP_1) | instskip(SKIP_1) | instid1(VALU_DEP_2)
	v_div_scale_f32 v15, null, v1, v1, 1.0
	v_div_scale_f32 v30, vcc_lo, 1.0, v1, 1.0
	v_rcp_f32_e32 v32, v15
	v_nop
	s_delay_alu instid0(TRANS32_DEP_1) | instskip(NEXT) | instid1(VALU_DEP_1)
	v_fma_f32 v16, -v15, v32, 1.0
	v_fmac_f32_e32 v32, v16, v32
	s_delay_alu instid0(VALU_DEP_1) | instskip(NEXT) | instid1(VALU_DEP_1)
	v_mul_f32_e32 v33, v30, v32
	v_fma_f32 v16, -v15, v33, v30
	s_delay_alu instid0(VALU_DEP_1) | instskip(SKIP_1) | instid1(VALU_DEP_2)
	v_fmac_f32_e32 v33, v16, v32
	v_mov_b64_e32 v[16:17], s[10:11]
	v_fma_f32 v15, -v15, v33, v30
	v_mov_b64_e32 v[30:31], s[20:21]
	s_delay_alu instid0(VALU_DEP_2) | instskip(NEXT) | instid1(VALU_DEP_2)
	v_div_fmas_f32 v34, v15, v32, v33
	v_pk_fma_f32 v[32:33], v[14:15], v[30:31], v[16:17] op_sel_hi:[0,1,1] neg_lo:[1,0,0] neg_hi:[1,0,0]
	v_pk_fma_f32 v[14:15], v[14:15], v[30:31], v[16:17]
	s_delay_alu instid0(VALU_DEP_3) | instskip(NEXT) | instid1(VALU_DEP_3)
	v_div_fixup_f32 v16, v34, v1, 1.0
                                        ; implicit-def: $vgpr1
	v_mov_b32_e32 v15, v33
	s_delay_alu instid0(VALU_DEP_1)
	v_pk_mul_f32 v[14:15], v[14:15], v[16:17] op_sel_hi:[1,0]
                                        ; implicit-def: $vgpr16
.LBB85_59:                              ;   in Loop: Header=BB85_5 Depth=1
	s_and_not1_saveexec_b32 s29, s2
	s_cbranch_execz .LBB85_61
; %bb.60:                               ;   in Loop: Header=BB85_5 Depth=1
	v_div_scale_f32 v14, null, v16, v16, s10
	v_div_scale_f32 v15, null, v1, v1, s11
	v_div_scale_f32 v33, vcc_lo, s10, v16, s10
	s_delay_alu instid0(VALU_DEP_3) | instskip(NEXT) | instid1(VALU_DEP_2)
	v_rcp_f32_e32 v17, v14
	v_rcp_f32_e32 v30, v15
	s_delay_alu instid0(TRANS32_DEP_2) | instskip(NEXT) | instid1(TRANS32_DEP_1)
	v_fma_f32 v31, -v14, v17, 1.0
	v_fma_f32 v32, -v15, v30, 1.0
	s_delay_alu instid0(VALU_DEP_1) | instskip(SKIP_1) | instid1(VALU_DEP_1)
	v_dual_fmac_f32 v17, v31, v17 :: v_dual_fmac_f32 v30, v32, v30
	v_div_scale_f32 v31, s2, s11, v1, s11
	v_dual_mul_f32 v32, v33, v17 :: v_dual_mul_f32 v34, v31, v30
	s_delay_alu instid0(VALU_DEP_1) | instskip(NEXT) | instid1(VALU_DEP_1)
	v_dual_fma_f32 v35, -v14, v32, v33 :: v_dual_fma_f32 v36, -v15, v34, v31
	v_dual_fmac_f32 v32, v35, v17 :: v_dual_fmac_f32 v34, v36, v30
	s_delay_alu instid0(VALU_DEP_1) | instskip(NEXT) | instid1(VALU_DEP_1)
	v_dual_fma_f32 v14, -v14, v32, v33 :: v_dual_fma_f32 v15, -v15, v34, v31
	v_div_fmas_f32 v14, v14, v17, v32
	s_mov_b32 vcc_lo, s2
	s_delay_alu instid0(VALU_DEP_2) | instskip(NEXT) | instid1(VALU_DEP_2)
	v_div_fmas_f32 v15, v15, v30, v34
	v_div_fixup_f32 v14, v14, v16, s10
	s_delay_alu instid0(VALU_DEP_2)
	v_div_fixup_f32 v15, v15, v1, s11
.LBB85_61:                              ;   in Loop: Header=BB85_5 Depth=1
	s_or_b32 exec_lo, exec_lo, s29
.LBB85_62:                              ;   in Loop: Header=BB85_5 Depth=1
	s_and_not1_saveexec_b32 s2, s3
	s_cbranch_execz .LBB85_64
; %bb.63:                               ;   in Loop: Header=BB85_5 Depth=1
	v_div_scale_f32 v1, null, v11, v11, v10
	v_div_scale_f32 v16, vcc_lo, v10, v11, v10
	s_delay_alu instid0(VALU_DEP_2) | instskip(SKIP_1) | instid1(TRANS32_DEP_1)
	v_rcp_f32_e32 v14, v1
	v_nop
	v_fma_f32 v15, -v1, v14, 1.0
	s_delay_alu instid0(VALU_DEP_1) | instskip(NEXT) | instid1(VALU_DEP_1)
	v_fmac_f32_e32 v14, v15, v14
	v_mul_f32_e32 v15, v16, v14
	s_delay_alu instid0(VALU_DEP_1) | instskip(NEXT) | instid1(VALU_DEP_1)
	v_fma_f32 v17, -v1, v15, v16
	v_fmac_f32_e32 v15, v17, v14
	s_delay_alu instid0(VALU_DEP_1) | instskip(NEXT) | instid1(VALU_DEP_1)
	v_fma_f32 v1, -v1, v15, v16
	v_div_fmas_f32 v1, v1, v14, v15
	s_delay_alu instid0(VALU_DEP_1) | instskip(NEXT) | instid1(VALU_DEP_1)
	v_div_fixup_f32 v14, v1, v11, v10
	v_fma_f32 v1, v10, v14, v11
	s_delay_alu instid0(VALU_DEP_1) | instskip(SKIP_1) | instid1(VALU_DEP_2)
	v_div_scale_f32 v15, null, v1, v1, 1.0
	v_div_scale_f32 v16, vcc_lo, 1.0, v1, 1.0
	v_rcp_f32_e32 v30, v15
	v_nop
	s_delay_alu instid0(TRANS32_DEP_1) | instskip(NEXT) | instid1(VALU_DEP_1)
	v_fma_f32 v10, -v15, v30, 1.0
	v_fmac_f32_e32 v30, v10, v30
	s_delay_alu instid0(VALU_DEP_1) | instskip(NEXT) | instid1(VALU_DEP_1)
	v_mul_f32_e32 v31, v16, v30
	v_fma_f32 v10, -v15, v31, v16
	s_delay_alu instid0(VALU_DEP_1) | instskip(SKIP_1) | instid1(VALU_DEP_2)
	v_fmac_f32_e32 v31, v10, v30
	v_mov_b64_e32 v[10:11], s[20:21]
	v_fma_f32 v15, -v15, v31, v16
	v_mov_b64_e32 v[16:17], s[10:11]
	s_delay_alu instid0(VALU_DEP_2) | instskip(NEXT) | instid1(VALU_DEP_1)
	v_div_fmas_f32 v15, v15, v30, v31
	v_pk_fma_f32 v[30:31], v[14:15], v[16:17], v[10:11] op_sel_hi:[0,1,1] neg_lo:[0,0,1] neg_hi:[0,0,1]
	v_pk_fma_f32 v[10:11], v[14:15], v[16:17], v[10:11]
	v_div_fixup_f32 v14, v15, v1, 1.0
	s_delay_alu instid0(VALU_DEP_3) | instskip(NEXT) | instid1(VALU_DEP_1)
	v_mov_b32_e32 v11, v31
	v_pk_mul_f32 v[14:15], v[10:11], v[14:15] op_sel_hi:[1,0]
.LBB85_64:                              ;   in Loop: Header=BB85_5 Depth=1
	s_or_b32 exec_lo, exec_lo, s2
.LBB85_65:                              ;   in Loop: Header=BB85_5 Depth=1
	v_cmp_gt_f32_e32 vcc_lo, 0, v13
	s_mov_b32 s3, -1
                                        ; implicit-def: $vgpr17
	v_cndmask_b32_e64 v1, v13, -v13, vcc_lo
	v_cmp_gt_f32_e32 vcc_lo, 0, v12
	v_cndmask_b32_e64 v30, v12, -v12, vcc_lo
	s_and_not1_b32 vcc_lo, exec_lo, s27
	s_delay_alu instid0(VALU_DEP_1)
	v_cmp_ge_f32_e64 s2, v30, v1
	s_cbranch_vccnz .LBB85_75
; %bb.66:                               ;   in Loop: Header=BB85_5 Depth=1
                                        ; implicit-def: $vgpr10_vgpr11
	s_wait_xcnt 0x0
	s_and_saveexec_b32 s3, s2
	s_delay_alu instid0(SALU_CYCLE_1)
	s_xor_b32 s29, exec_lo, s3
	s_cbranch_execz .LBB85_72
; %bb.67:                               ;   in Loop: Header=BB85_5 Depth=1
	v_cmp_neq_f32_e32 vcc_lo, 0, v12
	v_cmp_neq_f32_e64 s3, 0, v13
                                        ; implicit-def: $vgpr10_vgpr11
	s_or_b32 s3, vcc_lo, s3
	s_delay_alu instid0(SALU_CYCLE_1) | instskip(NEXT) | instid1(SALU_CYCLE_1)
	s_and_saveexec_b32 s30, s3
	s_xor_b32 s3, exec_lo, s30
	s_cbranch_execz .LBB85_69
; %bb.68:                               ;   in Loop: Header=BB85_5 Depth=1
	v_div_scale_f32 v10, null, v12, v12, v13
	v_div_scale_f32 v17, vcc_lo, v13, v12, v13
	s_delay_alu instid0(VALU_DEP_2) | instskip(SKIP_1) | instid1(TRANS32_DEP_1)
	v_rcp_f32_e32 v11, v10
	v_nop
	v_fma_f32 v16, -v10, v11, 1.0
	s_delay_alu instid0(VALU_DEP_1) | instskip(NEXT) | instid1(VALU_DEP_1)
	v_fmac_f32_e32 v11, v16, v11
	v_mul_f32_e32 v16, v17, v11
	s_delay_alu instid0(VALU_DEP_1) | instskip(NEXT) | instid1(VALU_DEP_1)
	v_fma_f32 v31, -v10, v16, v17
	v_fmac_f32_e32 v16, v31, v11
	s_delay_alu instid0(VALU_DEP_1) | instskip(NEXT) | instid1(VALU_DEP_1)
	v_fma_f32 v10, -v10, v16, v17
	v_div_fmas_f32 v10, v10, v11, v16
	s_delay_alu instid0(VALU_DEP_1) | instskip(NEXT) | instid1(VALU_DEP_1)
	v_div_fixup_f32 v10, v10, v12, v13
	v_fma_f32 v31, v13, v10, v12
	s_delay_alu instid0(VALU_DEP_1) | instskip(SKIP_1) | instid1(VALU_DEP_2)
	v_div_scale_f32 v11, null, v31, v31, 1.0
	v_div_scale_f32 v32, vcc_lo, 1.0, v31, 1.0
	v_rcp_f32_e32 v34, v11
	v_nop
	s_delay_alu instid0(TRANS32_DEP_1) | instskip(NEXT) | instid1(VALU_DEP_1)
	v_fma_f32 v16, -v11, v34, 1.0
	v_fmac_f32_e32 v34, v16, v34
	s_delay_alu instid0(VALU_DEP_1) | instskip(NEXT) | instid1(VALU_DEP_1)
	v_mul_f32_e32 v35, v32, v34
	v_fma_f32 v16, -v11, v35, v32
	s_delay_alu instid0(VALU_DEP_1) | instskip(SKIP_1) | instid1(VALU_DEP_2)
	v_fmac_f32_e32 v35, v16, v34
	v_mov_b64_e32 v[16:17], s[10:11]
	v_fma_f32 v11, -v11, v35, v32
	v_mov_b64_e32 v[32:33], s[20:21]
	s_delay_alu instid0(VALU_DEP_2) | instskip(NEXT) | instid1(VALU_DEP_2)
	v_div_fmas_f32 v36, v11, v34, v35
	v_pk_fma_f32 v[34:35], v[10:11], v[32:33], v[16:17] op_sel_hi:[0,1,1] neg_lo:[1,0,0] neg_hi:[1,0,0]
	v_pk_fma_f32 v[10:11], v[10:11], v[32:33], v[16:17]
	s_delay_alu instid0(VALU_DEP_2) | instskip(NEXT) | instid1(VALU_DEP_4)
	v_mov_b32_e32 v11, v35
	v_div_fixup_f32 v16, v36, v31, 1.0
	s_delay_alu instid0(VALU_DEP_1)
	v_pk_mul_f32 v[10:11], v[10:11], v[16:17] op_sel_hi:[1,0]
.LBB85_69:                              ;   in Loop: Header=BB85_5 Depth=1
	s_and_not1_saveexec_b32 s30, s3
	s_cbranch_execz .LBB85_71
; %bb.70:                               ;   in Loop: Header=BB85_5 Depth=1
	v_div_scale_f32 v10, null, v1, v1, s11
	v_div_scale_f32 v11, null, v30, v30, s10
	v_div_scale_f32 v33, vcc_lo, s11, v1, s11
	s_delay_alu instid0(VALU_DEP_3) | instskip(NEXT) | instid1(VALU_DEP_2)
	v_rcp_f32_e32 v16, v10
	v_rcp_f32_e32 v17, v11
	s_delay_alu instid0(TRANS32_DEP_2) | instskip(NEXT) | instid1(TRANS32_DEP_1)
	v_fma_f32 v31, -v10, v16, 1.0
	v_fma_f32 v32, -v11, v17, 1.0
	s_delay_alu instid0(VALU_DEP_1) | instskip(SKIP_1) | instid1(VALU_DEP_1)
	v_dual_fmac_f32 v16, v31, v16 :: v_dual_fmac_f32 v17, v32, v17
	v_div_scale_f32 v31, s3, s10, v30, s10
	v_dual_mul_f32 v32, v33, v16 :: v_dual_mul_f32 v34, v31, v17
	s_delay_alu instid0(VALU_DEP_1) | instskip(NEXT) | instid1(VALU_DEP_1)
	v_dual_fma_f32 v35, -v10, v32, v33 :: v_dual_fma_f32 v36, -v11, v34, v31
	v_dual_fmac_f32 v32, v35, v16 :: v_dual_fmac_f32 v34, v36, v17
	s_delay_alu instid0(VALU_DEP_1) | instskip(NEXT) | instid1(VALU_DEP_1)
	v_dual_fma_f32 v10, -v10, v32, v33 :: v_dual_fma_f32 v11, -v11, v34, v31
	v_div_fmas_f32 v10, v10, v16, v32
	s_mov_b32 vcc_lo, s3
	s_delay_alu instid0(VALU_DEP_2) | instskip(NEXT) | instid1(VALU_DEP_2)
	v_div_fmas_f32 v16, v11, v17, v34
	v_div_fixup_f32 v11, v10, v1, s11
	s_delay_alu instid0(VALU_DEP_2)
	v_div_fixup_f32 v10, v16, v30, s10
.LBB85_71:                              ;   in Loop: Header=BB85_5 Depth=1
	s_or_b32 exec_lo, exec_lo, s30
.LBB85_72:                              ;   in Loop: Header=BB85_5 Depth=1
	s_and_not1_saveexec_b32 s3, s29
	s_cbranch_execz .LBB85_74
; %bb.73:                               ;   in Loop: Header=BB85_5 Depth=1
	v_div_scale_f32 v10, null, v13, v13, v12
	v_div_scale_f32 v17, vcc_lo, v12, v13, v12
	s_delay_alu instid0(VALU_DEP_2) | instskip(SKIP_1) | instid1(TRANS32_DEP_1)
	v_rcp_f32_e32 v11, v10
	v_nop
	v_fma_f32 v16, -v10, v11, 1.0
	s_delay_alu instid0(VALU_DEP_1) | instskip(NEXT) | instid1(VALU_DEP_1)
	v_fmac_f32_e32 v11, v16, v11
	v_mul_f32_e32 v16, v17, v11
	s_delay_alu instid0(VALU_DEP_1) | instskip(NEXT) | instid1(VALU_DEP_1)
	v_fma_f32 v31, -v10, v16, v17
	v_fmac_f32_e32 v16, v31, v11
	s_delay_alu instid0(VALU_DEP_1) | instskip(NEXT) | instid1(VALU_DEP_1)
	v_fma_f32 v10, -v10, v16, v17
	v_div_fmas_f32 v10, v10, v11, v16
	s_delay_alu instid0(VALU_DEP_1) | instskip(NEXT) | instid1(VALU_DEP_1)
	v_div_fixup_f32 v10, v10, v13, v12
	v_fma_f32 v31, v12, v10, v13
	s_delay_alu instid0(VALU_DEP_1) | instskip(SKIP_1) | instid1(VALU_DEP_2)
	v_div_scale_f32 v11, null, v31, v31, 1.0
	v_div_scale_f32 v32, vcc_lo, 1.0, v31, 1.0
	v_rcp_f32_e32 v34, v11
	v_nop
	s_delay_alu instid0(TRANS32_DEP_1) | instskip(NEXT) | instid1(VALU_DEP_1)
	v_fma_f32 v16, -v11, v34, 1.0
	v_fmac_f32_e32 v34, v16, v34
	s_delay_alu instid0(VALU_DEP_1) | instskip(NEXT) | instid1(VALU_DEP_1)
	v_mul_f32_e32 v35, v32, v34
	v_fma_f32 v16, -v11, v35, v32
	s_delay_alu instid0(VALU_DEP_1) | instskip(SKIP_1) | instid1(VALU_DEP_2)
	v_fmac_f32_e32 v35, v16, v34
	v_mov_b64_e32 v[16:17], s[20:21]
	v_fma_f32 v11, -v11, v35, v32
	v_mov_b64_e32 v[32:33], s[10:11]
	s_delay_alu instid0(VALU_DEP_2) | instskip(NEXT) | instid1(VALU_DEP_2)
	v_div_fmas_f32 v36, v11, v34, v35
	v_pk_fma_f32 v[34:35], v[10:11], v[32:33], v[16:17] op_sel_hi:[0,1,1] neg_lo:[0,0,1] neg_hi:[0,0,1]
	v_pk_fma_f32 v[10:11], v[10:11], v[32:33], v[16:17]
	s_delay_alu instid0(VALU_DEP_3) | instskip(NEXT) | instid1(VALU_DEP_3)
	v_div_fixup_f32 v16, v36, v31, 1.0
	v_mov_b32_e32 v11, v35
	s_delay_alu instid0(VALU_DEP_1)
	v_pk_mul_f32 v[10:11], v[10:11], v[16:17] op_sel_hi:[1,0]
.LBB85_74:                              ;   in Loop: Header=BB85_5 Depth=1
	s_or_b32 exec_lo, exec_lo, s3
	v_mov_b64_e32 v[16:17], s[22:23]
	v_mov_b64_e32 v[32:33], s[4:5]
	s_mov_b32 s3, 0
	s_delay_alu instid0(VALU_DEP_2) | instskip(NEXT) | instid1(VALU_DEP_2)
	v_pk_mul_f32 v[34:35], v[10:11], v[16:17] op_sel:[1,0]
	v_pk_mul_f32 v[36:37], v[10:11], v[32:33] op_sel_hi:[0,1]
	s_delay_alu instid0(VALU_DEP_2) | instskip(NEXT) | instid1(VALU_DEP_2)
	v_pk_fma_f32 v[16:17], v[10:11], v[32:33], v[34:35] op_sel_hi:[0,1,1]
	v_sub_f32_e32 v16, v36, v34
.LBB85_75:                              ;   in Loop: Header=BB85_5 Depth=1
	s_and_b32 vcc_lo, exec_lo, s3
	s_cbranch_vccz .LBB85_4
; %bb.76:                               ;   in Loop: Header=BB85_5 Depth=1
                                        ; implicit-def: $vgpr17
	s_wait_xcnt 0x0
	s_and_saveexec_b32 s3, s2
	s_delay_alu instid0(SALU_CYCLE_1)
	s_xor_b32 s3, exec_lo, s3
	s_cbranch_execz .LBB85_82
; %bb.77:                               ;   in Loop: Header=BB85_5 Depth=1
	v_cmp_neq_f32_e32 vcc_lo, 0, v12
	v_cmp_neq_f32_e64 s2, 0, v13
                                        ; implicit-def: $vgpr17
	s_or_b32 s2, vcc_lo, s2
	s_delay_alu instid0(SALU_CYCLE_1) | instskip(NEXT) | instid1(SALU_CYCLE_1)
	s_and_saveexec_b32 s29, s2
	s_xor_b32 s2, exec_lo, s29
	s_cbranch_execz .LBB85_79
; %bb.78:                               ;   in Loop: Header=BB85_5 Depth=1
	v_div_scale_f32 v1, null, v12, v12, v13
	v_div_scale_f32 v16, vcc_lo, v13, v12, v13
	s_delay_alu instid0(VALU_DEP_2) | instskip(SKIP_1) | instid1(TRANS32_DEP_1)
	v_rcp_f32_e32 v10, v1
	v_nop
	v_fma_f32 v11, -v1, v10, 1.0
	s_delay_alu instid0(VALU_DEP_1) | instskip(NEXT) | instid1(VALU_DEP_1)
	v_fmac_f32_e32 v10, v11, v10
	v_mul_f32_e32 v11, v16, v10
	s_delay_alu instid0(VALU_DEP_1) | instskip(NEXT) | instid1(VALU_DEP_1)
	v_fma_f32 v17, -v1, v11, v16
	v_fmac_f32_e32 v11, v17, v10
	s_delay_alu instid0(VALU_DEP_1) | instskip(NEXT) | instid1(VALU_DEP_1)
	v_fma_f32 v1, -v1, v11, v16
	v_div_fmas_f32 v1, v1, v10, v11
	s_delay_alu instid0(VALU_DEP_1) | instskip(NEXT) | instid1(VALU_DEP_1)
	v_div_fixup_f32 v10, v1, v12, v13
	v_fmac_f32_e32 v12, v13, v10
	s_delay_alu instid0(VALU_DEP_1) | instskip(SKIP_1) | instid1(VALU_DEP_2)
	v_div_scale_f32 v1, null, v12, v12, 1.0
	v_div_scale_f32 v30, vcc_lo, 1.0, v12, 1.0
	v_rcp_f32_e32 v11, v1
	v_nop
	s_delay_alu instid0(TRANS32_DEP_1) | instskip(NEXT) | instid1(VALU_DEP_1)
	v_fma_f32 v13, -v1, v11, 1.0
	v_fmac_f32_e32 v11, v13, v11
	s_delay_alu instid0(VALU_DEP_1) | instskip(NEXT) | instid1(VALU_DEP_1)
	v_mul_f32_e32 v13, v30, v11
	v_fma_f32 v16, -v1, v13, v30
	s_delay_alu instid0(VALU_DEP_1) | instskip(SKIP_1) | instid1(VALU_DEP_2)
	v_fmac_f32_e32 v13, v16, v11
	v_mov_b64_e32 v[16:17], s[10:11]
	v_fma_f32 v1, -v1, v13, v30
	v_mov_b64_e32 v[30:31], s[20:21]
	s_delay_alu instid0(VALU_DEP_2) | instskip(NEXT) | instid1(VALU_DEP_2)
	v_div_fmas_f32 v1, v1, v11, v13
	v_pk_fma_f32 v[32:33], v[10:11], v[30:31], v[16:17] op_sel_hi:[0,1,1] neg_lo:[1,0,0] neg_hi:[1,0,0]
	v_pk_fma_f32 v[10:11], v[10:11], v[30:31], v[16:17]
	s_delay_alu instid0(VALU_DEP_3) | instskip(NEXT) | instid1(VALU_DEP_3)
	v_div_fixup_f32 v12, v1, v12, 1.0
                                        ; implicit-def: $vgpr30
                                        ; implicit-def: $vgpr1
	v_mov_b32_e32 v11, v33
	s_delay_alu instid0(VALU_DEP_1)
	v_pk_mul_f32 v[16:17], v[10:11], v[12:13] op_sel_hi:[1,0]
.LBB85_79:                              ;   in Loop: Header=BB85_5 Depth=1
	s_and_not1_saveexec_b32 s29, s2
	s_cbranch_execz .LBB85_81
; %bb.80:                               ;   in Loop: Header=BB85_5 Depth=1
	v_div_scale_f32 v10, null, v30, v30, s10
	v_div_scale_f32 v11, null, v1, v1, s11
	v_div_scale_f32 v31, vcc_lo, s10, v30, s10
	s_delay_alu instid0(VALU_DEP_3) | instskip(NEXT) | instid1(VALU_DEP_2)
	v_rcp_f32_e32 v12, v10
	v_rcp_f32_e32 v13, v11
	s_delay_alu instid0(TRANS32_DEP_2) | instskip(NEXT) | instid1(TRANS32_DEP_1)
	v_fma_f32 v16, -v10, v12, 1.0
	v_fma_f32 v17, -v11, v13, 1.0
	s_delay_alu instid0(VALU_DEP_1) | instskip(SKIP_1) | instid1(VALU_DEP_1)
	v_dual_fmac_f32 v12, v16, v12 :: v_dual_fmac_f32 v13, v17, v13
	v_div_scale_f32 v16, s2, s11, v1, s11
	v_dual_mul_f32 v17, v31, v12 :: v_dual_mul_f32 v32, v16, v13
	s_delay_alu instid0(VALU_DEP_1) | instskip(NEXT) | instid1(VALU_DEP_1)
	v_dual_fma_f32 v33, -v10, v17, v31 :: v_dual_fma_f32 v34, -v11, v32, v16
	v_dual_fmac_f32 v17, v33, v12 :: v_dual_fmac_f32 v32, v34, v13
	s_delay_alu instid0(VALU_DEP_1) | instskip(NEXT) | instid1(VALU_DEP_1)
	v_dual_fma_f32 v10, -v10, v17, v31 :: v_dual_fma_f32 v11, -v11, v32, v16
	v_div_fmas_f32 v10, v10, v12, v17
	s_mov_b32 vcc_lo, s2
	s_delay_alu instid0(VALU_DEP_2) | instskip(NEXT) | instid1(VALU_DEP_2)
	v_div_fmas_f32 v11, v11, v13, v32
	v_div_fixup_f32 v16, v10, v30, s10
	s_delay_alu instid0(VALU_DEP_2)
	v_div_fixup_f32 v17, v11, v1, s11
.LBB85_81:                              ;   in Loop: Header=BB85_5 Depth=1
	s_or_b32 exec_lo, exec_lo, s29
                                        ; implicit-def: $vgpr10_vgpr11_vgpr12_vgpr13
.LBB85_82:                              ;   in Loop: Header=BB85_5 Depth=1
	s_and_not1_saveexec_b32 s2, s3
	s_cbranch_execz .LBB85_3
; %bb.83:                               ;   in Loop: Header=BB85_5 Depth=1
	v_div_scale_f32 v1, null, v13, v13, v12
	v_div_scale_f32 v16, vcc_lo, v12, v13, v12
	s_delay_alu instid0(VALU_DEP_2) | instskip(SKIP_1) | instid1(TRANS32_DEP_1)
	v_rcp_f32_e32 v10, v1
	v_nop
	v_fma_f32 v11, -v1, v10, 1.0
	s_delay_alu instid0(VALU_DEP_1) | instskip(NEXT) | instid1(VALU_DEP_1)
	v_fmac_f32_e32 v10, v11, v10
	v_mul_f32_e32 v11, v16, v10
	s_delay_alu instid0(VALU_DEP_1) | instskip(NEXT) | instid1(VALU_DEP_1)
	v_fma_f32 v17, -v1, v11, v16
	v_fmac_f32_e32 v11, v17, v10
	s_delay_alu instid0(VALU_DEP_1) | instskip(NEXT) | instid1(VALU_DEP_1)
	v_fma_f32 v1, -v1, v11, v16
	v_div_fmas_f32 v1, v1, v10, v11
	s_delay_alu instid0(VALU_DEP_1) | instskip(NEXT) | instid1(VALU_DEP_1)
	v_div_fixup_f32 v10, v1, v13, v12
	v_fmac_f32_e32 v13, v12, v10
	s_delay_alu instid0(VALU_DEP_1) | instskip(SKIP_1) | instid1(VALU_DEP_2)
	v_div_scale_f32 v1, null, v13, v13, 1.0
	v_div_scale_f32 v30, vcc_lo, 1.0, v13, 1.0
	v_rcp_f32_e32 v11, v1
	v_nop
	s_delay_alu instid0(TRANS32_DEP_1) | instskip(NEXT) | instid1(VALU_DEP_1)
	v_fma_f32 v12, -v1, v11, 1.0
	v_fmac_f32_e32 v11, v12, v11
	s_delay_alu instid0(VALU_DEP_1) | instskip(NEXT) | instid1(VALU_DEP_1)
	v_mul_f32_e32 v12, v30, v11
	v_fma_f32 v16, -v1, v12, v30
	s_delay_alu instid0(VALU_DEP_1) | instskip(SKIP_1) | instid1(VALU_DEP_2)
	v_fmac_f32_e32 v12, v16, v11
	v_mov_b64_e32 v[16:17], s[20:21]
	v_fma_f32 v1, -v1, v12, v30
	v_mov_b64_e32 v[30:31], s[10:11]
	s_delay_alu instid0(VALU_DEP_2) | instskip(NEXT) | instid1(VALU_DEP_2)
	v_div_fmas_f32 v1, v1, v11, v12
	v_pk_fma_f32 v[32:33], v[10:11], v[30:31], v[16:17] op_sel_hi:[0,1,1] neg_lo:[0,0,1] neg_hi:[0,0,1]
	v_pk_fma_f32 v[10:11], v[10:11], v[30:31], v[16:17]
	s_delay_alu instid0(VALU_DEP_3) | instskip(NEXT) | instid1(VALU_DEP_3)
	v_div_fixup_f32 v12, v1, v13, 1.0
	v_mov_b32_e32 v11, v33
	s_delay_alu instid0(VALU_DEP_1)
	v_pk_mul_f32 v[16:17], v[10:11], v[12:13] op_sel_hi:[1,0]
	s_branch .LBB85_3
.LBB85_84:
	s_or_b32 exec_lo, exec_lo, s26
	s_mov_b32 s18, 0
.LBB85_85:
	s_delay_alu instid0(SALU_CYCLE_1)
	s_and_not1_b32 vcc_lo, exec_lo, s18
	s_cbranch_vccnz .LBB85_185
; %bb.86:
	v_cmp_lt_i64_e64 s2, s[12:13], 1
	s_and_b32 vcc_lo, exec_lo, s2
	s_cbranch_vccnz .LBB85_185
; %bb.87:
	s_load_b32 s0, s[0:1], 0xc64
	v_min_i64 v[2:3], 0x10000, s[12:13]
	v_min_u64 v[4:5], 0x10000, s[12:13]
	v_mov_b32_e32 v1, 0
	s_mov_b32 s3, 0
	s_wait_kmcnt 0x0
	s_mov_b32 s12, s11
	s_mov_b32 s13, s10
	;; [unrolled: 1-line block ×7, first 2 shown]
	s_mov_b64 s[22:23], 0
	s_and_b32 s2, s0, 0xffff
	s_cmp_neq_f32 s4, 1.0
	s_mul_i32 s18, s2, 3
	s_cselect_b32 s0, -1, 0
	s_and_b32 s1, s5, 0x7fffffff
	s_delay_alu instid0(SALU_CYCLE_1)
	s_cmp_lg_u32 s1, 0
	s_cselect_b32 s1, -1, 0
	s_lshl_b32 s16, s2, 1
	s_lshl_b32 s20, s2, 2
	s_or_b32 s24, s0, s1
	s_branch .LBB85_89
.LBB85_88:                              ;   in Loop: Header=BB85_89 Depth=1
	s_wait_xcnt 0x0
	s_or_b32 exec_lo, exec_lo, s0
	s_add_nc_u64 s[22:23], s[22:23], s[20:21]
	s_delay_alu instid0(SALU_CYCLE_1)
	v_cmp_ge_i64_e32 vcc_lo, s[22:23], v[2:3]
	s_cbranch_vccnz .LBB85_185
.LBB85_89:                              ; =>This Inner Loop Header: Depth=1
	v_add_nc_u64_e32 v[6:7], s[22:23], v[0:1]
	v_dual_mov_b32 v8, 0 :: v_dual_mov_b32 v9, 0
	v_dual_mov_b32 v28, 0 :: v_dual_mov_b32 v29, 0
	s_mov_b32 s0, exec_lo
	s_delay_alu instid0(VALU_DEP_3)
	v_cmpx_lt_i64_e64 v[6:7], v[2:3]
	s_cbranch_execz .LBB85_91
; %bb.90:                               ;   in Loop: Header=BB85_89 Depth=1
	v_lshlrev_b64_e32 v[8:9], 3, v[6:7]
	s_delay_alu instid0(VALU_DEP_1)
	v_add_nc_u64_e32 v[10:11], s[8:9], v[8:9]
	v_add_nc_u64_e32 v[12:13], s[6:7], v[8:9]
	global_load_b64 v[8:9], v[10:11], off
	global_load_b64 v[28:29], v[12:13], off
.LBB85_91:                              ;   in Loop: Header=BB85_89 Depth=1
	s_wait_xcnt 0x0
	s_or_b32 exec_lo, exec_lo, s0
	v_add_nc_u64_e32 v[12:13], s[2:3], v[6:7]
	v_dual_mov_b32 v10, 0 :: v_dual_mov_b32 v14, 0
	v_dual_mov_b32 v15, 0 :: v_dual_mov_b32 v30, 0
	v_mov_b32_e32 v31, 0
	s_mov_b32 s0, exec_lo
	s_delay_alu instid0(VALU_DEP_4)
	v_cmpx_lt_i64_e64 v[12:13], v[2:3]
	s_cbranch_execz .LBB85_93
; %bb.92:                               ;   in Loop: Header=BB85_89 Depth=1
	v_lshlrev_b64_e32 v[14:15], 3, v[12:13]
	s_delay_alu instid0(VALU_DEP_1)
	v_add_nc_u64_e32 v[16:17], s[8:9], v[14:15]
	v_add_nc_u64_e32 v[18:19], s[6:7], v[14:15]
	global_load_b64 v[14:15], v[16:17], off
	global_load_b64 v[30:31], v[18:19], off
.LBB85_93:                              ;   in Loop: Header=BB85_89 Depth=1
	s_wait_xcnt 0x0
	s_or_b32 exec_lo, exec_lo, s0
	v_add_nc_u64_e32 v[16:17], s[16:17], v[6:7]
	v_dual_mov_b32 v11, 0 :: v_dual_mov_b32 v26, 0
	v_mov_b32_e32 v27, 0
	s_mov_b32 s0, exec_lo
	s_delay_alu instid0(VALU_DEP_3)
	v_cmpx_lt_i64_e64 v[16:17], v[2:3]
	s_cbranch_execz .LBB85_95
; %bb.94:                               ;   in Loop: Header=BB85_89 Depth=1
	v_lshlrev_b64_e32 v[10:11], 3, v[16:17]
	s_delay_alu instid0(VALU_DEP_1)
	v_add_nc_u64_e32 v[18:19], s[8:9], v[10:11]
	v_add_nc_u64_e32 v[20:21], s[6:7], v[10:11]
	global_load_b64 v[10:11], v[18:19], off
	global_load_b64 v[26:27], v[20:21], off
.LBB85_95:                              ;   in Loop: Header=BB85_89 Depth=1
	s_wait_xcnt 0x0
	s_or_b32 exec_lo, exec_lo, s0
	v_add_nc_u64_e32 v[18:19], s[18:19], v[6:7]
	v_dual_mov_b32 v20, 0 :: v_dual_mov_b32 v21, 0
	v_dual_mov_b32 v22, 0 :: v_dual_mov_b32 v23, 0
	s_mov_b32 s0, exec_lo
	s_delay_alu instid0(VALU_DEP_3)
	v_cmpx_lt_i64_e64 v[18:19], v[2:3]
	s_cbranch_execz .LBB85_97
; %bb.96:                               ;   in Loop: Header=BB85_89 Depth=1
	v_lshlrev_b64_e32 v[20:21], 3, v[18:19]
	s_delay_alu instid0(VALU_DEP_1)
	v_add_nc_u64_e32 v[24:25], s[8:9], v[20:21]
	v_add_nc_u64_e32 v[32:33], s[6:7], v[20:21]
	global_load_b64 v[20:21], v[24:25], off
	global_load_b64 v[22:23], v[32:33], off
.LBB85_97:                              ;   in Loop: Header=BB85_89 Depth=1
	s_wait_xcnt 0x0
	s_or_b32 exec_lo, exec_lo, s0
	s_wait_loadcnt 0x0
	v_cmp_gt_f32_e32 vcc_lo, 0, v29
	s_mov_b32 s1, -1
                                        ; implicit-def: $vgpr25
	v_cndmask_b32_e64 v32, v29, -v29, vcc_lo
	v_cmp_gt_f32_e32 vcc_lo, 0, v28
	v_cndmask_b32_e64 v33, v28, -v28, vcc_lo
	s_and_b32 vcc_lo, exec_lo, s24
	s_delay_alu instid0(VALU_DEP_1)
	v_cmp_ge_f32_e64 s0, v33, v32
	s_cbranch_vccz .LBB85_107
; %bb.98:                               ;   in Loop: Header=BB85_89 Depth=1
                                        ; implicit-def: $vgpr24_vgpr25
	s_and_saveexec_b32 s1, s0
	s_delay_alu instid0(SALU_CYCLE_1)
	s_xor_b32 s25, exec_lo, s1
	s_cbranch_execz .LBB85_104
; %bb.99:                               ;   in Loop: Header=BB85_89 Depth=1
	v_cmp_neq_f32_e32 vcc_lo, 0, v28
	v_cmp_neq_f32_e64 s1, 0, v29
                                        ; implicit-def: $vgpr24_vgpr25
	s_or_b32 s1, s1, vcc_lo
	s_delay_alu instid0(SALU_CYCLE_1) | instskip(NEXT) | instid1(SALU_CYCLE_1)
	s_and_saveexec_b32 s26, s1
	s_xor_b32 s1, exec_lo, s26
	s_cbranch_execz .LBB85_101
; %bb.100:                              ;   in Loop: Header=BB85_89 Depth=1
	v_div_scale_f32 v24, null, v28, v28, v29
	v_div_scale_f32 v35, vcc_lo, v29, v28, v29
	s_delay_alu instid0(VALU_DEP_2) | instskip(SKIP_1) | instid1(TRANS32_DEP_1)
	v_rcp_f32_e32 v25, v24
	v_nop
	v_fma_f32 v34, -v24, v25, 1.0
	s_delay_alu instid0(VALU_DEP_1) | instskip(NEXT) | instid1(VALU_DEP_1)
	v_fmac_f32_e32 v25, v34, v25
	v_mul_f32_e32 v34, v35, v25
	s_delay_alu instid0(VALU_DEP_1) | instskip(NEXT) | instid1(VALU_DEP_1)
	v_fma_f32 v36, -v24, v34, v35
	v_fmac_f32_e32 v34, v36, v25
	s_delay_alu instid0(VALU_DEP_1) | instskip(NEXT) | instid1(VALU_DEP_1)
	v_fma_f32 v24, -v24, v34, v35
	v_div_fmas_f32 v24, v24, v25, v34
	s_delay_alu instid0(VALU_DEP_1) | instskip(NEXT) | instid1(VALU_DEP_1)
	v_div_fixup_f32 v24, v24, v28, v29
	v_fma_f32 v40, v29, v24, v28
	s_delay_alu instid0(VALU_DEP_1) | instskip(SKIP_1) | instid1(VALU_DEP_2)
	v_div_scale_f32 v25, null, v40, v40, 1.0
	v_div_scale_f32 v36, vcc_lo, 1.0, v40, 1.0
	v_rcp_f32_e32 v38, v25
	v_nop
	s_delay_alu instid0(TRANS32_DEP_1) | instskip(NEXT) | instid1(VALU_DEP_1)
	v_fma_f32 v34, -v25, v38, 1.0
	v_fmac_f32_e32 v38, v34, v38
	s_delay_alu instid0(VALU_DEP_1) | instskip(NEXT) | instid1(VALU_DEP_1)
	v_mul_f32_e32 v39, v36, v38
	v_fma_f32 v34, -v25, v39, v36
	s_delay_alu instid0(VALU_DEP_1) | instskip(SKIP_1) | instid1(VALU_DEP_2)
	v_fmac_f32_e32 v39, v34, v38
	v_mov_b64_e32 v[34:35], s[10:11]
	v_fma_f32 v25, -v25, v39, v36
	v_mov_b64_e32 v[36:37], s[12:13]
	s_delay_alu instid0(VALU_DEP_2) | instskip(NEXT) | instid1(VALU_DEP_2)
	v_div_fmas_f32 v41, v25, v38, v39
	v_pk_fma_f32 v[38:39], v[24:25], v[36:37], v[34:35] op_sel_hi:[0,1,1] neg_lo:[1,0,0] neg_hi:[1,0,0]
	v_pk_fma_f32 v[24:25], v[24:25], v[36:37], v[34:35]
	s_delay_alu instid0(VALU_DEP_3) | instskip(NEXT) | instid1(VALU_DEP_3)
	v_div_fixup_f32 v34, v41, v40, 1.0
	v_mov_b32_e32 v25, v39
	s_delay_alu instid0(VALU_DEP_1)
	v_pk_mul_f32 v[24:25], v[24:25], v[34:35] op_sel_hi:[1,0]
.LBB85_101:                             ;   in Loop: Header=BB85_89 Depth=1
	s_and_not1_saveexec_b32 s26, s1
	s_cbranch_execz .LBB85_103
; %bb.102:                              ;   in Loop: Header=BB85_89 Depth=1
	v_div_scale_f32 v24, null, v32, v32, s11
	v_div_scale_f32 v25, null, v33, v33, s10
	v_div_scale_f32 v38, vcc_lo, s11, v32, s11
	s_delay_alu instid0(VALU_DEP_3) | instskip(NEXT) | instid1(VALU_DEP_2)
	v_rcp_f32_e32 v34, v24
	v_rcp_f32_e32 v35, v25
	s_delay_alu instid0(TRANS32_DEP_2) | instskip(NEXT) | instid1(TRANS32_DEP_1)
	v_fma_f32 v36, -v24, v34, 1.0
	v_fma_f32 v37, -v25, v35, 1.0
	s_delay_alu instid0(VALU_DEP_1) | instskip(SKIP_1) | instid1(VALU_DEP_1)
	v_dual_fmac_f32 v34, v36, v34 :: v_dual_fmac_f32 v35, v37, v35
	v_div_scale_f32 v36, s1, s10, v33, s10
	v_dual_mul_f32 v37, v38, v34 :: v_dual_mul_f32 v39, v36, v35
	s_delay_alu instid0(VALU_DEP_1) | instskip(NEXT) | instid1(VALU_DEP_1)
	v_dual_fma_f32 v40, -v24, v37, v38 :: v_dual_fma_f32 v41, -v25, v39, v36
	v_dual_fmac_f32 v37, v40, v34 :: v_dual_fmac_f32 v39, v41, v35
	s_delay_alu instid0(VALU_DEP_1) | instskip(NEXT) | instid1(VALU_DEP_1)
	v_dual_fma_f32 v24, -v24, v37, v38 :: v_dual_fma_f32 v25, -v25, v39, v36
	v_div_fmas_f32 v24, v24, v34, v37
	s_mov_b32 vcc_lo, s1
	s_delay_alu instid0(VALU_DEP_2) | instskip(NEXT) | instid1(VALU_DEP_2)
	v_div_fmas_f32 v34, v25, v35, v39
	v_div_fixup_f32 v25, v24, v32, s11
	s_delay_alu instid0(VALU_DEP_2)
	v_div_fixup_f32 v24, v34, v33, s10
.LBB85_103:                             ;   in Loop: Header=BB85_89 Depth=1
	s_or_b32 exec_lo, exec_lo, s26
.LBB85_104:                             ;   in Loop: Header=BB85_89 Depth=1
	s_and_not1_saveexec_b32 s1, s25
	s_cbranch_execz .LBB85_106
; %bb.105:                              ;   in Loop: Header=BB85_89 Depth=1
	v_div_scale_f32 v24, null, v29, v29, v28
	v_div_scale_f32 v35, vcc_lo, v28, v29, v28
	s_delay_alu instid0(VALU_DEP_2) | instskip(SKIP_1) | instid1(TRANS32_DEP_1)
	v_rcp_f32_e32 v25, v24
	v_nop
	v_fma_f32 v34, -v24, v25, 1.0
	s_delay_alu instid0(VALU_DEP_1) | instskip(NEXT) | instid1(VALU_DEP_1)
	v_fmac_f32_e32 v25, v34, v25
	v_mul_f32_e32 v34, v35, v25
	s_delay_alu instid0(VALU_DEP_1) | instskip(NEXT) | instid1(VALU_DEP_1)
	v_fma_f32 v36, -v24, v34, v35
	v_fmac_f32_e32 v34, v36, v25
	s_delay_alu instid0(VALU_DEP_1) | instskip(NEXT) | instid1(VALU_DEP_1)
	v_fma_f32 v24, -v24, v34, v35
	v_div_fmas_f32 v24, v24, v25, v34
	s_delay_alu instid0(VALU_DEP_1) | instskip(NEXT) | instid1(VALU_DEP_1)
	v_div_fixup_f32 v24, v24, v29, v28
	v_fma_f32 v40, v28, v24, v29
	s_delay_alu instid0(VALU_DEP_1) | instskip(SKIP_1) | instid1(VALU_DEP_2)
	v_div_scale_f32 v25, null, v40, v40, 1.0
	v_div_scale_f32 v36, vcc_lo, 1.0, v40, 1.0
	v_rcp_f32_e32 v38, v25
	v_nop
	s_delay_alu instid0(TRANS32_DEP_1) | instskip(NEXT) | instid1(VALU_DEP_1)
	v_fma_f32 v34, -v25, v38, 1.0
	v_fmac_f32_e32 v38, v34, v38
	s_delay_alu instid0(VALU_DEP_1) | instskip(NEXT) | instid1(VALU_DEP_1)
	v_mul_f32_e32 v39, v36, v38
	v_fma_f32 v34, -v25, v39, v36
	s_delay_alu instid0(VALU_DEP_1) | instskip(SKIP_1) | instid1(VALU_DEP_2)
	v_fmac_f32_e32 v39, v34, v38
	v_mov_b64_e32 v[34:35], s[12:13]
	v_fma_f32 v25, -v25, v39, v36
	v_mov_b64_e32 v[36:37], s[10:11]
	s_delay_alu instid0(VALU_DEP_2) | instskip(NEXT) | instid1(VALU_DEP_2)
	v_div_fmas_f32 v41, v25, v38, v39
	v_pk_fma_f32 v[38:39], v[24:25], v[36:37], v[34:35] op_sel_hi:[0,1,1] neg_lo:[0,0,1] neg_hi:[0,0,1]
	v_pk_fma_f32 v[24:25], v[24:25], v[36:37], v[34:35]
	s_delay_alu instid0(VALU_DEP_3) | instskip(NEXT) | instid1(VALU_DEP_3)
	v_div_fixup_f32 v34, v41, v40, 1.0
	v_mov_b32_e32 v25, v39
	s_delay_alu instid0(VALU_DEP_1)
	v_pk_mul_f32 v[24:25], v[24:25], v[34:35] op_sel_hi:[1,0]
.LBB85_106:                             ;   in Loop: Header=BB85_89 Depth=1
	s_or_b32 exec_lo, exec_lo, s1
	v_mov_b64_e32 v[34:35], s[14:15]
	v_mov_b64_e32 v[36:37], s[4:5]
	s_mov_b32 s1, 0
	s_delay_alu instid0(VALU_DEP_2) | instskip(NEXT) | instid1(VALU_DEP_2)
	v_pk_mul_f32 v[34:35], v[24:25], v[34:35] op_sel:[1,0]
	v_pk_mul_f32 v[38:39], v[24:25], v[36:37] op_sel_hi:[0,1]
	s_delay_alu instid0(VALU_DEP_2) | instskip(NEXT) | instid1(VALU_DEP_2)
	v_pk_fma_f32 v[24:25], v[24:25], v[36:37], v[34:35] op_sel_hi:[0,1,1]
	v_sub_f32_e32 v24, v38, v34
.LBB85_107:                             ;   in Loop: Header=BB85_89 Depth=1
	s_and_b32 vcc_lo, exec_lo, s1
	s_cbranch_vccz .LBB85_117
; %bb.108:                              ;   in Loop: Header=BB85_89 Depth=1
                                        ; implicit-def: $vgpr25
	s_and_saveexec_b32 s1, s0
	s_delay_alu instid0(SALU_CYCLE_1)
	s_xor_b32 s1, exec_lo, s1
	s_cbranch_execz .LBB85_114
; %bb.109:                              ;   in Loop: Header=BB85_89 Depth=1
	v_cmp_neq_f32_e32 vcc_lo, 0, v28
	v_cmp_neq_f32_e64 s0, 0, v29
                                        ; implicit-def: $vgpr25
	s_or_b32 s0, s0, vcc_lo
	s_delay_alu instid0(SALU_CYCLE_1) | instskip(NEXT) | instid1(SALU_CYCLE_1)
	s_and_saveexec_b32 s25, s0
	s_xor_b32 s0, exec_lo, s25
	s_cbranch_execz .LBB85_111
; %bb.110:                              ;   in Loop: Header=BB85_89 Depth=1
	v_div_scale_f32 v24, null, v28, v28, v29
	v_div_scale_f32 v33, vcc_lo, v29, v28, v29
	s_delay_alu instid0(VALU_DEP_2) | instskip(SKIP_1) | instid1(TRANS32_DEP_1)
	v_rcp_f32_e32 v25, v24
	v_nop
	v_fma_f32 v32, -v24, v25, 1.0
	s_delay_alu instid0(VALU_DEP_1) | instskip(NEXT) | instid1(VALU_DEP_1)
	v_fmac_f32_e32 v25, v32, v25
	v_mul_f32_e32 v32, v33, v25
	s_delay_alu instid0(VALU_DEP_1) | instskip(NEXT) | instid1(VALU_DEP_1)
	v_fma_f32 v34, -v24, v32, v33
	v_fmac_f32_e32 v32, v34, v25
	s_delay_alu instid0(VALU_DEP_1) | instskip(NEXT) | instid1(VALU_DEP_1)
	v_fma_f32 v24, -v24, v32, v33
	v_div_fmas_f32 v24, v24, v25, v32
	s_delay_alu instid0(VALU_DEP_1) | instskip(NEXT) | instid1(VALU_DEP_1)
	v_div_fixup_f32 v24, v24, v28, v29
	v_fmac_f32_e32 v28, v29, v24
	s_delay_alu instid0(VALU_DEP_1) | instskip(SKIP_1) | instid1(VALU_DEP_2)
	v_div_scale_f32 v25, null, v28, v28, 1.0
	v_div_scale_f32 v34, vcc_lo, 1.0, v28, 1.0
	v_rcp_f32_e32 v29, v25
	v_nop
	s_delay_alu instid0(TRANS32_DEP_1) | instskip(NEXT) | instid1(VALU_DEP_1)
	v_fma_f32 v32, -v25, v29, 1.0
	v_fmac_f32_e32 v29, v32, v29
	s_delay_alu instid0(VALU_DEP_1) | instskip(NEXT) | instid1(VALU_DEP_1)
	v_mul_f32_e32 v36, v34, v29
	v_fma_f32 v32, -v25, v36, v34
	s_delay_alu instid0(VALU_DEP_1) | instskip(SKIP_1) | instid1(VALU_DEP_2)
	v_fmac_f32_e32 v36, v32, v29
	v_mov_b64_e32 v[32:33], s[10:11]
	v_fma_f32 v25, -v25, v36, v34
	v_mov_b64_e32 v[34:35], s[12:13]
	s_delay_alu instid0(VALU_DEP_2) | instskip(NEXT) | instid1(VALU_DEP_2)
	v_div_fmas_f32 v29, v25, v29, v36
	v_pk_fma_f32 v[36:37], v[24:25], v[34:35], v[32:33] op_sel_hi:[0,1,1] neg_lo:[1,0,0] neg_hi:[1,0,0]
	v_pk_fma_f32 v[24:25], v[24:25], v[34:35], v[32:33]
	s_delay_alu instid0(VALU_DEP_3) | instskip(NEXT) | instid1(VALU_DEP_3)
	v_div_fixup_f32 v28, v29, v28, 1.0
                                        ; implicit-def: $vgpr33
                                        ; implicit-def: $vgpr32
	v_mov_b32_e32 v25, v37
	s_delay_alu instid0(VALU_DEP_1)
	v_pk_mul_f32 v[24:25], v[24:25], v[28:29] op_sel_hi:[1,0]
.LBB85_111:                             ;   in Loop: Header=BB85_89 Depth=1
	s_and_not1_saveexec_b32 s25, s0
	s_cbranch_execz .LBB85_113
; %bb.112:                              ;   in Loop: Header=BB85_89 Depth=1
	v_div_scale_f32 v24, null, v33, v33, s10
	v_div_scale_f32 v25, null, v32, v32, s11
	v_div_scale_f32 v36, vcc_lo, s10, v33, s10
	s_delay_alu instid0(VALU_DEP_3) | instskip(NEXT) | instid1(VALU_DEP_2)
	v_rcp_f32_e32 v28, v24
	v_rcp_f32_e32 v29, v25
	s_delay_alu instid0(TRANS32_DEP_2) | instskip(NEXT) | instid1(TRANS32_DEP_1)
	v_fma_f32 v34, -v24, v28, 1.0
	v_fma_f32 v35, -v25, v29, 1.0
	s_delay_alu instid0(VALU_DEP_1) | instskip(SKIP_1) | instid1(VALU_DEP_1)
	v_dual_fmac_f32 v28, v34, v28 :: v_dual_fmac_f32 v29, v35, v29
	v_div_scale_f32 v34, s0, s11, v32, s11
	v_dual_mul_f32 v35, v36, v28 :: v_dual_mul_f32 v37, v34, v29
	s_delay_alu instid0(VALU_DEP_1) | instskip(NEXT) | instid1(VALU_DEP_1)
	v_dual_fma_f32 v38, -v24, v35, v36 :: v_dual_fma_f32 v39, -v25, v37, v34
	v_dual_fmac_f32 v35, v38, v28 :: v_dual_fmac_f32 v37, v39, v29
	s_delay_alu instid0(VALU_DEP_1) | instskip(NEXT) | instid1(VALU_DEP_1)
	v_dual_fma_f32 v24, -v24, v35, v36 :: v_dual_fma_f32 v25, -v25, v37, v34
	v_div_fmas_f32 v24, v24, v28, v35
	s_mov_b32 vcc_lo, s0
	s_delay_alu instid0(VALU_DEP_2) | instskip(NEXT) | instid1(VALU_DEP_2)
	v_div_fmas_f32 v25, v25, v29, v37
	v_div_fixup_f32 v24, v24, v33, s10
	s_delay_alu instid0(VALU_DEP_2)
	v_div_fixup_f32 v25, v25, v32, s11
.LBB85_113:                             ;   in Loop: Header=BB85_89 Depth=1
	s_or_b32 exec_lo, exec_lo, s25
                                        ; implicit-def: $vgpr29
.LBB85_114:                             ;   in Loop: Header=BB85_89 Depth=1
	s_and_not1_saveexec_b32 s0, s1
	s_cbranch_execz .LBB85_116
; %bb.115:                              ;   in Loop: Header=BB85_89 Depth=1
	v_div_scale_f32 v24, null, v29, v29, v28
	v_div_scale_f32 v33, vcc_lo, v28, v29, v28
	s_delay_alu instid0(VALU_DEP_2) | instskip(SKIP_1) | instid1(TRANS32_DEP_1)
	v_rcp_f32_e32 v25, v24
	v_nop
	v_fma_f32 v32, -v24, v25, 1.0
	s_delay_alu instid0(VALU_DEP_1) | instskip(NEXT) | instid1(VALU_DEP_1)
	v_fmac_f32_e32 v25, v32, v25
	v_mul_f32_e32 v32, v33, v25
	s_delay_alu instid0(VALU_DEP_1) | instskip(NEXT) | instid1(VALU_DEP_1)
	v_fma_f32 v34, -v24, v32, v33
	v_fmac_f32_e32 v32, v34, v25
	s_delay_alu instid0(VALU_DEP_1) | instskip(NEXT) | instid1(VALU_DEP_1)
	v_fma_f32 v24, -v24, v32, v33
	v_div_fmas_f32 v24, v24, v25, v32
	s_delay_alu instid0(VALU_DEP_1) | instskip(NEXT) | instid1(VALU_DEP_1)
	v_div_fixup_f32 v24, v24, v29, v28
	v_fmac_f32_e32 v29, v28, v24
	s_delay_alu instid0(VALU_DEP_1) | instskip(SKIP_1) | instid1(VALU_DEP_2)
	v_div_scale_f32 v25, null, v29, v29, 1.0
	v_div_scale_f32 v34, vcc_lo, 1.0, v29, 1.0
	v_rcp_f32_e32 v28, v25
	v_nop
	s_delay_alu instid0(TRANS32_DEP_1) | instskip(NEXT) | instid1(VALU_DEP_1)
	v_fma_f32 v32, -v25, v28, 1.0
	v_fmac_f32_e32 v28, v32, v28
	s_delay_alu instid0(VALU_DEP_1) | instskip(NEXT) | instid1(VALU_DEP_1)
	v_mul_f32_e32 v36, v34, v28
	v_fma_f32 v32, -v25, v36, v34
	s_delay_alu instid0(VALU_DEP_1) | instskip(SKIP_1) | instid1(VALU_DEP_2)
	v_fmac_f32_e32 v36, v32, v28
	v_mov_b64_e32 v[32:33], s[12:13]
	v_fma_f32 v25, -v25, v36, v34
	v_mov_b64_e32 v[34:35], s[10:11]
	s_delay_alu instid0(VALU_DEP_2) | instskip(NEXT) | instid1(VALU_DEP_2)
	v_div_fmas_f32 v28, v25, v28, v36
	v_pk_fma_f32 v[36:37], v[24:25], v[34:35], v[32:33] op_sel_hi:[0,1,1] neg_lo:[0,0,1] neg_hi:[0,0,1]
	v_pk_fma_f32 v[24:25], v[24:25], v[34:35], v[32:33]
	s_delay_alu instid0(VALU_DEP_3) | instskip(NEXT) | instid1(VALU_DEP_3)
	v_div_fixup_f32 v28, v28, v29, 1.0
	v_mov_b32_e32 v25, v37
	s_delay_alu instid0(VALU_DEP_1)
	v_pk_mul_f32 v[24:25], v[24:25], v[28:29] op_sel_hi:[1,0]
.LBB85_116:                             ;   in Loop: Header=BB85_89 Depth=1
	s_or_b32 exec_lo, exec_lo, s0
.LBB85_117:                             ;   in Loop: Header=BB85_89 Depth=1
	v_cmp_gt_f32_e32 vcc_lo, 0, v31
	s_mov_b32 s1, -1
                                        ; implicit-def: $vgpr29
	v_cndmask_b32_e64 v32, v31, -v31, vcc_lo
	v_cmp_gt_f32_e32 vcc_lo, 0, v30
	v_cndmask_b32_e64 v33, v30, -v30, vcc_lo
	s_and_not1_b32 vcc_lo, exec_lo, s24
	s_delay_alu instid0(VALU_DEP_1)
	v_cmp_ge_f32_e64 s0, v33, v32
	s_cbranch_vccnz .LBB85_127
; %bb.118:                              ;   in Loop: Header=BB85_89 Depth=1
                                        ; implicit-def: $vgpr28_vgpr29
	s_and_saveexec_b32 s1, s0
	s_delay_alu instid0(SALU_CYCLE_1)
	s_xor_b32 s25, exec_lo, s1
	s_cbranch_execz .LBB85_124
; %bb.119:                              ;   in Loop: Header=BB85_89 Depth=1
	v_cmp_neq_f32_e32 vcc_lo, 0, v30
	v_cmp_neq_f32_e64 s1, 0, v31
                                        ; implicit-def: $vgpr28_vgpr29
	s_or_b32 s1, s1, vcc_lo
	s_delay_alu instid0(SALU_CYCLE_1) | instskip(NEXT) | instid1(SALU_CYCLE_1)
	s_and_saveexec_b32 s26, s1
	s_xor_b32 s1, exec_lo, s26
	s_cbranch_execz .LBB85_121
; %bb.120:                              ;   in Loop: Header=BB85_89 Depth=1
	v_div_scale_f32 v28, null, v30, v30, v31
	v_div_scale_f32 v35, vcc_lo, v31, v30, v31
	s_delay_alu instid0(VALU_DEP_2) | instskip(SKIP_1) | instid1(TRANS32_DEP_1)
	v_rcp_f32_e32 v29, v28
	v_nop
	v_fma_f32 v34, -v28, v29, 1.0
	s_delay_alu instid0(VALU_DEP_1) | instskip(NEXT) | instid1(VALU_DEP_1)
	v_fmac_f32_e32 v29, v34, v29
	v_mul_f32_e32 v34, v35, v29
	s_delay_alu instid0(VALU_DEP_1) | instskip(NEXT) | instid1(VALU_DEP_1)
	v_fma_f32 v36, -v28, v34, v35
	v_fmac_f32_e32 v34, v36, v29
	s_delay_alu instid0(VALU_DEP_1) | instskip(NEXT) | instid1(VALU_DEP_1)
	v_fma_f32 v28, -v28, v34, v35
	v_div_fmas_f32 v28, v28, v29, v34
	s_delay_alu instid0(VALU_DEP_1) | instskip(NEXT) | instid1(VALU_DEP_1)
	v_div_fixup_f32 v28, v28, v30, v31
	v_fma_f32 v40, v31, v28, v30
	s_delay_alu instid0(VALU_DEP_1) | instskip(SKIP_1) | instid1(VALU_DEP_2)
	v_div_scale_f32 v29, null, v40, v40, 1.0
	v_div_scale_f32 v36, vcc_lo, 1.0, v40, 1.0
	v_rcp_f32_e32 v38, v29
	v_nop
	s_delay_alu instid0(TRANS32_DEP_1) | instskip(NEXT) | instid1(VALU_DEP_1)
	v_fma_f32 v34, -v29, v38, 1.0
	v_fmac_f32_e32 v38, v34, v38
	s_delay_alu instid0(VALU_DEP_1) | instskip(NEXT) | instid1(VALU_DEP_1)
	v_mul_f32_e32 v39, v36, v38
	v_fma_f32 v34, -v29, v39, v36
	s_delay_alu instid0(VALU_DEP_1) | instskip(SKIP_1) | instid1(VALU_DEP_2)
	v_fmac_f32_e32 v39, v34, v38
	v_mov_b64_e32 v[34:35], s[10:11]
	v_fma_f32 v29, -v29, v39, v36
	v_mov_b64_e32 v[36:37], s[12:13]
	s_delay_alu instid0(VALU_DEP_2) | instskip(NEXT) | instid1(VALU_DEP_2)
	v_div_fmas_f32 v41, v29, v38, v39
	v_pk_fma_f32 v[38:39], v[28:29], v[36:37], v[34:35] op_sel_hi:[0,1,1] neg_lo:[1,0,0] neg_hi:[1,0,0]
	v_pk_fma_f32 v[28:29], v[28:29], v[36:37], v[34:35]
	s_delay_alu instid0(VALU_DEP_3) | instskip(NEXT) | instid1(VALU_DEP_3)
	v_div_fixup_f32 v34, v41, v40, 1.0
	v_mov_b32_e32 v29, v39
	s_delay_alu instid0(VALU_DEP_1)
	v_pk_mul_f32 v[28:29], v[28:29], v[34:35] op_sel_hi:[1,0]
.LBB85_121:                             ;   in Loop: Header=BB85_89 Depth=1
	s_and_not1_saveexec_b32 s26, s1
	s_cbranch_execz .LBB85_123
; %bb.122:                              ;   in Loop: Header=BB85_89 Depth=1
	v_div_scale_f32 v28, null, v32, v32, s11
	v_div_scale_f32 v29, null, v33, v33, s10
	v_div_scale_f32 v38, vcc_lo, s11, v32, s11
	s_delay_alu instid0(VALU_DEP_3) | instskip(NEXT) | instid1(VALU_DEP_2)
	v_rcp_f32_e32 v34, v28
	v_rcp_f32_e32 v35, v29
	s_delay_alu instid0(TRANS32_DEP_2) | instskip(NEXT) | instid1(TRANS32_DEP_1)
	v_fma_f32 v36, -v28, v34, 1.0
	v_fma_f32 v37, -v29, v35, 1.0
	s_delay_alu instid0(VALU_DEP_1) | instskip(SKIP_1) | instid1(VALU_DEP_1)
	v_dual_fmac_f32 v34, v36, v34 :: v_dual_fmac_f32 v35, v37, v35
	v_div_scale_f32 v36, s1, s10, v33, s10
	v_dual_mul_f32 v37, v38, v34 :: v_dual_mul_f32 v39, v36, v35
	s_delay_alu instid0(VALU_DEP_1) | instskip(NEXT) | instid1(VALU_DEP_1)
	v_dual_fma_f32 v40, -v28, v37, v38 :: v_dual_fma_f32 v41, -v29, v39, v36
	v_dual_fmac_f32 v37, v40, v34 :: v_dual_fmac_f32 v39, v41, v35
	s_delay_alu instid0(VALU_DEP_1) | instskip(NEXT) | instid1(VALU_DEP_1)
	v_dual_fma_f32 v28, -v28, v37, v38 :: v_dual_fma_f32 v29, -v29, v39, v36
	v_div_fmas_f32 v28, v28, v34, v37
	s_mov_b32 vcc_lo, s1
	s_delay_alu instid0(VALU_DEP_2) | instskip(NEXT) | instid1(VALU_DEP_2)
	v_div_fmas_f32 v34, v29, v35, v39
	v_div_fixup_f32 v29, v28, v32, s11
	s_delay_alu instid0(VALU_DEP_2)
	v_div_fixup_f32 v28, v34, v33, s10
.LBB85_123:                             ;   in Loop: Header=BB85_89 Depth=1
	s_or_b32 exec_lo, exec_lo, s26
.LBB85_124:                             ;   in Loop: Header=BB85_89 Depth=1
	s_and_not1_saveexec_b32 s1, s25
	s_cbranch_execz .LBB85_126
; %bb.125:                              ;   in Loop: Header=BB85_89 Depth=1
	v_div_scale_f32 v28, null, v31, v31, v30
	v_div_scale_f32 v35, vcc_lo, v30, v31, v30
	s_delay_alu instid0(VALU_DEP_2) | instskip(SKIP_1) | instid1(TRANS32_DEP_1)
	v_rcp_f32_e32 v29, v28
	v_nop
	v_fma_f32 v34, -v28, v29, 1.0
	s_delay_alu instid0(VALU_DEP_1) | instskip(NEXT) | instid1(VALU_DEP_1)
	v_fmac_f32_e32 v29, v34, v29
	v_mul_f32_e32 v34, v35, v29
	s_delay_alu instid0(VALU_DEP_1) | instskip(NEXT) | instid1(VALU_DEP_1)
	v_fma_f32 v36, -v28, v34, v35
	v_fmac_f32_e32 v34, v36, v29
	s_delay_alu instid0(VALU_DEP_1) | instskip(NEXT) | instid1(VALU_DEP_1)
	v_fma_f32 v28, -v28, v34, v35
	v_div_fmas_f32 v28, v28, v29, v34
	s_delay_alu instid0(VALU_DEP_1) | instskip(NEXT) | instid1(VALU_DEP_1)
	v_div_fixup_f32 v28, v28, v31, v30
	v_fma_f32 v40, v30, v28, v31
	s_delay_alu instid0(VALU_DEP_1) | instskip(SKIP_1) | instid1(VALU_DEP_2)
	v_div_scale_f32 v29, null, v40, v40, 1.0
	v_div_scale_f32 v36, vcc_lo, 1.0, v40, 1.0
	v_rcp_f32_e32 v38, v29
	v_nop
	s_delay_alu instid0(TRANS32_DEP_1) | instskip(NEXT) | instid1(VALU_DEP_1)
	v_fma_f32 v34, -v29, v38, 1.0
	v_fmac_f32_e32 v38, v34, v38
	s_delay_alu instid0(VALU_DEP_1) | instskip(NEXT) | instid1(VALU_DEP_1)
	v_mul_f32_e32 v39, v36, v38
	v_fma_f32 v34, -v29, v39, v36
	s_delay_alu instid0(VALU_DEP_1) | instskip(SKIP_1) | instid1(VALU_DEP_2)
	v_fmac_f32_e32 v39, v34, v38
	v_mov_b64_e32 v[34:35], s[12:13]
	v_fma_f32 v29, -v29, v39, v36
	v_mov_b64_e32 v[36:37], s[10:11]
	s_delay_alu instid0(VALU_DEP_2) | instskip(NEXT) | instid1(VALU_DEP_2)
	v_div_fmas_f32 v41, v29, v38, v39
	v_pk_fma_f32 v[38:39], v[28:29], v[36:37], v[34:35] op_sel_hi:[0,1,1] neg_lo:[0,0,1] neg_hi:[0,0,1]
	v_pk_fma_f32 v[28:29], v[28:29], v[36:37], v[34:35]
	s_delay_alu instid0(VALU_DEP_3) | instskip(NEXT) | instid1(VALU_DEP_3)
	v_div_fixup_f32 v34, v41, v40, 1.0
	v_mov_b32_e32 v29, v39
	s_delay_alu instid0(VALU_DEP_1)
	v_pk_mul_f32 v[28:29], v[28:29], v[34:35] op_sel_hi:[1,0]
.LBB85_126:                             ;   in Loop: Header=BB85_89 Depth=1
	s_or_b32 exec_lo, exec_lo, s1
	v_mov_b64_e32 v[34:35], s[14:15]
	v_mov_b64_e32 v[36:37], s[4:5]
	s_mov_b32 s1, 0
	s_delay_alu instid0(VALU_DEP_2) | instskip(NEXT) | instid1(VALU_DEP_2)
	v_pk_mul_f32 v[34:35], v[28:29], v[34:35] op_sel:[1,0]
	v_pk_mul_f32 v[38:39], v[28:29], v[36:37] op_sel_hi:[0,1]
	s_delay_alu instid0(VALU_DEP_2) | instskip(NEXT) | instid1(VALU_DEP_2)
	v_pk_fma_f32 v[28:29], v[28:29], v[36:37], v[34:35] op_sel_hi:[0,1,1]
	v_sub_f32_e32 v28, v38, v34
.LBB85_127:                             ;   in Loop: Header=BB85_89 Depth=1
	s_and_b32 vcc_lo, exec_lo, s1
	s_cbranch_vccz .LBB85_137
; %bb.128:                              ;   in Loop: Header=BB85_89 Depth=1
                                        ; implicit-def: $vgpr29
	s_and_saveexec_b32 s1, s0
	s_delay_alu instid0(SALU_CYCLE_1)
	s_xor_b32 s1, exec_lo, s1
	s_cbranch_execz .LBB85_134
; %bb.129:                              ;   in Loop: Header=BB85_89 Depth=1
	v_cmp_neq_f32_e32 vcc_lo, 0, v30
	v_cmp_neq_f32_e64 s0, 0, v31
                                        ; implicit-def: $vgpr29
	s_or_b32 s0, s0, vcc_lo
	s_delay_alu instid0(SALU_CYCLE_1) | instskip(NEXT) | instid1(SALU_CYCLE_1)
	s_and_saveexec_b32 s25, s0
	s_xor_b32 s0, exec_lo, s25
	s_cbranch_execz .LBB85_131
; %bb.130:                              ;   in Loop: Header=BB85_89 Depth=1
	v_div_scale_f32 v28, null, v30, v30, v31
	v_div_scale_f32 v33, vcc_lo, v31, v30, v31
	s_delay_alu instid0(VALU_DEP_2) | instskip(SKIP_1) | instid1(TRANS32_DEP_1)
	v_rcp_f32_e32 v29, v28
	v_nop
	v_fma_f32 v32, -v28, v29, 1.0
	s_delay_alu instid0(VALU_DEP_1) | instskip(NEXT) | instid1(VALU_DEP_1)
	v_fmac_f32_e32 v29, v32, v29
	v_mul_f32_e32 v32, v33, v29
	s_delay_alu instid0(VALU_DEP_1) | instskip(NEXT) | instid1(VALU_DEP_1)
	v_fma_f32 v34, -v28, v32, v33
	v_fmac_f32_e32 v32, v34, v29
	s_delay_alu instid0(VALU_DEP_1) | instskip(NEXT) | instid1(VALU_DEP_1)
	v_fma_f32 v28, -v28, v32, v33
	v_div_fmas_f32 v28, v28, v29, v32
	s_delay_alu instid0(VALU_DEP_1) | instskip(NEXT) | instid1(VALU_DEP_1)
	v_div_fixup_f32 v28, v28, v30, v31
	v_fmac_f32_e32 v30, v31, v28
	s_delay_alu instid0(VALU_DEP_1) | instskip(SKIP_1) | instid1(VALU_DEP_2)
	v_div_scale_f32 v29, null, v30, v30, 1.0
	v_div_scale_f32 v34, vcc_lo, 1.0, v30, 1.0
	v_rcp_f32_e32 v31, v29
	v_nop
	s_delay_alu instid0(TRANS32_DEP_1) | instskip(NEXT) | instid1(VALU_DEP_1)
	v_fma_f32 v32, -v29, v31, 1.0
	v_fmac_f32_e32 v31, v32, v31
	s_delay_alu instid0(VALU_DEP_1) | instskip(NEXT) | instid1(VALU_DEP_1)
	v_mul_f32_e32 v36, v34, v31
	v_fma_f32 v32, -v29, v36, v34
	s_delay_alu instid0(VALU_DEP_1) | instskip(SKIP_1) | instid1(VALU_DEP_2)
	v_fmac_f32_e32 v36, v32, v31
	v_mov_b64_e32 v[32:33], s[10:11]
	v_fma_f32 v29, -v29, v36, v34
	v_mov_b64_e32 v[34:35], s[12:13]
	s_delay_alu instid0(VALU_DEP_2) | instskip(NEXT) | instid1(VALU_DEP_2)
	v_div_fmas_f32 v31, v29, v31, v36
	v_pk_fma_f32 v[36:37], v[28:29], v[34:35], v[32:33] op_sel_hi:[0,1,1] neg_lo:[1,0,0] neg_hi:[1,0,0]
	v_pk_fma_f32 v[28:29], v[28:29], v[34:35], v[32:33]
	s_delay_alu instid0(VALU_DEP_3) | instskip(NEXT) | instid1(VALU_DEP_3)
	v_div_fixup_f32 v30, v31, v30, 1.0
                                        ; implicit-def: $vgpr33
                                        ; implicit-def: $vgpr32
	v_mov_b32_e32 v29, v37
	s_delay_alu instid0(VALU_DEP_1)
	v_pk_mul_f32 v[28:29], v[28:29], v[30:31] op_sel_hi:[1,0]
.LBB85_131:                             ;   in Loop: Header=BB85_89 Depth=1
	s_and_not1_saveexec_b32 s25, s0
	s_cbranch_execz .LBB85_133
; %bb.132:                              ;   in Loop: Header=BB85_89 Depth=1
	v_div_scale_f32 v28, null, v33, v33, s10
	v_div_scale_f32 v29, null, v32, v32, s11
	v_div_scale_f32 v36, vcc_lo, s10, v33, s10
	s_delay_alu instid0(VALU_DEP_3) | instskip(NEXT) | instid1(VALU_DEP_2)
	v_rcp_f32_e32 v30, v28
	v_rcp_f32_e32 v31, v29
	s_delay_alu instid0(TRANS32_DEP_2) | instskip(NEXT) | instid1(TRANS32_DEP_1)
	v_fma_f32 v34, -v28, v30, 1.0
	v_fma_f32 v35, -v29, v31, 1.0
	s_delay_alu instid0(VALU_DEP_1) | instskip(SKIP_1) | instid1(VALU_DEP_1)
	v_dual_fmac_f32 v30, v34, v30 :: v_dual_fmac_f32 v31, v35, v31
	v_div_scale_f32 v34, s0, s11, v32, s11
	v_dual_mul_f32 v35, v36, v30 :: v_dual_mul_f32 v37, v34, v31
	s_delay_alu instid0(VALU_DEP_1) | instskip(NEXT) | instid1(VALU_DEP_1)
	v_dual_fma_f32 v38, -v28, v35, v36 :: v_dual_fma_f32 v39, -v29, v37, v34
	v_dual_fmac_f32 v35, v38, v30 :: v_dual_fmac_f32 v37, v39, v31
	s_delay_alu instid0(VALU_DEP_1) | instskip(NEXT) | instid1(VALU_DEP_1)
	v_dual_fma_f32 v28, -v28, v35, v36 :: v_dual_fma_f32 v29, -v29, v37, v34
	v_div_fmas_f32 v28, v28, v30, v35
	s_mov_b32 vcc_lo, s0
	s_delay_alu instid0(VALU_DEP_2) | instskip(NEXT) | instid1(VALU_DEP_2)
	v_div_fmas_f32 v29, v29, v31, v37
	v_div_fixup_f32 v28, v28, v33, s10
	s_delay_alu instid0(VALU_DEP_2)
	v_div_fixup_f32 v29, v29, v32, s11
.LBB85_133:                             ;   in Loop: Header=BB85_89 Depth=1
	s_or_b32 exec_lo, exec_lo, s25
                                        ; implicit-def: $vgpr31
.LBB85_134:                             ;   in Loop: Header=BB85_89 Depth=1
	s_and_not1_saveexec_b32 s0, s1
	s_cbranch_execz .LBB85_136
; %bb.135:                              ;   in Loop: Header=BB85_89 Depth=1
	v_div_scale_f32 v28, null, v31, v31, v30
	v_div_scale_f32 v33, vcc_lo, v30, v31, v30
	s_delay_alu instid0(VALU_DEP_2) | instskip(SKIP_1) | instid1(TRANS32_DEP_1)
	v_rcp_f32_e32 v29, v28
	v_nop
	v_fma_f32 v32, -v28, v29, 1.0
	s_delay_alu instid0(VALU_DEP_1) | instskip(NEXT) | instid1(VALU_DEP_1)
	v_fmac_f32_e32 v29, v32, v29
	v_mul_f32_e32 v32, v33, v29
	s_delay_alu instid0(VALU_DEP_1) | instskip(NEXT) | instid1(VALU_DEP_1)
	v_fma_f32 v34, -v28, v32, v33
	v_fmac_f32_e32 v32, v34, v29
	s_delay_alu instid0(VALU_DEP_1) | instskip(NEXT) | instid1(VALU_DEP_1)
	v_fma_f32 v28, -v28, v32, v33
	v_div_fmas_f32 v28, v28, v29, v32
	s_delay_alu instid0(VALU_DEP_1) | instskip(NEXT) | instid1(VALU_DEP_1)
	v_div_fixup_f32 v28, v28, v31, v30
	v_fmac_f32_e32 v31, v30, v28
	s_delay_alu instid0(VALU_DEP_1) | instskip(SKIP_1) | instid1(VALU_DEP_2)
	v_div_scale_f32 v29, null, v31, v31, 1.0
	v_div_scale_f32 v34, vcc_lo, 1.0, v31, 1.0
	v_rcp_f32_e32 v30, v29
	v_nop
	s_delay_alu instid0(TRANS32_DEP_1) | instskip(NEXT) | instid1(VALU_DEP_1)
	v_fma_f32 v32, -v29, v30, 1.0
	v_fmac_f32_e32 v30, v32, v30
	s_delay_alu instid0(VALU_DEP_1) | instskip(NEXT) | instid1(VALU_DEP_1)
	v_mul_f32_e32 v36, v34, v30
	v_fma_f32 v32, -v29, v36, v34
	s_delay_alu instid0(VALU_DEP_1) | instskip(SKIP_1) | instid1(VALU_DEP_2)
	v_fmac_f32_e32 v36, v32, v30
	v_mov_b64_e32 v[32:33], s[12:13]
	v_fma_f32 v29, -v29, v36, v34
	v_mov_b64_e32 v[34:35], s[10:11]
	s_delay_alu instid0(VALU_DEP_2) | instskip(NEXT) | instid1(VALU_DEP_2)
	v_div_fmas_f32 v30, v29, v30, v36
	v_pk_fma_f32 v[36:37], v[28:29], v[34:35], v[32:33] op_sel_hi:[0,1,1] neg_lo:[0,0,1] neg_hi:[0,0,1]
	v_pk_fma_f32 v[28:29], v[28:29], v[34:35], v[32:33]
	s_delay_alu instid0(VALU_DEP_3) | instskip(NEXT) | instid1(VALU_DEP_3)
	v_div_fixup_f32 v30, v30, v31, 1.0
	v_mov_b32_e32 v29, v37
	s_delay_alu instid0(VALU_DEP_1)
	v_pk_mul_f32 v[28:29], v[28:29], v[30:31] op_sel_hi:[1,0]
.LBB85_136:                             ;   in Loop: Header=BB85_89 Depth=1
	s_or_b32 exec_lo, exec_lo, s0
.LBB85_137:                             ;   in Loop: Header=BB85_89 Depth=1
	v_cmp_gt_f32_e32 vcc_lo, 0, v27
	s_mov_b32 s1, -1
                                        ; implicit-def: $vgpr31
	v_cndmask_b32_e64 v32, v27, -v27, vcc_lo
	v_cmp_gt_f32_e32 vcc_lo, 0, v26
	v_cndmask_b32_e64 v33, v26, -v26, vcc_lo
	s_and_not1_b32 vcc_lo, exec_lo, s24
	s_delay_alu instid0(VALU_DEP_1)
	v_cmp_ge_f32_e64 s0, v33, v32
	s_cbranch_vccnz .LBB85_147
; %bb.138:                              ;   in Loop: Header=BB85_89 Depth=1
                                        ; implicit-def: $vgpr30_vgpr31
	s_and_saveexec_b32 s1, s0
	s_delay_alu instid0(SALU_CYCLE_1)
	s_xor_b32 s25, exec_lo, s1
	s_cbranch_execz .LBB85_144
; %bb.139:                              ;   in Loop: Header=BB85_89 Depth=1
	v_cmp_neq_f32_e32 vcc_lo, 0, v26
	v_cmp_neq_f32_e64 s1, 0, v27
                                        ; implicit-def: $vgpr30_vgpr31
	s_or_b32 s1, s1, vcc_lo
	s_delay_alu instid0(SALU_CYCLE_1) | instskip(NEXT) | instid1(SALU_CYCLE_1)
	s_and_saveexec_b32 s26, s1
	s_xor_b32 s1, exec_lo, s26
	s_cbranch_execz .LBB85_141
; %bb.140:                              ;   in Loop: Header=BB85_89 Depth=1
	v_div_scale_f32 v30, null, v26, v26, v27
	v_div_scale_f32 v35, vcc_lo, v27, v26, v27
	s_delay_alu instid0(VALU_DEP_2) | instskip(SKIP_1) | instid1(TRANS32_DEP_1)
	v_rcp_f32_e32 v31, v30
	v_nop
	v_fma_f32 v34, -v30, v31, 1.0
	s_delay_alu instid0(VALU_DEP_1) | instskip(NEXT) | instid1(VALU_DEP_1)
	v_fmac_f32_e32 v31, v34, v31
	v_mul_f32_e32 v34, v35, v31
	s_delay_alu instid0(VALU_DEP_1) | instskip(NEXT) | instid1(VALU_DEP_1)
	v_fma_f32 v36, -v30, v34, v35
	v_fmac_f32_e32 v34, v36, v31
	s_delay_alu instid0(VALU_DEP_1) | instskip(NEXT) | instid1(VALU_DEP_1)
	v_fma_f32 v30, -v30, v34, v35
	v_div_fmas_f32 v30, v30, v31, v34
	s_delay_alu instid0(VALU_DEP_1) | instskip(NEXT) | instid1(VALU_DEP_1)
	v_div_fixup_f32 v30, v30, v26, v27
	v_fma_f32 v40, v27, v30, v26
	s_delay_alu instid0(VALU_DEP_1) | instskip(SKIP_1) | instid1(VALU_DEP_2)
	v_div_scale_f32 v31, null, v40, v40, 1.0
	v_div_scale_f32 v36, vcc_lo, 1.0, v40, 1.0
	v_rcp_f32_e32 v38, v31
	v_nop
	s_delay_alu instid0(TRANS32_DEP_1) | instskip(NEXT) | instid1(VALU_DEP_1)
	v_fma_f32 v34, -v31, v38, 1.0
	v_fmac_f32_e32 v38, v34, v38
	s_delay_alu instid0(VALU_DEP_1) | instskip(NEXT) | instid1(VALU_DEP_1)
	v_mul_f32_e32 v39, v36, v38
	v_fma_f32 v34, -v31, v39, v36
	s_delay_alu instid0(VALU_DEP_1) | instskip(SKIP_1) | instid1(VALU_DEP_2)
	v_fmac_f32_e32 v39, v34, v38
	v_mov_b64_e32 v[34:35], s[10:11]
	v_fma_f32 v31, -v31, v39, v36
	v_mov_b64_e32 v[36:37], s[12:13]
	s_delay_alu instid0(VALU_DEP_2) | instskip(NEXT) | instid1(VALU_DEP_2)
	v_div_fmas_f32 v41, v31, v38, v39
	v_pk_fma_f32 v[38:39], v[30:31], v[36:37], v[34:35] op_sel_hi:[0,1,1] neg_lo:[1,0,0] neg_hi:[1,0,0]
	v_pk_fma_f32 v[30:31], v[30:31], v[36:37], v[34:35]
	s_delay_alu instid0(VALU_DEP_3) | instskip(NEXT) | instid1(VALU_DEP_3)
	v_div_fixup_f32 v34, v41, v40, 1.0
	v_mov_b32_e32 v31, v39
	s_delay_alu instid0(VALU_DEP_1)
	v_pk_mul_f32 v[30:31], v[30:31], v[34:35] op_sel_hi:[1,0]
.LBB85_141:                             ;   in Loop: Header=BB85_89 Depth=1
	s_and_not1_saveexec_b32 s26, s1
	s_cbranch_execz .LBB85_143
; %bb.142:                              ;   in Loop: Header=BB85_89 Depth=1
	v_div_scale_f32 v30, null, v32, v32, s11
	v_div_scale_f32 v31, null, v33, v33, s10
	v_div_scale_f32 v38, vcc_lo, s11, v32, s11
	s_delay_alu instid0(VALU_DEP_3) | instskip(NEXT) | instid1(VALU_DEP_2)
	v_rcp_f32_e32 v34, v30
	v_rcp_f32_e32 v35, v31
	s_delay_alu instid0(TRANS32_DEP_2) | instskip(NEXT) | instid1(TRANS32_DEP_1)
	v_fma_f32 v36, -v30, v34, 1.0
	v_fma_f32 v37, -v31, v35, 1.0
	s_delay_alu instid0(VALU_DEP_1) | instskip(SKIP_1) | instid1(VALU_DEP_1)
	v_dual_fmac_f32 v34, v36, v34 :: v_dual_fmac_f32 v35, v37, v35
	v_div_scale_f32 v36, s1, s10, v33, s10
	v_dual_mul_f32 v37, v38, v34 :: v_dual_mul_f32 v39, v36, v35
	s_delay_alu instid0(VALU_DEP_1) | instskip(NEXT) | instid1(VALU_DEP_1)
	v_dual_fma_f32 v40, -v30, v37, v38 :: v_dual_fma_f32 v41, -v31, v39, v36
	v_dual_fmac_f32 v37, v40, v34 :: v_dual_fmac_f32 v39, v41, v35
	s_delay_alu instid0(VALU_DEP_1) | instskip(NEXT) | instid1(VALU_DEP_1)
	v_dual_fma_f32 v30, -v30, v37, v38 :: v_dual_fma_f32 v31, -v31, v39, v36
	v_div_fmas_f32 v30, v30, v34, v37
	s_mov_b32 vcc_lo, s1
	s_delay_alu instid0(VALU_DEP_2) | instskip(NEXT) | instid1(VALU_DEP_2)
	v_div_fmas_f32 v34, v31, v35, v39
	v_div_fixup_f32 v31, v30, v32, s11
	s_delay_alu instid0(VALU_DEP_2)
	v_div_fixup_f32 v30, v34, v33, s10
.LBB85_143:                             ;   in Loop: Header=BB85_89 Depth=1
	s_or_b32 exec_lo, exec_lo, s26
.LBB85_144:                             ;   in Loop: Header=BB85_89 Depth=1
	s_and_not1_saveexec_b32 s1, s25
	s_cbranch_execz .LBB85_146
; %bb.145:                              ;   in Loop: Header=BB85_89 Depth=1
	v_div_scale_f32 v30, null, v27, v27, v26
	v_div_scale_f32 v35, vcc_lo, v26, v27, v26
	s_delay_alu instid0(VALU_DEP_2) | instskip(SKIP_1) | instid1(TRANS32_DEP_1)
	v_rcp_f32_e32 v31, v30
	v_nop
	v_fma_f32 v34, -v30, v31, 1.0
	s_delay_alu instid0(VALU_DEP_1) | instskip(NEXT) | instid1(VALU_DEP_1)
	v_fmac_f32_e32 v31, v34, v31
	v_mul_f32_e32 v34, v35, v31
	s_delay_alu instid0(VALU_DEP_1) | instskip(NEXT) | instid1(VALU_DEP_1)
	v_fma_f32 v36, -v30, v34, v35
	v_fmac_f32_e32 v34, v36, v31
	s_delay_alu instid0(VALU_DEP_1) | instskip(NEXT) | instid1(VALU_DEP_1)
	v_fma_f32 v30, -v30, v34, v35
	v_div_fmas_f32 v30, v30, v31, v34
	s_delay_alu instid0(VALU_DEP_1) | instskip(NEXT) | instid1(VALU_DEP_1)
	v_div_fixup_f32 v30, v30, v27, v26
	v_fma_f32 v40, v26, v30, v27
	s_delay_alu instid0(VALU_DEP_1) | instskip(SKIP_1) | instid1(VALU_DEP_2)
	v_div_scale_f32 v31, null, v40, v40, 1.0
	v_div_scale_f32 v36, vcc_lo, 1.0, v40, 1.0
	v_rcp_f32_e32 v38, v31
	v_nop
	s_delay_alu instid0(TRANS32_DEP_1) | instskip(NEXT) | instid1(VALU_DEP_1)
	v_fma_f32 v34, -v31, v38, 1.0
	v_fmac_f32_e32 v38, v34, v38
	s_delay_alu instid0(VALU_DEP_1) | instskip(NEXT) | instid1(VALU_DEP_1)
	v_mul_f32_e32 v39, v36, v38
	v_fma_f32 v34, -v31, v39, v36
	s_delay_alu instid0(VALU_DEP_1) | instskip(SKIP_1) | instid1(VALU_DEP_2)
	v_fmac_f32_e32 v39, v34, v38
	v_mov_b64_e32 v[34:35], s[12:13]
	v_fma_f32 v31, -v31, v39, v36
	v_mov_b64_e32 v[36:37], s[10:11]
	s_delay_alu instid0(VALU_DEP_2) | instskip(NEXT) | instid1(VALU_DEP_2)
	v_div_fmas_f32 v41, v31, v38, v39
	v_pk_fma_f32 v[38:39], v[30:31], v[36:37], v[34:35] op_sel_hi:[0,1,1] neg_lo:[0,0,1] neg_hi:[0,0,1]
	v_pk_fma_f32 v[30:31], v[30:31], v[36:37], v[34:35]
	s_delay_alu instid0(VALU_DEP_3) | instskip(NEXT) | instid1(VALU_DEP_3)
	v_div_fixup_f32 v34, v41, v40, 1.0
	v_mov_b32_e32 v31, v39
	s_delay_alu instid0(VALU_DEP_1)
	v_pk_mul_f32 v[30:31], v[30:31], v[34:35] op_sel_hi:[1,0]
.LBB85_146:                             ;   in Loop: Header=BB85_89 Depth=1
	s_or_b32 exec_lo, exec_lo, s1
	v_mov_b64_e32 v[34:35], s[14:15]
	v_mov_b64_e32 v[36:37], s[4:5]
	s_mov_b32 s1, 0
	s_delay_alu instid0(VALU_DEP_2) | instskip(NEXT) | instid1(VALU_DEP_2)
	v_pk_mul_f32 v[34:35], v[30:31], v[34:35] op_sel:[1,0]
	v_pk_mul_f32 v[38:39], v[30:31], v[36:37] op_sel_hi:[0,1]
	s_delay_alu instid0(VALU_DEP_2) | instskip(NEXT) | instid1(VALU_DEP_2)
	v_pk_fma_f32 v[30:31], v[30:31], v[36:37], v[34:35] op_sel_hi:[0,1,1]
	v_sub_f32_e32 v30, v38, v34
.LBB85_147:                             ;   in Loop: Header=BB85_89 Depth=1
	s_and_b32 vcc_lo, exec_lo, s1
	s_cbranch_vccz .LBB85_157
; %bb.148:                              ;   in Loop: Header=BB85_89 Depth=1
                                        ; implicit-def: $vgpr31
	s_and_saveexec_b32 s1, s0
	s_delay_alu instid0(SALU_CYCLE_1)
	s_xor_b32 s1, exec_lo, s1
	s_cbranch_execz .LBB85_154
; %bb.149:                              ;   in Loop: Header=BB85_89 Depth=1
	v_cmp_neq_f32_e32 vcc_lo, 0, v26
	v_cmp_neq_f32_e64 s0, 0, v27
                                        ; implicit-def: $vgpr31
	s_or_b32 s0, s0, vcc_lo
	s_delay_alu instid0(SALU_CYCLE_1) | instskip(NEXT) | instid1(SALU_CYCLE_1)
	s_and_saveexec_b32 s25, s0
	s_xor_b32 s0, exec_lo, s25
	s_cbranch_execz .LBB85_151
; %bb.150:                              ;   in Loop: Header=BB85_89 Depth=1
	v_div_scale_f32 v30, null, v26, v26, v27
	v_div_scale_f32 v33, vcc_lo, v27, v26, v27
	s_delay_alu instid0(VALU_DEP_2) | instskip(SKIP_1) | instid1(TRANS32_DEP_1)
	v_rcp_f32_e32 v31, v30
	v_nop
	v_fma_f32 v32, -v30, v31, 1.0
	s_delay_alu instid0(VALU_DEP_1) | instskip(NEXT) | instid1(VALU_DEP_1)
	v_fmac_f32_e32 v31, v32, v31
	v_mul_f32_e32 v32, v33, v31
	s_delay_alu instid0(VALU_DEP_1) | instskip(NEXT) | instid1(VALU_DEP_1)
	v_fma_f32 v34, -v30, v32, v33
	v_fmac_f32_e32 v32, v34, v31
	s_delay_alu instid0(VALU_DEP_1) | instskip(NEXT) | instid1(VALU_DEP_1)
	v_fma_f32 v30, -v30, v32, v33
	v_div_fmas_f32 v30, v30, v31, v32
	s_delay_alu instid0(VALU_DEP_1) | instskip(NEXT) | instid1(VALU_DEP_1)
	v_div_fixup_f32 v30, v30, v26, v27
	v_fmac_f32_e32 v26, v27, v30
	s_delay_alu instid0(VALU_DEP_1) | instskip(SKIP_1) | instid1(VALU_DEP_2)
	v_div_scale_f32 v27, null, v26, v26, 1.0
	v_div_scale_f32 v34, vcc_lo, 1.0, v26, 1.0
	v_rcp_f32_e32 v31, v27
	v_nop
	s_delay_alu instid0(TRANS32_DEP_1) | instskip(NEXT) | instid1(VALU_DEP_1)
	v_fma_f32 v32, -v27, v31, 1.0
	v_fmac_f32_e32 v31, v32, v31
	s_delay_alu instid0(VALU_DEP_1) | instskip(NEXT) | instid1(VALU_DEP_1)
	v_mul_f32_e32 v36, v34, v31
	v_fma_f32 v32, -v27, v36, v34
	s_delay_alu instid0(VALU_DEP_1) | instskip(SKIP_1) | instid1(VALU_DEP_2)
	v_fmac_f32_e32 v36, v32, v31
	v_mov_b64_e32 v[32:33], s[10:11]
	v_fma_f32 v27, -v27, v36, v34
	v_mov_b64_e32 v[34:35], s[12:13]
	s_delay_alu instid0(VALU_DEP_2) | instskip(NEXT) | instid1(VALU_DEP_2)
	v_div_fmas_f32 v27, v27, v31, v36
	v_pk_fma_f32 v[36:37], v[30:31], v[34:35], v[32:33] op_sel_hi:[0,1,1] neg_lo:[1,0,0] neg_hi:[1,0,0]
	v_pk_fma_f32 v[30:31], v[30:31], v[34:35], v[32:33]
	s_delay_alu instid0(VALU_DEP_3) | instskip(NEXT) | instid1(VALU_DEP_3)
	v_div_fixup_f32 v26, v27, v26, 1.0
                                        ; implicit-def: $vgpr33
                                        ; implicit-def: $vgpr32
	v_mov_b32_e32 v31, v37
	s_delay_alu instid0(VALU_DEP_1)
	v_pk_mul_f32 v[30:31], v[30:31], v[26:27] op_sel_hi:[1,0]
.LBB85_151:                             ;   in Loop: Header=BB85_89 Depth=1
	s_and_not1_saveexec_b32 s25, s0
	s_cbranch_execz .LBB85_153
; %bb.152:                              ;   in Loop: Header=BB85_89 Depth=1
	v_div_scale_f32 v26, null, v33, v33, s10
	v_div_scale_f32 v27, null, v32, v32, s11
	v_div_scale_f32 v36, vcc_lo, s10, v33, s10
	s_delay_alu instid0(VALU_DEP_3) | instskip(NEXT) | instid1(VALU_DEP_2)
	v_rcp_f32_e32 v30, v26
	v_rcp_f32_e32 v31, v27
	s_delay_alu instid0(TRANS32_DEP_2) | instskip(NEXT) | instid1(TRANS32_DEP_1)
	v_fma_f32 v34, -v26, v30, 1.0
	v_fma_f32 v35, -v27, v31, 1.0
	s_delay_alu instid0(VALU_DEP_1) | instskip(SKIP_1) | instid1(VALU_DEP_1)
	v_dual_fmac_f32 v30, v34, v30 :: v_dual_fmac_f32 v31, v35, v31
	v_div_scale_f32 v34, s0, s11, v32, s11
	v_dual_mul_f32 v35, v36, v30 :: v_dual_mul_f32 v37, v34, v31
	s_delay_alu instid0(VALU_DEP_1) | instskip(NEXT) | instid1(VALU_DEP_1)
	v_dual_fma_f32 v38, -v26, v35, v36 :: v_dual_fma_f32 v39, -v27, v37, v34
	v_dual_fmac_f32 v35, v38, v30 :: v_dual_fmac_f32 v37, v39, v31
	s_delay_alu instid0(VALU_DEP_1) | instskip(NEXT) | instid1(VALU_DEP_1)
	v_dual_fma_f32 v26, -v26, v35, v36 :: v_dual_fma_f32 v27, -v27, v37, v34
	v_div_fmas_f32 v26, v26, v30, v35
	s_mov_b32 vcc_lo, s0
	s_delay_alu instid0(VALU_DEP_2) | instskip(NEXT) | instid1(VALU_DEP_2)
	v_div_fmas_f32 v27, v27, v31, v37
	v_div_fixup_f32 v30, v26, v33, s10
	s_delay_alu instid0(VALU_DEP_2)
	v_div_fixup_f32 v31, v27, v32, s11
.LBB85_153:                             ;   in Loop: Header=BB85_89 Depth=1
	s_or_b32 exec_lo, exec_lo, s25
                                        ; implicit-def: $vgpr27
.LBB85_154:                             ;   in Loop: Header=BB85_89 Depth=1
	s_and_not1_saveexec_b32 s0, s1
	s_cbranch_execz .LBB85_156
; %bb.155:                              ;   in Loop: Header=BB85_89 Depth=1
	v_div_scale_f32 v30, null, v27, v27, v26
	v_div_scale_f32 v33, vcc_lo, v26, v27, v26
	s_delay_alu instid0(VALU_DEP_2) | instskip(SKIP_1) | instid1(TRANS32_DEP_1)
	v_rcp_f32_e32 v31, v30
	v_nop
	v_fma_f32 v32, -v30, v31, 1.0
	s_delay_alu instid0(VALU_DEP_1) | instskip(NEXT) | instid1(VALU_DEP_1)
	v_fmac_f32_e32 v31, v32, v31
	v_mul_f32_e32 v32, v33, v31
	s_delay_alu instid0(VALU_DEP_1) | instskip(NEXT) | instid1(VALU_DEP_1)
	v_fma_f32 v34, -v30, v32, v33
	v_fmac_f32_e32 v32, v34, v31
	s_delay_alu instid0(VALU_DEP_1) | instskip(NEXT) | instid1(VALU_DEP_1)
	v_fma_f32 v30, -v30, v32, v33
	v_div_fmas_f32 v30, v30, v31, v32
	s_delay_alu instid0(VALU_DEP_1) | instskip(NEXT) | instid1(VALU_DEP_1)
	v_div_fixup_f32 v30, v30, v27, v26
	v_fmac_f32_e32 v27, v26, v30
	s_delay_alu instid0(VALU_DEP_1) | instskip(SKIP_1) | instid1(VALU_DEP_2)
	v_div_scale_f32 v26, null, v27, v27, 1.0
	v_div_scale_f32 v34, vcc_lo, 1.0, v27, 1.0
	v_rcp_f32_e32 v31, v26
	v_nop
	s_delay_alu instid0(TRANS32_DEP_1) | instskip(NEXT) | instid1(VALU_DEP_1)
	v_fma_f32 v32, -v26, v31, 1.0
	v_fmac_f32_e32 v31, v32, v31
	s_delay_alu instid0(VALU_DEP_1) | instskip(NEXT) | instid1(VALU_DEP_1)
	v_mul_f32_e32 v36, v34, v31
	v_fma_f32 v32, -v26, v36, v34
	s_delay_alu instid0(VALU_DEP_1) | instskip(SKIP_1) | instid1(VALU_DEP_2)
	v_fmac_f32_e32 v36, v32, v31
	v_mov_b64_e32 v[32:33], s[12:13]
	v_fma_f32 v26, -v26, v36, v34
	v_mov_b64_e32 v[34:35], s[10:11]
	s_delay_alu instid0(VALU_DEP_2) | instskip(NEXT) | instid1(VALU_DEP_2)
	v_div_fmas_f32 v26, v26, v31, v36
	v_pk_fma_f32 v[36:37], v[30:31], v[34:35], v[32:33] op_sel_hi:[0,1,1] neg_lo:[0,0,1] neg_hi:[0,0,1]
	v_pk_fma_f32 v[30:31], v[30:31], v[34:35], v[32:33]
	s_delay_alu instid0(VALU_DEP_3) | instskip(NEXT) | instid1(VALU_DEP_3)
	v_div_fixup_f32 v26, v26, v27, 1.0
	v_mov_b32_e32 v31, v37
	s_delay_alu instid0(VALU_DEP_1)
	v_pk_mul_f32 v[30:31], v[30:31], v[26:27] op_sel_hi:[1,0]
.LBB85_156:                             ;   in Loop: Header=BB85_89 Depth=1
	s_or_b32 exec_lo, exec_lo, s0
.LBB85_157:                             ;   in Loop: Header=BB85_89 Depth=1
	v_cmp_gt_f32_e32 vcc_lo, 0, v23
	s_mov_b32 s1, -1
                                        ; implicit-def: $vgpr27
	v_cndmask_b32_e64 v32, v23, -v23, vcc_lo
	v_cmp_gt_f32_e32 vcc_lo, 0, v22
	v_cndmask_b32_e64 v33, v22, -v22, vcc_lo
	s_and_not1_b32 vcc_lo, exec_lo, s24
	s_delay_alu instid0(VALU_DEP_1)
	v_cmp_ge_f32_e64 s0, v33, v32
	s_cbranch_vccz .LBB85_163
; %bb.158:                              ;   in Loop: Header=BB85_89 Depth=1
	s_and_b32 vcc_lo, exec_lo, s1
	s_cbranch_vccnz .LBB85_172
.LBB85_159:                             ;   in Loop: Header=BB85_89 Depth=1
	s_mov_b32 s0, exec_lo
	v_cmpx_lt_u64_e64 v[6:7], v[4:5]
	s_xor_b32 s0, exec_lo, s0
	s_cbranch_execnz .LBB85_181
.LBB85_160:                             ;   in Loop: Header=BB85_89 Depth=1
	s_or_b32 exec_lo, exec_lo, s0
	s_delay_alu instid0(SALU_CYCLE_1)
	s_mov_b32 s0, exec_lo
	v_cmpx_lt_u64_e64 v[12:13], v[4:5]
	s_cbranch_execnz .LBB85_182
.LBB85_161:                             ;   in Loop: Header=BB85_89 Depth=1
	s_or_b32 exec_lo, exec_lo, s0
	s_delay_alu instid0(SALU_CYCLE_1)
	s_mov_b32 s0, exec_lo
	v_cmpx_lt_u64_e64 v[16:17], v[4:5]
	s_cbranch_execnz .LBB85_183
.LBB85_162:                             ;   in Loop: Header=BB85_89 Depth=1
	s_or_b32 exec_lo, exec_lo, s0
	s_delay_alu instid0(SALU_CYCLE_1)
	s_mov_b32 s0, exec_lo
	v_cmpx_lt_u64_e64 v[18:19], v[4:5]
	s_cbranch_execz .LBB85_88
	s_branch .LBB85_184
.LBB85_163:                             ;   in Loop: Header=BB85_89 Depth=1
                                        ; implicit-def: $vgpr26_vgpr27
	s_and_saveexec_b32 s1, s0
	s_delay_alu instid0(SALU_CYCLE_1)
	s_xor_b32 s25, exec_lo, s1
	s_cbranch_execz .LBB85_169
; %bb.164:                              ;   in Loop: Header=BB85_89 Depth=1
	v_cmp_neq_f32_e32 vcc_lo, 0, v22
	v_cmp_neq_f32_e64 s1, 0, v23
                                        ; implicit-def: $vgpr26_vgpr27
	s_or_b32 s1, s1, vcc_lo
	s_delay_alu instid0(SALU_CYCLE_1) | instskip(NEXT) | instid1(SALU_CYCLE_1)
	s_and_saveexec_b32 s26, s1
	s_xor_b32 s1, exec_lo, s26
	s_cbranch_execz .LBB85_166
; %bb.165:                              ;   in Loop: Header=BB85_89 Depth=1
	v_div_scale_f32 v26, null, v22, v22, v23
	v_div_scale_f32 v35, vcc_lo, v23, v22, v23
	s_delay_alu instid0(VALU_DEP_2) | instskip(SKIP_1) | instid1(TRANS32_DEP_1)
	v_rcp_f32_e32 v27, v26
	v_nop
	v_fma_f32 v34, -v26, v27, 1.0
	s_delay_alu instid0(VALU_DEP_1) | instskip(NEXT) | instid1(VALU_DEP_1)
	v_fmac_f32_e32 v27, v34, v27
	v_mul_f32_e32 v34, v35, v27
	s_delay_alu instid0(VALU_DEP_1) | instskip(NEXT) | instid1(VALU_DEP_1)
	v_fma_f32 v36, -v26, v34, v35
	v_fmac_f32_e32 v34, v36, v27
	s_delay_alu instid0(VALU_DEP_1) | instskip(NEXT) | instid1(VALU_DEP_1)
	v_fma_f32 v26, -v26, v34, v35
	v_div_fmas_f32 v26, v26, v27, v34
	s_delay_alu instid0(VALU_DEP_1) | instskip(NEXT) | instid1(VALU_DEP_1)
	v_div_fixup_f32 v26, v26, v22, v23
	v_fma_f32 v40, v23, v26, v22
	s_delay_alu instid0(VALU_DEP_1) | instskip(SKIP_1) | instid1(VALU_DEP_2)
	v_div_scale_f32 v27, null, v40, v40, 1.0
	v_div_scale_f32 v36, vcc_lo, 1.0, v40, 1.0
	v_rcp_f32_e32 v38, v27
	v_nop
	s_delay_alu instid0(TRANS32_DEP_1) | instskip(NEXT) | instid1(VALU_DEP_1)
	v_fma_f32 v34, -v27, v38, 1.0
	v_fmac_f32_e32 v38, v34, v38
	s_delay_alu instid0(VALU_DEP_1) | instskip(NEXT) | instid1(VALU_DEP_1)
	v_mul_f32_e32 v39, v36, v38
	v_fma_f32 v34, -v27, v39, v36
	s_delay_alu instid0(VALU_DEP_1) | instskip(SKIP_1) | instid1(VALU_DEP_2)
	v_fmac_f32_e32 v39, v34, v38
	v_mov_b64_e32 v[34:35], s[10:11]
	v_fma_f32 v27, -v27, v39, v36
	v_mov_b64_e32 v[36:37], s[12:13]
	s_delay_alu instid0(VALU_DEP_2) | instskip(NEXT) | instid1(VALU_DEP_2)
	v_div_fmas_f32 v41, v27, v38, v39
	v_pk_fma_f32 v[38:39], v[26:27], v[36:37], v[34:35] op_sel_hi:[0,1,1] neg_lo:[1,0,0] neg_hi:[1,0,0]
	v_pk_fma_f32 v[26:27], v[26:27], v[36:37], v[34:35]
	s_delay_alu instid0(VALU_DEP_3) | instskip(NEXT) | instid1(VALU_DEP_3)
	v_div_fixup_f32 v34, v41, v40, 1.0
	v_mov_b32_e32 v27, v39
	s_delay_alu instid0(VALU_DEP_1)
	v_pk_mul_f32 v[26:27], v[26:27], v[34:35] op_sel_hi:[1,0]
.LBB85_166:                             ;   in Loop: Header=BB85_89 Depth=1
	s_and_not1_saveexec_b32 s26, s1
	s_cbranch_execz .LBB85_168
; %bb.167:                              ;   in Loop: Header=BB85_89 Depth=1
	v_div_scale_f32 v26, null, v32, v32, s11
	v_div_scale_f32 v27, null, v33, v33, s10
	v_div_scale_f32 v38, vcc_lo, s11, v32, s11
	s_delay_alu instid0(VALU_DEP_3) | instskip(NEXT) | instid1(VALU_DEP_2)
	v_rcp_f32_e32 v34, v26
	v_rcp_f32_e32 v35, v27
	s_delay_alu instid0(TRANS32_DEP_2) | instskip(NEXT) | instid1(TRANS32_DEP_1)
	v_fma_f32 v36, -v26, v34, 1.0
	v_fma_f32 v37, -v27, v35, 1.0
	s_delay_alu instid0(VALU_DEP_1) | instskip(SKIP_1) | instid1(VALU_DEP_1)
	v_dual_fmac_f32 v34, v36, v34 :: v_dual_fmac_f32 v35, v37, v35
	v_div_scale_f32 v36, s1, s10, v33, s10
	v_dual_mul_f32 v37, v38, v34 :: v_dual_mul_f32 v39, v36, v35
	s_delay_alu instid0(VALU_DEP_1) | instskip(NEXT) | instid1(VALU_DEP_1)
	v_dual_fma_f32 v40, -v26, v37, v38 :: v_dual_fma_f32 v41, -v27, v39, v36
	v_dual_fmac_f32 v37, v40, v34 :: v_dual_fmac_f32 v39, v41, v35
	s_delay_alu instid0(VALU_DEP_1) | instskip(NEXT) | instid1(VALU_DEP_1)
	v_dual_fma_f32 v26, -v26, v37, v38 :: v_dual_fma_f32 v27, -v27, v39, v36
	v_div_fmas_f32 v26, v26, v34, v37
	s_mov_b32 vcc_lo, s1
	s_delay_alu instid0(VALU_DEP_2) | instskip(NEXT) | instid1(VALU_DEP_2)
	v_div_fmas_f32 v34, v27, v35, v39
	v_div_fixup_f32 v27, v26, v32, s11
	s_delay_alu instid0(VALU_DEP_2)
	v_div_fixup_f32 v26, v34, v33, s10
.LBB85_168:                             ;   in Loop: Header=BB85_89 Depth=1
	s_or_b32 exec_lo, exec_lo, s26
.LBB85_169:                             ;   in Loop: Header=BB85_89 Depth=1
	s_and_not1_saveexec_b32 s1, s25
	s_cbranch_execz .LBB85_171
; %bb.170:                              ;   in Loop: Header=BB85_89 Depth=1
	v_div_scale_f32 v26, null, v23, v23, v22
	v_div_scale_f32 v35, vcc_lo, v22, v23, v22
	s_delay_alu instid0(VALU_DEP_2) | instskip(SKIP_1) | instid1(TRANS32_DEP_1)
	v_rcp_f32_e32 v27, v26
	v_nop
	v_fma_f32 v34, -v26, v27, 1.0
	s_delay_alu instid0(VALU_DEP_1) | instskip(NEXT) | instid1(VALU_DEP_1)
	v_fmac_f32_e32 v27, v34, v27
	v_mul_f32_e32 v34, v35, v27
	s_delay_alu instid0(VALU_DEP_1) | instskip(NEXT) | instid1(VALU_DEP_1)
	v_fma_f32 v36, -v26, v34, v35
	v_fmac_f32_e32 v34, v36, v27
	s_delay_alu instid0(VALU_DEP_1) | instskip(NEXT) | instid1(VALU_DEP_1)
	v_fma_f32 v26, -v26, v34, v35
	v_div_fmas_f32 v26, v26, v27, v34
	s_delay_alu instid0(VALU_DEP_1) | instskip(NEXT) | instid1(VALU_DEP_1)
	v_div_fixup_f32 v26, v26, v23, v22
	v_fma_f32 v40, v22, v26, v23
	s_delay_alu instid0(VALU_DEP_1) | instskip(SKIP_1) | instid1(VALU_DEP_2)
	v_div_scale_f32 v27, null, v40, v40, 1.0
	v_div_scale_f32 v36, vcc_lo, 1.0, v40, 1.0
	v_rcp_f32_e32 v38, v27
	v_nop
	s_delay_alu instid0(TRANS32_DEP_1) | instskip(NEXT) | instid1(VALU_DEP_1)
	v_fma_f32 v34, -v27, v38, 1.0
	v_fmac_f32_e32 v38, v34, v38
	s_delay_alu instid0(VALU_DEP_1) | instskip(NEXT) | instid1(VALU_DEP_1)
	v_mul_f32_e32 v39, v36, v38
	v_fma_f32 v34, -v27, v39, v36
	s_delay_alu instid0(VALU_DEP_1) | instskip(SKIP_1) | instid1(VALU_DEP_2)
	v_fmac_f32_e32 v39, v34, v38
	v_mov_b64_e32 v[34:35], s[12:13]
	v_fma_f32 v27, -v27, v39, v36
	v_mov_b64_e32 v[36:37], s[10:11]
	s_delay_alu instid0(VALU_DEP_2) | instskip(NEXT) | instid1(VALU_DEP_2)
	v_div_fmas_f32 v41, v27, v38, v39
	v_pk_fma_f32 v[38:39], v[26:27], v[36:37], v[34:35] op_sel_hi:[0,1,1] neg_lo:[0,0,1] neg_hi:[0,0,1]
	v_pk_fma_f32 v[26:27], v[26:27], v[36:37], v[34:35]
	s_delay_alu instid0(VALU_DEP_3) | instskip(NEXT) | instid1(VALU_DEP_3)
	v_div_fixup_f32 v34, v41, v40, 1.0
	v_mov_b32_e32 v27, v39
	s_delay_alu instid0(VALU_DEP_1)
	v_pk_mul_f32 v[26:27], v[26:27], v[34:35] op_sel_hi:[1,0]
.LBB85_171:                             ;   in Loop: Header=BB85_89 Depth=1
	s_or_b32 exec_lo, exec_lo, s1
	v_mov_b64_e32 v[34:35], s[14:15]
	v_mov_b64_e32 v[36:37], s[4:5]
	s_delay_alu instid0(VALU_DEP_2) | instskip(NEXT) | instid1(VALU_DEP_2)
	v_pk_mul_f32 v[34:35], v[26:27], v[34:35] op_sel:[1,0]
	v_pk_mul_f32 v[38:39], v[26:27], v[36:37] op_sel_hi:[0,1]
	s_delay_alu instid0(VALU_DEP_2) | instskip(NEXT) | instid1(VALU_DEP_2)
	v_pk_fma_f32 v[26:27], v[26:27], v[36:37], v[34:35] op_sel_hi:[0,1,1]
	v_sub_f32_e32 v26, v38, v34
	s_branch .LBB85_159
.LBB85_172:                             ;   in Loop: Header=BB85_89 Depth=1
                                        ; implicit-def: $vgpr27
	s_and_saveexec_b32 s1, s0
	s_delay_alu instid0(SALU_CYCLE_1)
	s_xor_b32 s1, exec_lo, s1
	s_cbranch_execz .LBB85_178
; %bb.173:                              ;   in Loop: Header=BB85_89 Depth=1
	v_cmp_neq_f32_e32 vcc_lo, 0, v22
	v_cmp_neq_f32_e64 s0, 0, v23
                                        ; implicit-def: $vgpr27
	s_or_b32 s0, s0, vcc_lo
	s_delay_alu instid0(SALU_CYCLE_1) | instskip(NEXT) | instid1(SALU_CYCLE_1)
	s_and_saveexec_b32 s25, s0
	s_xor_b32 s0, exec_lo, s25
	s_cbranch_execz .LBB85_175
; %bb.174:                              ;   in Loop: Header=BB85_89 Depth=1
	v_div_scale_f32 v26, null, v22, v22, v23
	v_div_scale_f32 v33, vcc_lo, v23, v22, v23
	s_delay_alu instid0(VALU_DEP_2) | instskip(SKIP_1) | instid1(TRANS32_DEP_1)
	v_rcp_f32_e32 v27, v26
	v_nop
	v_fma_f32 v32, -v26, v27, 1.0
	s_delay_alu instid0(VALU_DEP_1) | instskip(NEXT) | instid1(VALU_DEP_1)
	v_fmac_f32_e32 v27, v32, v27
	v_mul_f32_e32 v32, v33, v27
	s_delay_alu instid0(VALU_DEP_1) | instskip(NEXT) | instid1(VALU_DEP_1)
	v_fma_f32 v34, -v26, v32, v33
	v_fmac_f32_e32 v32, v34, v27
	s_delay_alu instid0(VALU_DEP_1) | instskip(NEXT) | instid1(VALU_DEP_1)
	v_fma_f32 v26, -v26, v32, v33
	v_div_fmas_f32 v26, v26, v27, v32
	s_delay_alu instid0(VALU_DEP_1) | instskip(NEXT) | instid1(VALU_DEP_1)
	v_div_fixup_f32 v26, v26, v22, v23
	v_fmac_f32_e32 v22, v23, v26
	s_delay_alu instid0(VALU_DEP_1) | instskip(SKIP_1) | instid1(VALU_DEP_2)
	v_div_scale_f32 v23, null, v22, v22, 1.0
	v_div_scale_f32 v34, vcc_lo, 1.0, v22, 1.0
	v_rcp_f32_e32 v27, v23
	v_nop
	s_delay_alu instid0(TRANS32_DEP_1) | instskip(NEXT) | instid1(VALU_DEP_1)
	v_fma_f32 v32, -v23, v27, 1.0
	v_fmac_f32_e32 v27, v32, v27
	s_delay_alu instid0(VALU_DEP_1) | instskip(NEXT) | instid1(VALU_DEP_1)
	v_mul_f32_e32 v36, v34, v27
	v_fma_f32 v32, -v23, v36, v34
	s_delay_alu instid0(VALU_DEP_1) | instskip(SKIP_1) | instid1(VALU_DEP_2)
	v_fmac_f32_e32 v36, v32, v27
	v_mov_b64_e32 v[32:33], s[10:11]
	v_fma_f32 v23, -v23, v36, v34
	v_mov_b64_e32 v[34:35], s[12:13]
	s_delay_alu instid0(VALU_DEP_2) | instskip(NEXT) | instid1(VALU_DEP_2)
	v_div_fmas_f32 v23, v23, v27, v36
	v_pk_fma_f32 v[36:37], v[26:27], v[34:35], v[32:33] op_sel_hi:[0,1,1] neg_lo:[1,0,0] neg_hi:[1,0,0]
	v_pk_fma_f32 v[26:27], v[26:27], v[34:35], v[32:33]
	s_delay_alu instid0(VALU_DEP_3) | instskip(NEXT) | instid1(VALU_DEP_3)
	v_div_fixup_f32 v22, v23, v22, 1.0
                                        ; implicit-def: $vgpr33
                                        ; implicit-def: $vgpr32
	v_mov_b32_e32 v27, v37
	s_delay_alu instid0(VALU_DEP_1)
	v_pk_mul_f32 v[26:27], v[26:27], v[22:23] op_sel_hi:[1,0]
.LBB85_175:                             ;   in Loop: Header=BB85_89 Depth=1
	s_and_not1_saveexec_b32 s25, s0
	s_cbranch_execz .LBB85_177
; %bb.176:                              ;   in Loop: Header=BB85_89 Depth=1
	v_div_scale_f32 v22, null, v33, v33, s10
	v_div_scale_f32 v23, null, v32, v32, s11
	v_div_scale_f32 v36, vcc_lo, s10, v33, s10
	s_delay_alu instid0(VALU_DEP_3) | instskip(NEXT) | instid1(VALU_DEP_2)
	v_rcp_f32_e32 v26, v22
	v_rcp_f32_e32 v27, v23
	s_delay_alu instid0(TRANS32_DEP_2) | instskip(NEXT) | instid1(TRANS32_DEP_1)
	v_fma_f32 v34, -v22, v26, 1.0
	v_fma_f32 v35, -v23, v27, 1.0
	s_delay_alu instid0(VALU_DEP_1) | instskip(SKIP_1) | instid1(VALU_DEP_1)
	v_dual_fmac_f32 v26, v34, v26 :: v_dual_fmac_f32 v27, v35, v27
	v_div_scale_f32 v34, s0, s11, v32, s11
	v_dual_mul_f32 v35, v36, v26 :: v_dual_mul_f32 v37, v34, v27
	s_delay_alu instid0(VALU_DEP_1) | instskip(NEXT) | instid1(VALU_DEP_1)
	v_dual_fma_f32 v38, -v22, v35, v36 :: v_dual_fma_f32 v39, -v23, v37, v34
	v_dual_fmac_f32 v35, v38, v26 :: v_dual_fmac_f32 v37, v39, v27
	s_delay_alu instid0(VALU_DEP_1) | instskip(NEXT) | instid1(VALU_DEP_1)
	v_dual_fma_f32 v22, -v22, v35, v36 :: v_dual_fma_f32 v23, -v23, v37, v34
	v_div_fmas_f32 v22, v22, v26, v35
	s_mov_b32 vcc_lo, s0
	s_delay_alu instid0(VALU_DEP_2) | instskip(NEXT) | instid1(VALU_DEP_2)
	v_div_fmas_f32 v23, v23, v27, v37
	v_div_fixup_f32 v26, v22, v33, s10
	s_delay_alu instid0(VALU_DEP_2)
	v_div_fixup_f32 v27, v23, v32, s11
.LBB85_177:                             ;   in Loop: Header=BB85_89 Depth=1
	s_or_b32 exec_lo, exec_lo, s25
                                        ; implicit-def: $vgpr23
.LBB85_178:                             ;   in Loop: Header=BB85_89 Depth=1
	s_and_not1_saveexec_b32 s0, s1
	s_cbranch_execz .LBB85_180
; %bb.179:                              ;   in Loop: Header=BB85_89 Depth=1
	v_div_scale_f32 v26, null, v23, v23, v22
	v_div_scale_f32 v33, vcc_lo, v22, v23, v22
	s_delay_alu instid0(VALU_DEP_2) | instskip(SKIP_1) | instid1(TRANS32_DEP_1)
	v_rcp_f32_e32 v27, v26
	v_nop
	v_fma_f32 v32, -v26, v27, 1.0
	s_delay_alu instid0(VALU_DEP_1) | instskip(NEXT) | instid1(VALU_DEP_1)
	v_fmac_f32_e32 v27, v32, v27
	v_mul_f32_e32 v32, v33, v27
	s_delay_alu instid0(VALU_DEP_1) | instskip(NEXT) | instid1(VALU_DEP_1)
	v_fma_f32 v34, -v26, v32, v33
	v_fmac_f32_e32 v32, v34, v27
	s_delay_alu instid0(VALU_DEP_1) | instskip(NEXT) | instid1(VALU_DEP_1)
	v_fma_f32 v26, -v26, v32, v33
	v_div_fmas_f32 v26, v26, v27, v32
	s_delay_alu instid0(VALU_DEP_1) | instskip(NEXT) | instid1(VALU_DEP_1)
	v_div_fixup_f32 v26, v26, v23, v22
	v_fmac_f32_e32 v23, v22, v26
	s_delay_alu instid0(VALU_DEP_1) | instskip(SKIP_1) | instid1(VALU_DEP_2)
	v_div_scale_f32 v22, null, v23, v23, 1.0
	v_div_scale_f32 v34, vcc_lo, 1.0, v23, 1.0
	v_rcp_f32_e32 v27, v22
	v_nop
	s_delay_alu instid0(TRANS32_DEP_1) | instskip(NEXT) | instid1(VALU_DEP_1)
	v_fma_f32 v32, -v22, v27, 1.0
	v_fmac_f32_e32 v27, v32, v27
	s_delay_alu instid0(VALU_DEP_1) | instskip(NEXT) | instid1(VALU_DEP_1)
	v_mul_f32_e32 v36, v34, v27
	v_fma_f32 v32, -v22, v36, v34
	s_delay_alu instid0(VALU_DEP_1) | instskip(SKIP_1) | instid1(VALU_DEP_2)
	v_fmac_f32_e32 v36, v32, v27
	v_mov_b64_e32 v[32:33], s[12:13]
	v_fma_f32 v22, -v22, v36, v34
	v_mov_b64_e32 v[34:35], s[10:11]
	s_delay_alu instid0(VALU_DEP_2) | instskip(NEXT) | instid1(VALU_DEP_2)
	v_div_fmas_f32 v22, v22, v27, v36
	v_pk_fma_f32 v[36:37], v[26:27], v[34:35], v[32:33] op_sel_hi:[0,1,1] neg_lo:[0,0,1] neg_hi:[0,0,1]
	v_pk_fma_f32 v[26:27], v[26:27], v[34:35], v[32:33]
	s_delay_alu instid0(VALU_DEP_3) | instskip(NEXT) | instid1(VALU_DEP_3)
	v_div_fixup_f32 v22, v22, v23, 1.0
	v_mov_b32_e32 v27, v37
	s_delay_alu instid0(VALU_DEP_1)
	v_pk_mul_f32 v[26:27], v[26:27], v[22:23] op_sel_hi:[1,0]
.LBB85_180:                             ;   in Loop: Header=BB85_89 Depth=1
	s_or_b32 exec_lo, exec_lo, s0
	s_delay_alu instid0(SALU_CYCLE_1)
	s_mov_b32 s0, exec_lo
	v_cmpx_lt_u64_e64 v[6:7], v[4:5]
	s_xor_b32 s0, exec_lo, s0
	s_cbranch_execz .LBB85_160
.LBB85_181:                             ;   in Loop: Header=BB85_89 Depth=1
	v_pk_add_f32 v[8:9], v[8:9], v[24:25]
	v_lshl_add_u64 v[6:7], v[6:7], 3, s[8:9]
	global_store_b64 v[6:7], v[8:9], off
	s_wait_xcnt 0x0
	s_or_b32 exec_lo, exec_lo, s0
	s_delay_alu instid0(SALU_CYCLE_1)
	s_mov_b32 s0, exec_lo
	v_cmpx_lt_u64_e64 v[12:13], v[4:5]
	s_cbranch_execz .LBB85_161
.LBB85_182:                             ;   in Loop: Header=BB85_89 Depth=1
	v_pk_add_f32 v[6:7], v[14:15], v[28:29]
	v_lshl_add_u64 v[8:9], v[12:13], 3, s[8:9]
	global_store_b64 v[8:9], v[6:7], off
	s_wait_xcnt 0x0
	s_or_b32 exec_lo, exec_lo, s0
	s_delay_alu instid0(SALU_CYCLE_1)
	s_mov_b32 s0, exec_lo
	v_cmpx_lt_u64_e64 v[16:17], v[4:5]
	s_cbranch_execz .LBB85_162
.LBB85_183:                             ;   in Loop: Header=BB85_89 Depth=1
	v_pk_add_f32 v[6:7], v[10:11], v[30:31]
	v_lshl_add_u64 v[8:9], v[16:17], 3, s[8:9]
	global_store_b64 v[8:9], v[6:7], off
	s_wait_xcnt 0x0
	s_or_b32 exec_lo, exec_lo, s0
	s_delay_alu instid0(SALU_CYCLE_1)
	s_mov_b32 s0, exec_lo
	v_cmpx_lt_u64_e64 v[18:19], v[4:5]
	s_cbranch_execz .LBB85_88
.LBB85_184:                             ;   in Loop: Header=BB85_89 Depth=1
	v_pk_add_f32 v[6:7], v[20:21], v[26:27]
	v_lshl_add_u64 v[8:9], v[18:19], 3, s[8:9]
	global_store_b64 v[8:9], v[6:7], off
	s_branch .LBB85_88
.LBB85_185:
	s_endpgm
	.section	.rodata,"a",@progbits
	.p2align	6, 0x0
	.amdhsa_kernel _ZN2at6native12_GLOBAL__N_125multi_tensor_apply_kernelINS1_18TensorListMetadataILi3EEENS1_32PointwiseOpScalar0dTensorFunctorIN3c107complexIfEELi3ELi2ELi0EEEJSt7dividesIS8_ES8_EEEvT_T0_DpT1_
		.amdhsa_group_segment_fixed_size 0
		.amdhsa_private_segment_fixed_size 0
		.amdhsa_kernarg_size 3416
		.amdhsa_user_sgpr_count 2
		.amdhsa_user_sgpr_dispatch_ptr 0
		.amdhsa_user_sgpr_queue_ptr 0
		.amdhsa_user_sgpr_kernarg_segment_ptr 1
		.amdhsa_user_sgpr_dispatch_id 0
		.amdhsa_user_sgpr_kernarg_preload_length 0
		.amdhsa_user_sgpr_kernarg_preload_offset 0
		.amdhsa_user_sgpr_private_segment_size 0
		.amdhsa_wavefront_size32 1
		.amdhsa_uses_dynamic_stack 0
		.amdhsa_enable_private_segment 0
		.amdhsa_system_sgpr_workgroup_id_x 1
		.amdhsa_system_sgpr_workgroup_id_y 0
		.amdhsa_system_sgpr_workgroup_id_z 0
		.amdhsa_system_sgpr_workgroup_info 0
		.amdhsa_system_vgpr_workitem_id 0
		.amdhsa_next_free_vgpr 42
		.amdhsa_next_free_sgpr 31
		.amdhsa_named_barrier_count 0
		.amdhsa_reserve_vcc 1
		.amdhsa_float_round_mode_32 0
		.amdhsa_float_round_mode_16_64 0
		.amdhsa_float_denorm_mode_32 3
		.amdhsa_float_denorm_mode_16_64 3
		.amdhsa_fp16_overflow 0
		.amdhsa_memory_ordered 1
		.amdhsa_forward_progress 1
		.amdhsa_inst_pref_size 110
		.amdhsa_round_robin_scheduling 0
		.amdhsa_exception_fp_ieee_invalid_op 0
		.amdhsa_exception_fp_denorm_src 0
		.amdhsa_exception_fp_ieee_div_zero 0
		.amdhsa_exception_fp_ieee_overflow 0
		.amdhsa_exception_fp_ieee_underflow 0
		.amdhsa_exception_fp_ieee_inexact 0
		.amdhsa_exception_int_div_zero 0
	.end_amdhsa_kernel
	.section	.text._ZN2at6native12_GLOBAL__N_125multi_tensor_apply_kernelINS1_18TensorListMetadataILi3EEENS1_32PointwiseOpScalar0dTensorFunctorIN3c107complexIfEELi3ELi2ELi0EEEJSt7dividesIS8_ES8_EEEvT_T0_DpT1_,"axG",@progbits,_ZN2at6native12_GLOBAL__N_125multi_tensor_apply_kernelINS1_18TensorListMetadataILi3EEENS1_32PointwiseOpScalar0dTensorFunctorIN3c107complexIfEELi3ELi2ELi0EEEJSt7dividesIS8_ES8_EEEvT_T0_DpT1_,comdat
.Lfunc_end85:
	.size	_ZN2at6native12_GLOBAL__N_125multi_tensor_apply_kernelINS1_18TensorListMetadataILi3EEENS1_32PointwiseOpScalar0dTensorFunctorIN3c107complexIfEELi3ELi2ELi0EEEJSt7dividesIS8_ES8_EEEvT_T0_DpT1_, .Lfunc_end85-_ZN2at6native12_GLOBAL__N_125multi_tensor_apply_kernelINS1_18TensorListMetadataILi3EEENS1_32PointwiseOpScalar0dTensorFunctorIN3c107complexIfEELi3ELi2ELi0EEEJSt7dividesIS8_ES8_EEEvT_T0_DpT1_
                                        ; -- End function
	.set _ZN2at6native12_GLOBAL__N_125multi_tensor_apply_kernelINS1_18TensorListMetadataILi3EEENS1_32PointwiseOpScalar0dTensorFunctorIN3c107complexIfEELi3ELi2ELi0EEEJSt7dividesIS8_ES8_EEEvT_T0_DpT1_.num_vgpr, 42
	.set _ZN2at6native12_GLOBAL__N_125multi_tensor_apply_kernelINS1_18TensorListMetadataILi3EEENS1_32PointwiseOpScalar0dTensorFunctorIN3c107complexIfEELi3ELi2ELi0EEEJSt7dividesIS8_ES8_EEEvT_T0_DpT1_.num_agpr, 0
	.set _ZN2at6native12_GLOBAL__N_125multi_tensor_apply_kernelINS1_18TensorListMetadataILi3EEENS1_32PointwiseOpScalar0dTensorFunctorIN3c107complexIfEELi3ELi2ELi0EEEJSt7dividesIS8_ES8_EEEvT_T0_DpT1_.numbered_sgpr, 31
	.set _ZN2at6native12_GLOBAL__N_125multi_tensor_apply_kernelINS1_18TensorListMetadataILi3EEENS1_32PointwiseOpScalar0dTensorFunctorIN3c107complexIfEELi3ELi2ELi0EEEJSt7dividesIS8_ES8_EEEvT_T0_DpT1_.num_named_barrier, 0
	.set _ZN2at6native12_GLOBAL__N_125multi_tensor_apply_kernelINS1_18TensorListMetadataILi3EEENS1_32PointwiseOpScalar0dTensorFunctorIN3c107complexIfEELi3ELi2ELi0EEEJSt7dividesIS8_ES8_EEEvT_T0_DpT1_.private_seg_size, 0
	.set _ZN2at6native12_GLOBAL__N_125multi_tensor_apply_kernelINS1_18TensorListMetadataILi3EEENS1_32PointwiseOpScalar0dTensorFunctorIN3c107complexIfEELi3ELi2ELi0EEEJSt7dividesIS8_ES8_EEEvT_T0_DpT1_.uses_vcc, 1
	.set _ZN2at6native12_GLOBAL__N_125multi_tensor_apply_kernelINS1_18TensorListMetadataILi3EEENS1_32PointwiseOpScalar0dTensorFunctorIN3c107complexIfEELi3ELi2ELi0EEEJSt7dividesIS8_ES8_EEEvT_T0_DpT1_.uses_flat_scratch, 0
	.set _ZN2at6native12_GLOBAL__N_125multi_tensor_apply_kernelINS1_18TensorListMetadataILi3EEENS1_32PointwiseOpScalar0dTensorFunctorIN3c107complexIfEELi3ELi2ELi0EEEJSt7dividesIS8_ES8_EEEvT_T0_DpT1_.has_dyn_sized_stack, 0
	.set _ZN2at6native12_GLOBAL__N_125multi_tensor_apply_kernelINS1_18TensorListMetadataILi3EEENS1_32PointwiseOpScalar0dTensorFunctorIN3c107complexIfEELi3ELi2ELi0EEEJSt7dividesIS8_ES8_EEEvT_T0_DpT1_.has_recursion, 0
	.set _ZN2at6native12_GLOBAL__N_125multi_tensor_apply_kernelINS1_18TensorListMetadataILi3EEENS1_32PointwiseOpScalar0dTensorFunctorIN3c107complexIfEELi3ELi2ELi0EEEJSt7dividesIS8_ES8_EEEvT_T0_DpT1_.has_indirect_call, 0
	.section	.AMDGPU.csdata,"",@progbits
; Kernel info:
; codeLenInByte = 13996
; TotalNumSgprs: 33
; NumVgprs: 42
; ScratchSize: 0
; MemoryBound: 0
; FloatMode: 240
; IeeeMode: 1
; LDSByteSize: 0 bytes/workgroup (compile time only)
; SGPRBlocks: 0
; VGPRBlocks: 2
; NumSGPRsForWavesPerEU: 33
; NumVGPRsForWavesPerEU: 42
; NamedBarCnt: 0
; Occupancy: 16
; WaveLimiterHint : 0
; COMPUTE_PGM_RSRC2:SCRATCH_EN: 0
; COMPUTE_PGM_RSRC2:USER_SGPR: 2
; COMPUTE_PGM_RSRC2:TRAP_HANDLER: 0
; COMPUTE_PGM_RSRC2:TGID_X_EN: 1
; COMPUTE_PGM_RSRC2:TGID_Y_EN: 0
; COMPUTE_PGM_RSRC2:TGID_Z_EN: 0
; COMPUTE_PGM_RSRC2:TIDIG_COMP_CNT: 0
	.section	.text._ZN2at6native12_GLOBAL__N_125multi_tensor_apply_kernelINS1_18TensorListMetadataILi3EEENS1_32PointwiseOpScalar0dTensorFunctorIN3c104HalfELi3ELi2ELi0EEEJSt7dividesIfEfEEEvT_T0_DpT1_,"axG",@progbits,_ZN2at6native12_GLOBAL__N_125multi_tensor_apply_kernelINS1_18TensorListMetadataILi3EEENS1_32PointwiseOpScalar0dTensorFunctorIN3c104HalfELi3ELi2ELi0EEEJSt7dividesIfEfEEEvT_T0_DpT1_,comdat
	.globl	_ZN2at6native12_GLOBAL__N_125multi_tensor_apply_kernelINS1_18TensorListMetadataILi3EEENS1_32PointwiseOpScalar0dTensorFunctorIN3c104HalfELi3ELi2ELi0EEEJSt7dividesIfEfEEEvT_T0_DpT1_ ; -- Begin function _ZN2at6native12_GLOBAL__N_125multi_tensor_apply_kernelINS1_18TensorListMetadataILi3EEENS1_32PointwiseOpScalar0dTensorFunctorIN3c104HalfELi3ELi2ELi0EEEJSt7dividesIfEfEEEvT_T0_DpT1_
	.p2align	8
	.type	_ZN2at6native12_GLOBAL__N_125multi_tensor_apply_kernelINS1_18TensorListMetadataILi3EEENS1_32PointwiseOpScalar0dTensorFunctorIN3c104HalfELi3ELi2ELi0EEEJSt7dividesIfEfEEEvT_T0_DpT1_,@function
_ZN2at6native12_GLOBAL__N_125multi_tensor_apply_kernelINS1_18TensorListMetadataILi3EEENS1_32PointwiseOpScalar0dTensorFunctorIN3c104HalfELi3ELi2ELi0EEEJSt7dividesIfEfEEEvT_T0_DpT1_: ; @_ZN2at6native12_GLOBAL__N_125multi_tensor_apply_kernelINS1_18TensorListMetadataILi3EEENS1_32PointwiseOpScalar0dTensorFunctorIN3c104HalfELi3ELi2ELi0EEEJSt7dividesIfEfEEEvT_T0_DpT1_
; %bb.0:
	s_bfe_u32 s2, ttmp6, 0x4000c
	s_and_b32 s3, ttmp6, 15
	s_add_co_i32 s2, s2, 1
	s_getreg_b32 s4, hwreg(HW_REG_IB_STS2, 6, 4)
	s_mul_i32 s2, ttmp9, s2
	v_mov_b32_e32 v5, 0
	s_add_co_i32 s2, s3, s2
	s_cmp_eq_u32 s4, 0
	s_mov_b32 s3, 0
	s_cselect_b32 s2, ttmp9, s2
	s_load_b32 s10, s[0:1], 0xc4c
	s_add_nc_u64 s[4:5], s[0:1], s[2:3]
	s_mul_u64 s[6:7], s[2:3], 3
	s_delay_alu instid0(SALU_CYCLE_1)
	s_add_nc_u64 s[4:5], s[4:5], s[6:7]
	s_clause 0x1
	s_load_b32 s16, s[4:5], 0x740
	s_load_u8 s8, s[0:1], s2 offset:0x600
	s_wait_kmcnt 0x0
	s_ashr_i32 s17, s16, 31
	s_clause 0x1
	s_load_b64 s[6:7], s[0:1], s8 offset:0x180 scale_offset
	s_load_b64 s[12:13], s[0:1], s8 offset:0x300 scale_offset
	s_lshl_b64 s[4:5], s[16:17], 17
	s_wait_kmcnt 0x0
	global_load_u16 v1, v5, s[6:7]
	s_clause 0x1
	s_load_b64 s[14:15], s[0:1], s8 offset:0x0 scale_offset
	s_load_b64 s[18:19], s[0:1], s8 offset:0x480 scale_offset
	s_wait_xcnt 0x0
	s_add_nc_u64 s[8:9], s[6:7], s[4:5]
	s_add_nc_u64 s[6:7], s[12:13], s[4:5]
	s_delay_alu instid0(SALU_CYCLE_1) | instskip(NEXT) | instid1(SALU_CYCLE_1)
	s_or_b32 s2, s6, s8
	s_and_b32 s2, s2, 7
	s_wait_kmcnt 0x0
	s_add_nc_u64 s[8:9], s[14:15], s[4:5]
	s_delay_alu instid0(SALU_CYCLE_1)
	s_and_b64 s[20:21], s[8:9], 7
	s_cmp_lg_u32 s2, 0
	s_cselect_b32 s11, -1, 0
	s_and_b32 s2, s18, 3
	s_lshl_b64 s[16:17], s[16:17], 16
	s_or_b64 s[2:3], s[20:21], s[2:3]
	s_sub_nc_u64 s[16:17], s[18:19], s[16:17]
	s_cmp_lg_u64 s[2:3], 0
	s_cselect_b32 s2, -1, 0
	s_delay_alu instid0(SALU_CYCLE_1) | instskip(NEXT) | instid1(SALU_CYCLE_1)
	s_or_b32 s2, s11, s2
	s_and_not1_b32 vcc_lo, exec_lo, s2
	s_mov_b32 s2, -1
	s_wait_loadcnt 0x0
	v_cvt_f32_f16_e32 v14, v1
	s_cbranch_vccz .LBB86_5
; %bb.1:
	v_min_i64 v[2:3], 0x10000, s[16:17]
	v_lshlrev_b32_e32 v4, 2, v0
	s_mov_b32 s22, exec_lo
	s_delay_alu instid0(VALU_DEP_1)
	v_cmpx_lt_i64_e64 v[4:5], v[2:3]
	s_cbranch_execz .LBB86_4
; %bb.2:
	s_load_b32 s3, s[0:1], 0xc5c
	v_dual_mov_b32 v1, v5 :: v_dual_lshlrev_b32 v8, 3, v0
	v_dual_mov_b32 v9, 0 :: v_dual_mov_b32 v4, s10
	s_mov_b32 s11, s10
	s_cmp_eq_f32 s10, 1.0
	v_mov_b64_e32 v[6:7], s[10:11]
	s_delay_alu instid0(VALU_DEP_2)
	v_add_nc_u64_e32 v[8:9], s[4:5], v[8:9]
	v_mov_b64_e32 v[10:11], v[0:1]
	v_mov_b32_e32 v5, s10
	s_mov_b32 s19, 0
	s_cselect_b32 s2, -1, 0
	s_mov_b32 s21, s19
	s_mov_b32 s11, s19
	s_wait_kmcnt 0x0
	s_and_b32 s18, s3, 0xffff
	s_delay_alu instid0(SALU_CYCLE_1)
	s_lshl_b32 s20, s18, 3
.LBB86_3:                               ; =>This Inner Loop Header: Depth=1
	v_add_nc_u64_e32 v[12:13], s[12:13], v[8:9]
	v_add_nc_u64_e32 v[16:17], s[14:15], v[8:9]
	;; [unrolled: 1-line block ×4, first 2 shown]
	global_load_b64 v[18:19], v[12:13], off
	global_load_b64 v[20:21], v[16:17], off
	s_wait_xcnt 0x1
	v_lshlrev_b64_e32 v[12:13], 2, v[10:11]
	s_wait_loadcnt 0x0
	v_dual_lshrrev_b32 v24, 16, v19 :: v_dual_lshrrev_b32 v1, 16, v20
	v_lshrrev_b32_e32 v15, 16, v21
	v_cvt_f32_f16_e32 v25, v19
	v_lshrrev_b32_e32 v19, 16, v18
	v_cvt_f32_f16_e32 v18, v18
	v_cvt_f32_f16_e32 v22, v20
	;; [unrolled: 1-line block ×7, first 2 shown]
	v_div_scale_f32 v19, null, v18, v18, v14
	v_div_scale_f32 v26, null, v25, v25, v14
	s_delay_alu instid0(VALU_DEP_3) | instskip(NEXT) | instid1(VALU_DEP_3)
	v_div_scale_f32 v29, null, v15, v15, v14
	v_rcp_f32_e32 v28, v19
	v_div_scale_f32 v31, null, v1, v1, v14
	s_delay_alu instid0(VALU_DEP_3) | instskip(NEXT) | instid1(VALU_DEP_2)
	v_rcp_f32_e32 v32, v26
	v_rcp_f32_e32 v34, v29
	v_div_scale_f32 v24, vcc_lo, v14, v18, v14
	s_delay_alu instid0(VALU_DEP_2) | instskip(SKIP_2) | instid1(TRANS32_DEP_3)
	v_rcp_f32_e32 v35, v31
	v_fma_f32 v36, -v19, v28, 1.0
	v_div_scale_f32 v27, s3, v14, v25, v14
	v_fma_f32 v37, -v26, v32, 1.0
	v_div_scale_f32 v30, s4, v14, v15, v14
	s_delay_alu instid0(VALU_DEP_4) | instskip(SKIP_1) | instid1(VALU_DEP_4)
	v_fmac_f32_e32 v28, v36, v28
	v_fma_f32 v36, -v29, v34, 1.0
	v_fmac_f32_e32 v32, v37, v32
	v_fma_f32 v37, -v31, v35, 1.0
	v_div_scale_f32 v33, s5, v14, v1, v14
	s_delay_alu instid0(VALU_DEP_4) | instskip(NEXT) | instid1(VALU_DEP_3)
	v_fmac_f32_e32 v34, v36, v34
	v_dual_mul_f32 v38, v24, v28 :: v_dual_fmac_f32 v35, v37, v35
	s_delay_alu instid0(VALU_DEP_2) | instskip(NEXT) | instid1(VALU_DEP_2)
	v_dual_mul_f32 v36, v27, v32 :: v_dual_mul_f32 v39, v30, v34
	v_dual_mul_f32 v41, v33, v35 :: v_dual_fma_f32 v37, -v19, v38, v24
	s_delay_alu instid0(VALU_DEP_2) | instskip(NEXT) | instid1(VALU_DEP_2)
	v_fma_f32 v40, -v26, v36, v27
	v_fmac_f32_e32 v38, v37, v28
	s_delay_alu instid0(VALU_DEP_2) | instskip(NEXT) | instid1(VALU_DEP_4)
	v_dual_fma_f32 v37, -v29, v39, v30 :: v_dual_fmac_f32 v36, v40, v32
	v_fma_f32 v40, -v31, v41, v33
	s_delay_alu instid0(VALU_DEP_3) | instskip(NEXT) | instid1(VALU_DEP_3)
	v_fma_f32 v19, -v19, v38, v24
	v_fmac_f32_e32 v39, v37, v34
	s_delay_alu instid0(VALU_DEP_3) | instskip(NEXT) | instid1(VALU_DEP_3)
	v_dual_fma_f32 v24, -v26, v36, v27 :: v_dual_fmac_f32 v41, v40, v35
	v_div_fmas_f32 v19, v19, v28, v38
	s_delay_alu instid0(VALU_DEP_3) | instskip(SKIP_1) | instid1(VALU_DEP_3)
	v_fma_f32 v26, -v29, v39, v30
	s_mov_b32 vcc_lo, s4
	v_fma_f32 v27, -v31, v41, v33
	s_delay_alu instid0(VALU_DEP_3) | instskip(NEXT) | instid1(VALU_DEP_3)
	v_div_fixup_f32 v18, v19, v18, v14
	v_div_fmas_f32 v19, v26, v34, v39
	s_mov_b32 vcc_lo, s3
	v_div_fmas_f32 v24, v24, v32, v36
	s_mov_b32 vcc_lo, s5
	s_delay_alu instid0(VALU_DEP_2) | instskip(SKIP_3) | instid1(VALU_DEP_3)
	v_div_fixup_f32 v19, v19, v15, v14
	v_div_fmas_f32 v26, v27, v35, v41
	v_cmp_ge_i64_e32 vcc_lo, v[12:13], v[2:3]
	v_div_fixup_f32 v24, v24, v25, v14
	v_div_fixup_f32 v25, v26, v1, v14
	v_pk_add_f32 v[26:27], v[18:19], v[22:23]
	v_pk_fma_f32 v[18:19], v[6:7], v[18:19], v[22:23]
	s_or_b32 s11, vcc_lo, s11
	s_delay_alu instid0(VALU_DEP_3) | instskip(SKIP_1) | instid1(VALU_DEP_3)
	v_pk_add_f32 v[22:23], v[24:25], v[20:21]
	v_pk_fma_f32 v[20:21], v[4:5], v[24:25], v[20:21]
	v_dual_cndmask_b32 v1, v19, v27, s2 :: v_dual_cndmask_b32 v15, v18, v26, s2
	s_delay_alu instid0(VALU_DEP_2) | instskip(NEXT) | instid1(VALU_DEP_2)
	v_dual_cndmask_b32 v18, v21, v23, s2 :: v_dual_cndmask_b32 v19, v20, v22, s2
	v_cvt_pk_f16_f32 v12, v15, v1
	s_delay_alu instid0(VALU_DEP_2)
	v_cvt_pk_f16_f32 v13, v19, v18
	global_store_b64 v[16:17], v[12:13], off
	s_wait_xcnt 0x0
	s_and_not1_b32 exec_lo, exec_lo, s11
	s_cbranch_execnz .LBB86_3
.LBB86_4:
	s_or_b32 exec_lo, exec_lo, s22
	s_mov_b32 s2, 0
.LBB86_5:
	s_delay_alu instid0(SALU_CYCLE_1)
	s_and_not1_b32 vcc_lo, exec_lo, s2
	s_cbranch_vccnz .LBB86_25
; %bb.6:
	v_cmp_lt_i64_e64 s2, s[16:17], 1
	s_and_b32 vcc_lo, exec_lo, s2
	s_cbranch_vccnz .LBB86_25
; %bb.7:
	v_min_i64 v[2:3], 0x10000, s[16:17]
	v_min_u64 v[4:5], 0x10000, s[16:17]
	s_load_b32 s0, s[0:1], 0xc5c
	v_mov_b32_e32 v1, 0
	s_mov_b32 s3, 0
	s_mov_b64 s[16:17], 0
	s_mov_b32 s5, s3
	s_mov_b32 s13, s3
	;; [unrolled: 1-line block ×3, first 2 shown]
	s_wait_kmcnt 0x0
	s_and_b32 s2, s0, 0xffff
	s_cmp_eq_f32 s10, 1.0
	s_mul_i32 s12, s2, 3
	s_cselect_b32 s0, -1, 0
	s_lshl_b32 s4, s2, 1
	s_lshl_b32 s14, s2, 2
	s_branch .LBB86_9
.LBB86_8:                               ;   in Loop: Header=BB86_9 Depth=1
	s_wait_xcnt 0x0
	s_or_b32 exec_lo, exec_lo, s1
	s_add_nc_u64 s[16:17], s[16:17], s[14:15]
	s_delay_alu instid0(SALU_CYCLE_1)
	v_cmp_ge_i64_e32 vcc_lo, s[16:17], v[2:3]
	s_cbranch_vccnz .LBB86_25
.LBB86_9:                               ; =>This Inner Loop Header: Depth=1
	v_add_nc_u64_e32 v[12:13], s[16:17], v[0:1]
	v_dual_mov_b32 v22, 0 :: v_dual_mov_b32 v21, 0
	s_mov_b32 s1, exec_lo
	s_delay_alu instid0(VALU_DEP_2)
	v_cmpx_lt_i64_e64 v[12:13], v[2:3]
	s_cbranch_execz .LBB86_11
; %bb.10:                               ;   in Loop: Header=BB86_9 Depth=1
	v_lshlrev_b64_e32 v[6:7], 1, v[12:13]
	s_delay_alu instid0(VALU_DEP_1)
	v_add_nc_u64_e32 v[8:9], s[8:9], v[6:7]
	v_add_nc_u64_e32 v[6:7], s[6:7], v[6:7]
	global_load_u16 v10, v[8:9], off
	global_load_u16 v11, v[6:7], off
	s_wait_loadcnt 0x1
	v_cvt_f32_f16_e32 v21, v10
	s_wait_loadcnt 0x0
	v_cvt_f32_f16_e32 v22, v11
.LBB86_11:                              ;   in Loop: Header=BB86_9 Depth=1
	s_wait_xcnt 0x0
	s_or_b32 exec_lo, exec_lo, s1
	v_add_nc_u64_e32 v[10:11], s[2:3], v[12:13]
	v_dual_mov_b32 v15, 0 :: v_dual_mov_b32 v20, 0
	v_mov_b32_e32 v19, 0
	s_mov_b32 s1, exec_lo
	s_delay_alu instid0(VALU_DEP_3)
	v_cmpx_lt_i64_e64 v[10:11], v[2:3]
	s_cbranch_execz .LBB86_13
; %bb.12:                               ;   in Loop: Header=BB86_9 Depth=1
	v_lshlrev_b64_e32 v[6:7], 1, v[10:11]
	s_delay_alu instid0(VALU_DEP_1)
	v_add_nc_u64_e32 v[8:9], s[8:9], v[6:7]
	v_add_nc_u64_e32 v[6:7], s[6:7], v[6:7]
	global_load_u16 v16, v[8:9], off
	global_load_u16 v17, v[6:7], off
	s_wait_loadcnt 0x1
	v_cvt_f32_f16_e32 v19, v16
	s_wait_loadcnt 0x0
	v_cvt_f32_f16_e32 v20, v17
.LBB86_13:                              ;   in Loop: Header=BB86_9 Depth=1
	s_wait_xcnt 0x0
	s_or_b32 exec_lo, exec_lo, s1
	v_add_nc_u64_e32 v[8:9], s[4:5], v[12:13]
	v_mov_b32_e32 v18, 0
	s_mov_b32 s1, exec_lo
	s_delay_alu instid0(VALU_DEP_2)
	v_cmpx_lt_i64_e64 v[8:9], v[2:3]
	s_cbranch_execz .LBB86_15
; %bb.14:                               ;   in Loop: Header=BB86_9 Depth=1
	v_lshlrev_b64_e32 v[6:7], 1, v[8:9]
	s_delay_alu instid0(VALU_DEP_1)
	v_add_nc_u64_e32 v[16:17], s[8:9], v[6:7]
	v_add_nc_u64_e32 v[6:7], s[6:7], v[6:7]
	global_load_u16 v15, v[16:17], off
	global_load_u16 v23, v[6:7], off
	s_wait_loadcnt 0x1
	v_cvt_f32_f16_e32 v18, v15
	s_wait_loadcnt 0x0
	v_cvt_f32_f16_e32 v15, v23
.LBB86_15:                              ;   in Loop: Header=BB86_9 Depth=1
	s_wait_xcnt 0x0
	s_or_b32 exec_lo, exec_lo, s1
	v_add_nc_u64_e32 v[6:7], s[12:13], v[12:13]
	v_dual_mov_b32 v17, 0 :: v_dual_mov_b32 v16, 0
	s_mov_b32 s1, exec_lo
	s_delay_alu instid0(VALU_DEP_2)
	v_cmpx_lt_i64_e64 v[6:7], v[2:3]
	s_cbranch_execnz .LBB86_20
; %bb.16:                               ;   in Loop: Header=BB86_9 Depth=1
	s_or_b32 exec_lo, exec_lo, s1
	s_delay_alu instid0(SALU_CYCLE_1)
	s_mov_b32 s1, exec_lo
	v_cmpx_lt_u64_e64 v[12:13], v[4:5]
	s_cbranch_execnz .LBB86_21
.LBB86_17:                              ;   in Loop: Header=BB86_9 Depth=1
	s_or_b32 exec_lo, exec_lo, s1
	s_delay_alu instid0(SALU_CYCLE_1)
	s_mov_b32 s1, exec_lo
	v_cmpx_lt_u64_e64 v[10:11], v[4:5]
	s_cbranch_execnz .LBB86_22
.LBB86_18:                              ;   in Loop: Header=BB86_9 Depth=1
	s_or_b32 exec_lo, exec_lo, s1
	s_delay_alu instid0(SALU_CYCLE_1)
	s_mov_b32 s1, exec_lo
	v_cmpx_lt_u64_e64 v[8:9], v[4:5]
	s_cbranch_execnz .LBB86_23
.LBB86_19:                              ;   in Loop: Header=BB86_9 Depth=1
	s_or_b32 exec_lo, exec_lo, s1
	s_delay_alu instid0(SALU_CYCLE_1)
	s_mov_b32 s1, exec_lo
	v_cmpx_lt_u64_e64 v[6:7], v[4:5]
	s_cbranch_execz .LBB86_8
	s_branch .LBB86_24
.LBB86_20:                              ;   in Loop: Header=BB86_9 Depth=1
	v_lshlrev_b64_e32 v[16:17], 1, v[6:7]
	s_delay_alu instid0(VALU_DEP_1)
	v_add_nc_u64_e32 v[24:25], s[8:9], v[16:17]
	v_add_nc_u64_e32 v[16:17], s[6:7], v[16:17]
	global_load_u16 v23, v[24:25], off
	global_load_u16 v26, v[16:17], off
	s_wait_loadcnt 0x1
	s_wait_xcnt 0x0
	v_cvt_f32_f16_e32 v16, v23
	s_wait_loadcnt 0x0
	v_cvt_f32_f16_e32 v17, v26
	s_or_b32 exec_lo, exec_lo, s1
	s_delay_alu instid0(SALU_CYCLE_1)
	s_mov_b32 s1, exec_lo
	v_cmpx_lt_u64_e64 v[12:13], v[4:5]
	s_cbranch_execz .LBB86_17
.LBB86_21:                              ;   in Loop: Header=BB86_9 Depth=1
	v_div_scale_f32 v23, null, v22, v22, v14
	v_div_scale_f32 v26, vcc_lo, v14, v22, v14
	v_lshl_add_u64 v[12:13], v[12:13], 1, s[8:9]
	s_delay_alu instid0(VALU_DEP_3) | instskip(SKIP_1) | instid1(TRANS32_DEP_1)
	v_rcp_f32_e32 v24, v23
	v_nop
	v_fma_f32 v25, -v23, v24, 1.0
	s_delay_alu instid0(VALU_DEP_1) | instskip(NEXT) | instid1(VALU_DEP_1)
	v_fmac_f32_e32 v24, v25, v24
	v_mul_f32_e32 v25, v26, v24
	s_delay_alu instid0(VALU_DEP_1) | instskip(NEXT) | instid1(VALU_DEP_1)
	v_fma_f32 v27, -v23, v25, v26
	v_fmac_f32_e32 v25, v27, v24
	s_delay_alu instid0(VALU_DEP_1) | instskip(NEXT) | instid1(VALU_DEP_1)
	v_fma_f32 v23, -v23, v25, v26
	v_div_fmas_f32 v23, v23, v24, v25
	s_delay_alu instid0(VALU_DEP_1) | instskip(NEXT) | instid1(VALU_DEP_1)
	v_div_fixup_f32 v22, v23, v22, v14
	v_dual_add_f32 v23, v22, v21 :: v_dual_fmac_f32 v21, s10, v22
	s_delay_alu instid0(VALU_DEP_1) | instskip(NEXT) | instid1(VALU_DEP_1)
	v_cndmask_b32_e64 v21, v21, v23, s0
	v_cvt_f16_f32_e32 v21, v21
	global_store_b16 v[12:13], v21, off
	s_wait_xcnt 0x0
	s_or_b32 exec_lo, exec_lo, s1
	s_delay_alu instid0(SALU_CYCLE_1)
	s_mov_b32 s1, exec_lo
	v_cmpx_lt_u64_e64 v[10:11], v[4:5]
	s_cbranch_execz .LBB86_18
.LBB86_22:                              ;   in Loop: Header=BB86_9 Depth=1
	v_div_scale_f32 v12, null, v20, v20, v14
	v_div_scale_f32 v22, vcc_lo, v14, v20, v14
	v_lshl_add_u64 v[10:11], v[10:11], 1, s[8:9]
	s_delay_alu instid0(VALU_DEP_3) | instskip(SKIP_1) | instid1(TRANS32_DEP_1)
	v_rcp_f32_e32 v13, v12
	v_nop
	v_fma_f32 v21, -v12, v13, 1.0
	s_delay_alu instid0(VALU_DEP_1) | instskip(NEXT) | instid1(VALU_DEP_1)
	v_fmac_f32_e32 v13, v21, v13
	v_mul_f32_e32 v21, v22, v13
	s_delay_alu instid0(VALU_DEP_1) | instskip(NEXT) | instid1(VALU_DEP_1)
	v_fma_f32 v23, -v12, v21, v22
	v_fmac_f32_e32 v21, v23, v13
	s_delay_alu instid0(VALU_DEP_1) | instskip(NEXT) | instid1(VALU_DEP_1)
	v_fma_f32 v12, -v12, v21, v22
	v_div_fmas_f32 v12, v12, v13, v21
	s_delay_alu instid0(VALU_DEP_1) | instskip(NEXT) | instid1(VALU_DEP_1)
	v_div_fixup_f32 v12, v12, v20, v14
	v_dual_add_f32 v13, v12, v19 :: v_dual_fmac_f32 v19, s10, v12
	s_delay_alu instid0(VALU_DEP_1) | instskip(NEXT) | instid1(VALU_DEP_1)
	v_cndmask_b32_e64 v12, v19, v13, s0
	v_cvt_f16_f32_e32 v12, v12
	global_store_b16 v[10:11], v12, off
	s_wait_xcnt 0x0
	s_or_b32 exec_lo, exec_lo, s1
	s_delay_alu instid0(SALU_CYCLE_1)
	s_mov_b32 s1, exec_lo
	v_cmpx_lt_u64_e64 v[8:9], v[4:5]
	s_cbranch_execz .LBB86_19
.LBB86_23:                              ;   in Loop: Header=BB86_9 Depth=1
	v_div_scale_f32 v10, null, v15, v15, v14
	v_div_scale_f32 v13, vcc_lo, v14, v15, v14
	v_lshl_add_u64 v[8:9], v[8:9], 1, s[8:9]
	s_delay_alu instid0(VALU_DEP_3) | instskip(SKIP_1) | instid1(TRANS32_DEP_1)
	v_rcp_f32_e32 v11, v10
	v_nop
	v_fma_f32 v12, -v10, v11, 1.0
	s_delay_alu instid0(VALU_DEP_1) | instskip(NEXT) | instid1(VALU_DEP_1)
	v_fmac_f32_e32 v11, v12, v11
	v_mul_f32_e32 v12, v13, v11
	s_delay_alu instid0(VALU_DEP_1) | instskip(NEXT) | instid1(VALU_DEP_1)
	v_fma_f32 v19, -v10, v12, v13
	v_fmac_f32_e32 v12, v19, v11
	s_delay_alu instid0(VALU_DEP_1) | instskip(NEXT) | instid1(VALU_DEP_1)
	v_fma_f32 v10, -v10, v12, v13
	v_div_fmas_f32 v10, v10, v11, v12
	s_delay_alu instid0(VALU_DEP_1) | instskip(NEXT) | instid1(VALU_DEP_1)
	v_div_fixup_f32 v10, v10, v15, v14
	v_add_f32_e32 v11, v10, v18
	v_fmac_f32_e32 v18, s10, v10
	s_delay_alu instid0(VALU_DEP_1) | instskip(NEXT) | instid1(VALU_DEP_1)
	v_cndmask_b32_e64 v10, v18, v11, s0
	v_cvt_f16_f32_e32 v10, v10
	global_store_b16 v[8:9], v10, off
	s_wait_xcnt 0x0
	s_or_b32 exec_lo, exec_lo, s1
	s_delay_alu instid0(SALU_CYCLE_1)
	s_mov_b32 s1, exec_lo
	v_cmpx_lt_u64_e64 v[6:7], v[4:5]
	s_cbranch_execz .LBB86_8
.LBB86_24:                              ;   in Loop: Header=BB86_9 Depth=1
	v_div_scale_f32 v8, null, v17, v17, v14
	v_div_scale_f32 v11, vcc_lo, v14, v17, v14
	v_lshl_add_u64 v[6:7], v[6:7], 1, s[8:9]
	s_delay_alu instid0(VALU_DEP_3) | instskip(SKIP_1) | instid1(TRANS32_DEP_1)
	v_rcp_f32_e32 v9, v8
	v_nop
	v_fma_f32 v10, -v8, v9, 1.0
	s_delay_alu instid0(VALU_DEP_1) | instskip(NEXT) | instid1(VALU_DEP_1)
	v_fmac_f32_e32 v9, v10, v9
	v_mul_f32_e32 v10, v11, v9
	s_delay_alu instid0(VALU_DEP_1) | instskip(NEXT) | instid1(VALU_DEP_1)
	v_fma_f32 v12, -v8, v10, v11
	v_fmac_f32_e32 v10, v12, v9
	s_delay_alu instid0(VALU_DEP_1) | instskip(NEXT) | instid1(VALU_DEP_1)
	v_fma_f32 v8, -v8, v10, v11
	v_div_fmas_f32 v8, v8, v9, v10
	s_delay_alu instid0(VALU_DEP_1) | instskip(NEXT) | instid1(VALU_DEP_1)
	v_div_fixup_f32 v8, v8, v17, v14
	v_add_f32_e32 v9, v8, v16
	v_fmac_f32_e32 v16, s10, v8
	s_delay_alu instid0(VALU_DEP_1) | instskip(NEXT) | instid1(VALU_DEP_1)
	v_cndmask_b32_e64 v8, v16, v9, s0
	v_cvt_f16_f32_e32 v8, v8
	global_store_b16 v[6:7], v8, off
	s_branch .LBB86_8
.LBB86_25:
	s_endpgm
	.section	.rodata,"a",@progbits
	.p2align	6, 0x0
	.amdhsa_kernel _ZN2at6native12_GLOBAL__N_125multi_tensor_apply_kernelINS1_18TensorListMetadataILi3EEENS1_32PointwiseOpScalar0dTensorFunctorIN3c104HalfELi3ELi2ELi0EEEJSt7dividesIfEfEEEvT_T0_DpT1_
		.amdhsa_group_segment_fixed_size 0
		.amdhsa_private_segment_fixed_size 0
		.amdhsa_kernarg_size 3408
		.amdhsa_user_sgpr_count 2
		.amdhsa_user_sgpr_dispatch_ptr 0
		.amdhsa_user_sgpr_queue_ptr 0
		.amdhsa_user_sgpr_kernarg_segment_ptr 1
		.amdhsa_user_sgpr_dispatch_id 0
		.amdhsa_user_sgpr_kernarg_preload_length 0
		.amdhsa_user_sgpr_kernarg_preload_offset 0
		.amdhsa_user_sgpr_private_segment_size 0
		.amdhsa_wavefront_size32 1
		.amdhsa_uses_dynamic_stack 0
		.amdhsa_enable_private_segment 0
		.amdhsa_system_sgpr_workgroup_id_x 1
		.amdhsa_system_sgpr_workgroup_id_y 0
		.amdhsa_system_sgpr_workgroup_id_z 0
		.amdhsa_system_sgpr_workgroup_info 0
		.amdhsa_system_vgpr_workitem_id 0
		.amdhsa_next_free_vgpr 42
		.amdhsa_next_free_sgpr 23
		.amdhsa_named_barrier_count 0
		.amdhsa_reserve_vcc 1
		.amdhsa_float_round_mode_32 0
		.amdhsa_float_round_mode_16_64 0
		.amdhsa_float_denorm_mode_32 3
		.amdhsa_float_denorm_mode_16_64 3
		.amdhsa_fp16_overflow 0
		.amdhsa_memory_ordered 1
		.amdhsa_forward_progress 1
		.amdhsa_inst_pref_size 18
		.amdhsa_round_robin_scheduling 0
		.amdhsa_exception_fp_ieee_invalid_op 0
		.amdhsa_exception_fp_denorm_src 0
		.amdhsa_exception_fp_ieee_div_zero 0
		.amdhsa_exception_fp_ieee_overflow 0
		.amdhsa_exception_fp_ieee_underflow 0
		.amdhsa_exception_fp_ieee_inexact 0
		.amdhsa_exception_int_div_zero 0
	.end_amdhsa_kernel
	.section	.text._ZN2at6native12_GLOBAL__N_125multi_tensor_apply_kernelINS1_18TensorListMetadataILi3EEENS1_32PointwiseOpScalar0dTensorFunctorIN3c104HalfELi3ELi2ELi0EEEJSt7dividesIfEfEEEvT_T0_DpT1_,"axG",@progbits,_ZN2at6native12_GLOBAL__N_125multi_tensor_apply_kernelINS1_18TensorListMetadataILi3EEENS1_32PointwiseOpScalar0dTensorFunctorIN3c104HalfELi3ELi2ELi0EEEJSt7dividesIfEfEEEvT_T0_DpT1_,comdat
.Lfunc_end86:
	.size	_ZN2at6native12_GLOBAL__N_125multi_tensor_apply_kernelINS1_18TensorListMetadataILi3EEENS1_32PointwiseOpScalar0dTensorFunctorIN3c104HalfELi3ELi2ELi0EEEJSt7dividesIfEfEEEvT_T0_DpT1_, .Lfunc_end86-_ZN2at6native12_GLOBAL__N_125multi_tensor_apply_kernelINS1_18TensorListMetadataILi3EEENS1_32PointwiseOpScalar0dTensorFunctorIN3c104HalfELi3ELi2ELi0EEEJSt7dividesIfEfEEEvT_T0_DpT1_
                                        ; -- End function
	.set _ZN2at6native12_GLOBAL__N_125multi_tensor_apply_kernelINS1_18TensorListMetadataILi3EEENS1_32PointwiseOpScalar0dTensorFunctorIN3c104HalfELi3ELi2ELi0EEEJSt7dividesIfEfEEEvT_T0_DpT1_.num_vgpr, 42
	.set _ZN2at6native12_GLOBAL__N_125multi_tensor_apply_kernelINS1_18TensorListMetadataILi3EEENS1_32PointwiseOpScalar0dTensorFunctorIN3c104HalfELi3ELi2ELi0EEEJSt7dividesIfEfEEEvT_T0_DpT1_.num_agpr, 0
	.set _ZN2at6native12_GLOBAL__N_125multi_tensor_apply_kernelINS1_18TensorListMetadataILi3EEENS1_32PointwiseOpScalar0dTensorFunctorIN3c104HalfELi3ELi2ELi0EEEJSt7dividesIfEfEEEvT_T0_DpT1_.numbered_sgpr, 23
	.set _ZN2at6native12_GLOBAL__N_125multi_tensor_apply_kernelINS1_18TensorListMetadataILi3EEENS1_32PointwiseOpScalar0dTensorFunctorIN3c104HalfELi3ELi2ELi0EEEJSt7dividesIfEfEEEvT_T0_DpT1_.num_named_barrier, 0
	.set _ZN2at6native12_GLOBAL__N_125multi_tensor_apply_kernelINS1_18TensorListMetadataILi3EEENS1_32PointwiseOpScalar0dTensorFunctorIN3c104HalfELi3ELi2ELi0EEEJSt7dividesIfEfEEEvT_T0_DpT1_.private_seg_size, 0
	.set _ZN2at6native12_GLOBAL__N_125multi_tensor_apply_kernelINS1_18TensorListMetadataILi3EEENS1_32PointwiseOpScalar0dTensorFunctorIN3c104HalfELi3ELi2ELi0EEEJSt7dividesIfEfEEEvT_T0_DpT1_.uses_vcc, 1
	.set _ZN2at6native12_GLOBAL__N_125multi_tensor_apply_kernelINS1_18TensorListMetadataILi3EEENS1_32PointwiseOpScalar0dTensorFunctorIN3c104HalfELi3ELi2ELi0EEEJSt7dividesIfEfEEEvT_T0_DpT1_.uses_flat_scratch, 0
	.set _ZN2at6native12_GLOBAL__N_125multi_tensor_apply_kernelINS1_18TensorListMetadataILi3EEENS1_32PointwiseOpScalar0dTensorFunctorIN3c104HalfELi3ELi2ELi0EEEJSt7dividesIfEfEEEvT_T0_DpT1_.has_dyn_sized_stack, 0
	.set _ZN2at6native12_GLOBAL__N_125multi_tensor_apply_kernelINS1_18TensorListMetadataILi3EEENS1_32PointwiseOpScalar0dTensorFunctorIN3c104HalfELi3ELi2ELi0EEEJSt7dividesIfEfEEEvT_T0_DpT1_.has_recursion, 0
	.set _ZN2at6native12_GLOBAL__N_125multi_tensor_apply_kernelINS1_18TensorListMetadataILi3EEENS1_32PointwiseOpScalar0dTensorFunctorIN3c104HalfELi3ELi2ELi0EEEJSt7dividesIfEfEEEvT_T0_DpT1_.has_indirect_call, 0
	.section	.AMDGPU.csdata,"",@progbits
; Kernel info:
; codeLenInByte = 2268
; TotalNumSgprs: 25
; NumVgprs: 42
; ScratchSize: 0
; MemoryBound: 0
; FloatMode: 240
; IeeeMode: 1
; LDSByteSize: 0 bytes/workgroup (compile time only)
; SGPRBlocks: 0
; VGPRBlocks: 2
; NumSGPRsForWavesPerEU: 25
; NumVGPRsForWavesPerEU: 42
; NamedBarCnt: 0
; Occupancy: 16
; WaveLimiterHint : 0
; COMPUTE_PGM_RSRC2:SCRATCH_EN: 0
; COMPUTE_PGM_RSRC2:USER_SGPR: 2
; COMPUTE_PGM_RSRC2:TRAP_HANDLER: 0
; COMPUTE_PGM_RSRC2:TGID_X_EN: 1
; COMPUTE_PGM_RSRC2:TGID_Y_EN: 0
; COMPUTE_PGM_RSRC2:TGID_Z_EN: 0
; COMPUTE_PGM_RSRC2:TIDIG_COMP_CNT: 0
	.section	.text._ZN2at6native12_GLOBAL__N_125multi_tensor_apply_kernelINS1_18TensorListMetadataILi3EEENS1_32PointwiseOpScalar0dTensorFunctorIN3c108BFloat16ELi3ELi2ELi0EEEJSt7dividesIfEfEEEvT_T0_DpT1_,"axG",@progbits,_ZN2at6native12_GLOBAL__N_125multi_tensor_apply_kernelINS1_18TensorListMetadataILi3EEENS1_32PointwiseOpScalar0dTensorFunctorIN3c108BFloat16ELi3ELi2ELi0EEEJSt7dividesIfEfEEEvT_T0_DpT1_,comdat
	.globl	_ZN2at6native12_GLOBAL__N_125multi_tensor_apply_kernelINS1_18TensorListMetadataILi3EEENS1_32PointwiseOpScalar0dTensorFunctorIN3c108BFloat16ELi3ELi2ELi0EEEJSt7dividesIfEfEEEvT_T0_DpT1_ ; -- Begin function _ZN2at6native12_GLOBAL__N_125multi_tensor_apply_kernelINS1_18TensorListMetadataILi3EEENS1_32PointwiseOpScalar0dTensorFunctorIN3c108BFloat16ELi3ELi2ELi0EEEJSt7dividesIfEfEEEvT_T0_DpT1_
	.p2align	8
	.type	_ZN2at6native12_GLOBAL__N_125multi_tensor_apply_kernelINS1_18TensorListMetadataILi3EEENS1_32PointwiseOpScalar0dTensorFunctorIN3c108BFloat16ELi3ELi2ELi0EEEJSt7dividesIfEfEEEvT_T0_DpT1_,@function
_ZN2at6native12_GLOBAL__N_125multi_tensor_apply_kernelINS1_18TensorListMetadataILi3EEENS1_32PointwiseOpScalar0dTensorFunctorIN3c108BFloat16ELi3ELi2ELi0EEEJSt7dividesIfEfEEEvT_T0_DpT1_: ; @_ZN2at6native12_GLOBAL__N_125multi_tensor_apply_kernelINS1_18TensorListMetadataILi3EEENS1_32PointwiseOpScalar0dTensorFunctorIN3c108BFloat16ELi3ELi2ELi0EEEJSt7dividesIfEfEEEvT_T0_DpT1_
; %bb.0:
	s_bfe_u32 s2, ttmp6, 0x4000c
	s_and_b32 s3, ttmp6, 15
	s_add_co_i32 s2, s2, 1
	s_getreg_b32 s4, hwreg(HW_REG_IB_STS2, 6, 4)
	s_mul_i32 s2, ttmp9, s2
	s_load_b32 s20, s[0:1], 0xc4c
	s_add_co_i32 s2, s3, s2
	s_cmp_eq_u32 s4, 0
	s_mov_b32 s3, 0
	s_cselect_b32 s2, ttmp9, s2
	s_delay_alu instid0(SALU_CYCLE_1) | instskip(SKIP_1) | instid1(SALU_CYCLE_1)
	s_add_nc_u64 s[4:5], s[0:1], s[2:3]
	s_mul_u64 s[6:7], s[2:3], 3
	s_add_nc_u64 s[4:5], s[4:5], s[6:7]
	s_clause 0x1
	s_load_b32 s14, s[4:5], 0x740
	s_load_u8 s8, s[0:1], s2 offset:0x600
	s_wait_kmcnt 0x0
	s_clause 0x3
	s_load_b64 s[6:7], s[0:1], s8 offset:0x180 scale_offset
	s_load_b64 s[10:11], s[0:1], s8 offset:0x300 scale_offset
	;; [unrolled: 1-line block ×4, first 2 shown]
	s_ashr_i32 s15, s14, 31
	s_delay_alu instid0(SALU_CYCLE_1)
	s_lshl_b64 s[4:5], s[14:15], 17
	s_wait_kmcnt 0x0
	s_load_u16 s21, s[6:7], 0x0
	s_add_nc_u64 s[8:9], s[6:7], s[4:5]
	s_wait_xcnt 0x0
	s_add_nc_u64 s[6:7], s[10:11], s[4:5]
	s_delay_alu instid0(SALU_CYCLE_1)
	s_or_b32 s2, s6, s8
	s_add_nc_u64 s[8:9], s[12:13], s[4:5]
	s_and_b32 s2, s2, 7
	s_and_b64 s[18:19], s[8:9], 7
	s_cmp_lg_u32 s2, 0
	s_cselect_b32 s22, -1, 0
	s_and_b32 s2, s16, 3
	s_lshl_b64 s[14:15], s[14:15], 16
	s_or_b64 s[2:3], s[18:19], s[2:3]
	s_sub_nc_u64 s[14:15], s[16:17], s[14:15]
	s_wait_kmcnt 0x0
	s_lshl_b32 s21, s21, 16
	s_cmp_lg_u64 s[2:3], 0
	s_cselect_b32 s2, -1, 0
	s_delay_alu instid0(SALU_CYCLE_1) | instskip(NEXT) | instid1(SALU_CYCLE_1)
	s_or_b32 s2, s22, s2
	s_and_not1_b32 vcc_lo, exec_lo, s2
	s_mov_b32 s2, -1
	s_cbranch_vccz .LBB87_5
; %bb.1:
	v_min_i64 v[2:3], 0x10000, s[14:15]
	v_dual_mov_b32 v5, 0 :: v_dual_lshlrev_b32 v4, 2, v0
	s_mov_b32 s22, exec_lo
	s_delay_alu instid0(VALU_DEP_1)
	v_cmpx_lt_i64_e64 v[4:5], v[2:3]
	s_cbranch_execz .LBB87_4
; %bb.2:
	s_load_b32 s3, s[0:1], 0xc5c
	v_dual_mov_b32 v1, v5 :: v_dual_lshlrev_b32 v4, 3, v0
	s_cmp_eq_f32 s20, 1.0
	s_mov_b32 s17, 0
	s_delay_alu instid0(VALU_DEP_1) | instskip(NEXT) | instid1(VALU_DEP_2)
	v_add_nc_u64_e32 v[4:5], s[4:5], v[4:5]
	v_mov_b64_e32 v[6:7], v[0:1]
	s_cselect_b32 s2, -1, 0
	s_mov_b32 s19, s17
	s_mov_b32 s23, s17
	s_wait_kmcnt 0x0
	s_and_b32 s16, s3, 0xffff
	s_delay_alu instid0(SALU_CYCLE_1)
	s_lshl_b32 s18, s16, 3
.LBB87_3:                               ; =>This Inner Loop Header: Depth=1
	v_add_nc_u64_e32 v[8:9], s[10:11], v[4:5]
	v_add_nc_u64_e32 v[10:11], s[12:13], v[4:5]
	v_add_nc_u64_e32 v[6:7], s[16:17], v[6:7]
	v_add_nc_u64_e32 v[4:5], s[18:19], v[4:5]
	global_load_b64 v[12:13], v[8:9], off
	global_load_b64 v[14:15], v[10:11], off
	s_wait_xcnt 0x1
	v_lshlrev_b64_e32 v[8:9], 2, v[6:7]
	s_wait_loadcnt 0x1
	v_and_b32_e32 v18, 0xffff0000, v12
	s_wait_loadcnt 0x0
	v_dual_lshlrev_b32 v1, 16, v14 :: v_dual_lshlrev_b32 v16, 16, v12
	v_alignbit_b32 v12, v13, v12, 16
	v_and_b32_e32 v13, 0xffff0000, v13
	v_div_scale_f32 v23, null, v18, v18, s21
	s_delay_alu instid0(VALU_DEP_4) | instskip(NEXT) | instid1(VALU_DEP_4)
	v_div_scale_f32 v21, null, v16, v16, s21
	v_and_b32_e32 v12, 0xffff0000, v12
	s_delay_alu instid0(VALU_DEP_4) | instskip(NEXT) | instid1(VALU_DEP_3)
	v_div_scale_f32 v26, null, v13, v13, s21
	v_rcp_f32_e32 v28, v21
	v_rcp_f32_e32 v29, v23
	s_delay_alu instid0(VALU_DEP_2) | instskip(NEXT) | instid1(VALU_DEP_2)
	v_div_scale_f32 v30, null, v12, v12, s21
	v_rcp_f32_e32 v31, v26
	v_div_scale_f32 v22, vcc_lo, s21, v16, s21
	s_delay_alu instid0(TRANS32_DEP_3) | instskip(NEXT) | instid1(VALU_DEP_3)
	v_fma_f32 v34, -v21, v28, 1.0
	v_rcp_f32_e32 v33, v30
	s_delay_alu instid0(TRANS32_DEP_3) | instskip(SKIP_1) | instid1(TRANS32_DEP_2)
	v_fma_f32 v35, -v23, v29, 1.0
	v_div_scale_f32 v24, s3, s21, v18, s21
	v_fma_f32 v36, -v26, v31, 1.0
	s_delay_alu instid0(VALU_DEP_3) | instskip(NEXT) | instid1(TRANS32_DEP_1)
	v_dual_fmac_f32 v28, v34, v28 :: v_dual_fmac_f32 v29, v35, v29
	v_fma_f32 v34, -v30, v33, 1.0
	v_div_scale_f32 v27, s4, s21, v13, s21
	s_delay_alu instid0(VALU_DEP_3) | instskip(SKIP_2) | instid1(VALU_DEP_3)
	v_dual_fmac_f32 v31, v36, v31 :: v_dual_mul_f32 v35, v22, v28
	v_div_scale_f32 v32, s5, s21, v12, s21
	v_mul_f32_e32 v36, v24, v29
	v_dual_fmac_f32 v33, v34, v33 :: v_dual_fma_f32 v37, -v21, v35, v22
	s_delay_alu instid0(VALU_DEP_4) | instskip(SKIP_1) | instid1(VALU_DEP_3)
	v_mul_f32_e32 v34, v27, v31
	v_and_b32_e32 v17, 0xffff0000, v14
	v_dual_fma_f32 v38, -v23, v36, v24 :: v_dual_mul_f32 v39, v32, v33
	s_delay_alu instid0(VALU_DEP_4) | instskip(SKIP_2) | instid1(VALU_DEP_4)
	v_fmac_f32_e32 v35, v37, v28
	v_and_b32_e32 v20, 0xffff0000, v15
	v_alignbit_b32 v19, v15, v14, 16
	v_fmac_f32_e32 v36, v38, v29
	v_fma_f32 v37, -v30, v39, v32
	v_dual_fma_f32 v40, -v26, v34, v27 :: v_dual_fma_f32 v21, -v21, v35, v22
	s_delay_alu instid0(VALU_DEP_4) | instskip(NEXT) | instid1(VALU_DEP_3)
	v_and_b32_e32 v25, 0xffff0000, v19
	v_dual_fma_f32 v22, -v23, v36, v24 :: v_dual_fmac_f32 v39, v37, v33
	s_delay_alu instid0(VALU_DEP_3) | instskip(NEXT) | instid1(VALU_DEP_4)
	v_fmac_f32_e32 v34, v40, v31
	v_div_fmas_f32 v21, v21, v28, v35
	s_mov_b32 vcc_lo, s3
	s_delay_alu instid0(VALU_DEP_3) | instskip(SKIP_1) | instid1(VALU_DEP_3)
	v_fma_f32 v24, -v30, v39, v32
	v_div_fmas_f32 v22, v22, v29, v36
	v_div_fixup_f32 v16, v21, v16, s21
	v_fma_f32 v23, -v26, v34, v27
	s_mov_b32 vcc_lo, s5
	v_div_fmas_f32 v21, v24, v33, v39
	s_mov_b32 vcc_lo, s4
	v_div_fixup_f32 v18, v22, v18, s21
	v_add_f32_e32 v1, v16, v1
	v_div_fmas_f32 v22, v23, v31, v34
	v_fma_mix_f32_bf16 v16, s20, v16, v14 op_sel_hi:[0,0,1]
	v_div_fixup_f32 v12, v21, v12, s21
	v_fma_mix_f32_bf16 v14, s20, v18, v14 op_sel:[0,0,1] op_sel_hi:[0,0,1]
	s_delay_alu instid0(VALU_DEP_4) | instskip(NEXT) | instid1(VALU_DEP_1)
	v_div_fixup_f32 v13, v22, v13, s21
	v_dual_add_f32 v17, v18, v17 :: v_dual_add_f32 v18, v13, v20
	v_fma_mix_f32_bf16 v13, s20, v13, v15 op_sel:[0,0,1] op_sel_hi:[0,0,1]
	v_cndmask_b32_e64 v1, v16, v1, s2
	s_delay_alu instid0(VALU_DEP_2) | instskip(NEXT) | instid1(VALU_DEP_2)
	v_dual_cndmask_b32 v14, v14, v17, s2 :: v_dual_cndmask_b32 v13, v13, v18, s2
	v_bfe_u32 v15, v1, 16, 1
	v_cmp_o_f32_e32 vcc_lo, v1, v1
	s_delay_alu instid0(VALU_DEP_3) | instskip(NEXT) | instid1(VALU_DEP_4)
	v_cmp_o_f32_e64 s3, v14, v14
	v_bfe_u32 v18, v13, 16, 1
	s_delay_alu instid0(VALU_DEP_4) | instskip(SKIP_2) | instid1(VALU_DEP_1)
	v_add3_u32 v15, v1, v15, 0x7fff
	v_add_f32_e32 v16, v12, v25
	v_fma_mix_f32_bf16 v12, s20, v12, v19 op_sel:[0,0,1] op_sel_hi:[0,0,1]
	v_dual_lshrrev_b32 v15, 16, v15 :: v_dual_cndmask_b32 v12, v12, v16, s2
	v_bfe_u32 v16, v14, 16, 1
	s_delay_alu instid0(VALU_DEP_2) | instskip(NEXT) | instid1(VALU_DEP_2)
	v_bfe_u32 v17, v12, 16, 1
	v_add3_u32 v16, v14, v16, 0x7fff
	s_delay_alu instid0(VALU_DEP_2) | instskip(SKIP_1) | instid1(VALU_DEP_3)
	v_add3_u32 v1, v12, v17, 0x7fff
	v_add3_u32 v17, v13, v18, 0x7fff
	v_and_b32_e32 v16, 0xffff0000, v16
	v_cndmask_b32_e32 v14, 0x7fc0, v15, vcc_lo
	v_cmp_o_f32_e32 vcc_lo, v12, v12
	v_lshrrev_b32_e32 v1, 16, v1
	v_and_b32_e32 v15, 0xffff0000, v17
	v_cndmask_b32_e64 v16, 0x7fc00000, v16, s3
	v_cmp_o_f32_e64 s3, v13, v13
	s_delay_alu instid0(VALU_DEP_4) | instskip(SKIP_1) | instid1(VALU_DEP_4)
	v_cndmask_b32_e32 v1, 0x7fc0, v1, vcc_lo
	v_cmp_ge_i64_e32 vcc_lo, v[8:9], v[2:3]
	v_or_b32_e32 v13, v14, v16
	s_delay_alu instid0(VALU_DEP_4) | instskip(NEXT) | instid1(VALU_DEP_2)
	v_cndmask_b32_e64 v12, 0x7fc00000, v15, s3
	v_or3_b32 v8, v13, 0, 0
	s_delay_alu instid0(VALU_DEP_2)
	v_or3_b32 v9, 0, v1, v12
	s_or_b32 s23, vcc_lo, s23
	global_store_b64 v[10:11], v[8:9], off
	s_wait_xcnt 0x0
	s_and_not1_b32 exec_lo, exec_lo, s23
	s_cbranch_execnz .LBB87_3
.LBB87_4:
	s_or_b32 exec_lo, exec_lo, s22
	s_mov_b32 s2, 0
.LBB87_5:
	s_delay_alu instid0(SALU_CYCLE_1)
	s_and_not1_b32 vcc_lo, exec_lo, s2
	s_cbranch_vccnz .LBB87_25
; %bb.6:
	v_cmp_lt_i64_e64 s2, s[14:15], 1
	s_and_b32 vcc_lo, exec_lo, s2
	s_cbranch_vccnz .LBB87_25
; %bb.7:
	v_min_i64 v[2:3], 0x10000, s[14:15]
	v_min_u64 v[4:5], 0x10000, s[14:15]
	s_load_b32 s0, s[0:1], 0xc5c
	v_mov_b32_e32 v1, 0
	s_mov_b32 s3, 0
	s_mov_b64 s[14:15], 0
	s_mov_b32 s5, s3
	s_mov_b32 s11, s3
	;; [unrolled: 1-line block ×3, first 2 shown]
	s_wait_kmcnt 0x0
	s_and_b32 s2, s0, 0xffff
	s_cmp_eq_f32 s20, 1.0
	s_mul_i32 s10, s2, 3
	s_cselect_b32 s0, -1, 0
	s_lshl_b32 s4, s2, 1
	s_lshl_b32 s12, s2, 2
	s_branch .LBB87_9
.LBB87_8:                               ;   in Loop: Header=BB87_9 Depth=1
	s_wait_xcnt 0x0
	s_or_b32 exec_lo, exec_lo, s1
	s_add_nc_u64 s[14:15], s[14:15], s[12:13]
	s_delay_alu instid0(SALU_CYCLE_1)
	v_cmp_ge_i64_e32 vcc_lo, s[14:15], v[2:3]
	s_cbranch_vccnz .LBB87_25
.LBB87_9:                               ; =>This Inner Loop Header: Depth=1
	v_add_nc_u64_e32 v[16:17], s[14:15], v[0:1]
	v_mov_b64_e32 v[8:9], 0
	v_mov_b64_e32 v[6:7], 0
	s_mov_b32 s1, exec_lo
	s_delay_alu instid0(VALU_DEP_3)
	v_cmpx_lt_i64_e64 v[16:17], v[2:3]
	s_cbranch_execz .LBB87_11
; %bb.10:                               ;   in Loop: Header=BB87_9 Depth=1
	v_lshlrev_b64_e32 v[6:7], 1, v[16:17]
	s_delay_alu instid0(VALU_DEP_1)
	v_add_nc_u64_e32 v[8:9], s[8:9], v[6:7]
	v_add_nc_u64_e32 v[6:7], s[6:7], v[6:7]
	global_load_u16 v10, v[8:9], off
	global_load_u16 v11, v[6:7], off
	s_wait_xcnt 0x0
	v_dual_mov_b32 v7, s3 :: v_dual_mov_b32 v9, s3
	s_wait_loadcnt 0x1
	v_and_b32_e32 v6, 0xffff, v10
	s_wait_loadcnt 0x0
	v_and_b32_e32 v8, 0xffff, v11
.LBB87_11:                              ;   in Loop: Header=BB87_9 Depth=1
	s_or_b32 exec_lo, exec_lo, s1
	v_add_nc_u64_e32 v[14:15], s[2:3], v[16:17]
	s_mov_b32 s1, exec_lo
	s_delay_alu instid0(VALU_DEP_1)
	v_cmpx_lt_i64_e64 v[14:15], v[2:3]
	s_cbranch_execz .LBB87_13
; %bb.12:                               ;   in Loop: Header=BB87_9 Depth=1
	v_lshlrev_b64_e32 v[10:11], 1, v[14:15]
	s_delay_alu instid0(VALU_DEP_1)
	v_add_nc_u64_e32 v[12:13], s[8:9], v[10:11]
	v_add_nc_u64_e32 v[10:11], s[6:7], v[10:11]
	global_load_u16 v18, v[12:13], off
	global_load_u16 v19, v[10:11], off
	s_wait_loadcnt 0x1
	v_lshl_or_b32 v6, v18, 16, v6
	s_wait_loadcnt 0x0
	v_lshl_or_b32 v8, v19, 16, v8
.LBB87_13:                              ;   in Loop: Header=BB87_9 Depth=1
	s_wait_xcnt 0x0
	s_or_b32 exec_lo, exec_lo, s1
	v_add_nc_u64_e32 v[12:13], s[4:5], v[16:17]
	s_mov_b32 s1, exec_lo
	s_delay_alu instid0(VALU_DEP_1)
	v_cmpx_lt_i64_e64 v[12:13], v[2:3]
	s_cbranch_execz .LBB87_15
; %bb.14:                               ;   in Loop: Header=BB87_9 Depth=1
	v_lshlrev_b64_e32 v[10:11], 1, v[12:13]
	s_delay_alu instid0(VALU_DEP_1)
	v_add_nc_u64_e32 v[18:19], s[8:9], v[10:11]
	v_add_nc_u64_e32 v[10:11], s[6:7], v[10:11]
	global_load_u16 v20, v[18:19], off
	global_load_u16 v21, v[10:11], off
	s_wait_loadcnt 0x1
	v_or_b32_e32 v7, v20, v7
	s_wait_loadcnt 0x0
	v_or_b32_e32 v9, v21, v9
.LBB87_15:                              ;   in Loop: Header=BB87_9 Depth=1
	s_wait_xcnt 0x0
	s_or_b32 exec_lo, exec_lo, s1
	v_add_nc_u64_e32 v[10:11], s[10:11], v[16:17]
	s_mov_b32 s1, exec_lo
	s_delay_alu instid0(VALU_DEP_1)
	v_cmpx_lt_i64_e64 v[10:11], v[2:3]
	s_cbranch_execnz .LBB87_20
; %bb.16:                               ;   in Loop: Header=BB87_9 Depth=1
	s_or_b32 exec_lo, exec_lo, s1
	s_delay_alu instid0(SALU_CYCLE_1)
	s_mov_b32 s1, exec_lo
	v_cmpx_lt_u64_e64 v[16:17], v[4:5]
	s_cbranch_execnz .LBB87_21
.LBB87_17:                              ;   in Loop: Header=BB87_9 Depth=1
	s_or_b32 exec_lo, exec_lo, s1
	s_delay_alu instid0(SALU_CYCLE_1)
	s_mov_b32 s1, exec_lo
	v_cmpx_lt_u64_e64 v[14:15], v[4:5]
	s_cbranch_execnz .LBB87_22
.LBB87_18:                              ;   in Loop: Header=BB87_9 Depth=1
	s_or_b32 exec_lo, exec_lo, s1
	s_delay_alu instid0(SALU_CYCLE_1)
	s_mov_b32 s1, exec_lo
	v_cmpx_lt_u64_e64 v[12:13], v[4:5]
	s_cbranch_execnz .LBB87_23
.LBB87_19:                              ;   in Loop: Header=BB87_9 Depth=1
	s_or_b32 exec_lo, exec_lo, s1
	s_delay_alu instid0(SALU_CYCLE_1)
	s_mov_b32 s1, exec_lo
	v_cmpx_lt_u64_e64 v[10:11], v[4:5]
	s_cbranch_execz .LBB87_8
	s_branch .LBB87_24
.LBB87_20:                              ;   in Loop: Header=BB87_9 Depth=1
	v_lshlrev_b64_e32 v[18:19], 1, v[10:11]
	s_delay_alu instid0(VALU_DEP_1)
	v_add_nc_u64_e32 v[20:21], s[8:9], v[18:19]
	v_add_nc_u64_e32 v[18:19], s[6:7], v[18:19]
	global_load_u16 v22, v[20:21], off
	global_load_u16 v23, v[18:19], off
	s_wait_loadcnt 0x0
	v_dual_lshlrev_b32 v18, 16, v22 :: v_dual_lshlrev_b32 v19, 16, v23
	s_delay_alu instid0(VALU_DEP_1) | instskip(NEXT) | instid1(VALU_DEP_2)
	v_or_b32_e32 v7, v18, v7
	v_or_b32_e32 v9, v19, v9
	s_or_b32 exec_lo, exec_lo, s1
	s_delay_alu instid0(SALU_CYCLE_1)
	s_mov_b32 s1, exec_lo
	v_cmpx_lt_u64_e64 v[16:17], v[4:5]
	s_cbranch_execz .LBB87_17
.LBB87_21:                              ;   in Loop: Header=BB87_9 Depth=1
	v_lshlrev_b32_e32 v18, 16, v8
	v_lshl_add_u64 v[16:17], v[16:17], 1, s[8:9]
	s_delay_alu instid0(VALU_DEP_2) | instskip(SKIP_1) | instid1(VALU_DEP_2)
	v_div_scale_f32 v19, null, v18, v18, s21
	v_div_scale_f32 v22, vcc_lo, s21, v18, s21
	v_rcp_f32_e32 v20, v19
	v_nop
	s_delay_alu instid0(TRANS32_DEP_1) | instskip(NEXT) | instid1(VALU_DEP_1)
	v_fma_f32 v21, -v19, v20, 1.0
	v_fmac_f32_e32 v20, v21, v20
	s_delay_alu instid0(VALU_DEP_1) | instskip(NEXT) | instid1(VALU_DEP_1)
	v_mul_f32_e32 v21, v22, v20
	v_fma_f32 v23, -v19, v21, v22
	s_delay_alu instid0(VALU_DEP_1) | instskip(NEXT) | instid1(VALU_DEP_1)
	v_fmac_f32_e32 v21, v23, v20
	v_fma_f32 v19, -v19, v21, v22
	s_delay_alu instid0(VALU_DEP_1) | instskip(SKIP_1) | instid1(VALU_DEP_2)
	v_div_fmas_f32 v19, v19, v20, v21
	v_lshlrev_b32_e32 v20, 16, v6
	v_div_fixup_f32 v18, v19, v18, s21
	s_delay_alu instid0(VALU_DEP_1) | instskip(SKIP_1) | instid1(VALU_DEP_1)
	v_add_f32_e32 v19, v18, v20
	v_fma_mix_f32_bf16 v18, s20, v18, v6 op_sel_hi:[0,0,1]
	v_cndmask_b32_e64 v18, v18, v19, s0
	s_delay_alu instid0(VALU_DEP_1) | instskip(NEXT) | instid1(VALU_DEP_1)
	v_bfe_u32 v19, v18, 16, 1
	v_add3_u32 v19, v18, v19, 0x7fff
	s_delay_alu instid0(VALU_DEP_1) | instskip(SKIP_1) | instid1(VALU_DEP_2)
	v_lshrrev_b32_e32 v19, 16, v19
	v_cmp_o_f32_e32 vcc_lo, v18, v18
	v_cndmask_b32_e32 v18, 0x7fc0, v19, vcc_lo
	global_store_b16 v[16:17], v18, off
	s_wait_xcnt 0x0
	s_or_b32 exec_lo, exec_lo, s1
	s_delay_alu instid0(SALU_CYCLE_1)
	s_mov_b32 s1, exec_lo
	v_cmpx_lt_u64_e64 v[14:15], v[4:5]
	s_cbranch_execz .LBB87_18
.LBB87_22:                              ;   in Loop: Header=BB87_9 Depth=1
	v_and_b32_e32 v16, 0xffff0000, v8
	v_lshl_add_u64 v[14:15], v[14:15], 1, s[8:9]
	s_delay_alu instid0(VALU_DEP_2) | instskip(SKIP_1) | instid1(VALU_DEP_2)
	v_div_scale_f32 v17, null, v16, v16, s21
	v_div_scale_f32 v20, vcc_lo, s21, v16, s21
	v_rcp_f32_e32 v18, v17
	v_nop
	s_delay_alu instid0(TRANS32_DEP_1) | instskip(NEXT) | instid1(VALU_DEP_1)
	v_fma_f32 v19, -v17, v18, 1.0
	v_fmac_f32_e32 v18, v19, v18
	s_delay_alu instid0(VALU_DEP_1) | instskip(NEXT) | instid1(VALU_DEP_1)
	v_mul_f32_e32 v19, v20, v18
	v_fma_f32 v21, -v17, v19, v20
	s_delay_alu instid0(VALU_DEP_1) | instskip(NEXT) | instid1(VALU_DEP_1)
	v_fmac_f32_e32 v19, v21, v18
	v_fma_f32 v17, -v17, v19, v20
	s_delay_alu instid0(VALU_DEP_1) | instskip(SKIP_1) | instid1(VALU_DEP_2)
	v_div_fmas_f32 v17, v17, v18, v19
	v_and_b32_e32 v18, 0xffff0000, v6
	v_div_fixup_f32 v16, v17, v16, s21
	s_delay_alu instid0(VALU_DEP_1) | instskip(SKIP_1) | instid1(VALU_DEP_1)
	v_add_f32_e32 v17, v16, v18
	v_fma_mix_f32_bf16 v16, s20, v16, v6 op_sel:[0,0,1] op_sel_hi:[0,0,1]
	v_cndmask_b32_e64 v16, v16, v17, s0
	s_delay_alu instid0(VALU_DEP_1) | instskip(SKIP_1) | instid1(VALU_DEP_2)
	v_bfe_u32 v17, v16, 16, 1
	v_cmp_o_f32_e32 vcc_lo, v16, v16
	v_add3_u32 v17, v16, v17, 0x7fff
	s_delay_alu instid0(VALU_DEP_1) | instskip(NEXT) | instid1(VALU_DEP_1)
	v_lshrrev_b32_e32 v17, 16, v17
	v_cndmask_b32_e32 v16, 0x7fc0, v17, vcc_lo
	global_store_b16 v[14:15], v16, off
	s_wait_xcnt 0x0
	s_or_b32 exec_lo, exec_lo, s1
	s_delay_alu instid0(SALU_CYCLE_1)
	s_mov_b32 s1, exec_lo
	v_cmpx_lt_u64_e64 v[12:13], v[4:5]
	s_cbranch_execz .LBB87_19
.LBB87_23:                              ;   in Loop: Header=BB87_9 Depth=1
	v_alignbit_b32 v8, v9, v8, 16
	v_alignbit_b32 v6, v7, v6, 16
	v_lshl_add_u64 v[12:13], v[12:13], 1, s[8:9]
	s_delay_alu instid0(VALU_DEP_3) | instskip(NEXT) | instid1(VALU_DEP_1)
	v_and_b32_e32 v8, 0xffff0000, v8
	v_div_scale_f32 v14, null, v8, v8, s21
	v_div_scale_f32 v17, vcc_lo, s21, v8, s21
	s_delay_alu instid0(VALU_DEP_2) | instskip(SKIP_1) | instid1(TRANS32_DEP_1)
	v_rcp_f32_e32 v15, v14
	v_nop
	v_fma_f32 v16, -v14, v15, 1.0
	s_delay_alu instid0(VALU_DEP_1) | instskip(NEXT) | instid1(VALU_DEP_1)
	v_fmac_f32_e32 v15, v16, v15
	v_mul_f32_e32 v16, v17, v15
	s_delay_alu instid0(VALU_DEP_1) | instskip(NEXT) | instid1(VALU_DEP_1)
	v_fma_f32 v18, -v14, v16, v17
	v_fmac_f32_e32 v16, v18, v15
	s_delay_alu instid0(VALU_DEP_1) | instskip(NEXT) | instid1(VALU_DEP_1)
	v_fma_f32 v14, -v14, v16, v17
	v_div_fmas_f32 v14, v14, v15, v16
	v_and_b32_e32 v15, 0xffff0000, v6
	s_delay_alu instid0(VALU_DEP_2) | instskip(NEXT) | instid1(VALU_DEP_1)
	v_div_fixup_f32 v8, v14, v8, s21
	v_add_f32_e32 v14, v8, v15
	v_fma_mix_f32_bf16 v6, s20, v8, v6 op_sel:[0,0,1] op_sel_hi:[0,0,1]
	s_delay_alu instid0(VALU_DEP_1) | instskip(NEXT) | instid1(VALU_DEP_1)
	v_cndmask_b32_e64 v6, v6, v14, s0
	v_bfe_u32 v8, v6, 16, 1
	v_cmp_o_f32_e32 vcc_lo, v6, v6
	s_delay_alu instid0(VALU_DEP_2) | instskip(NEXT) | instid1(VALU_DEP_1)
	v_add3_u32 v8, v6, v8, 0x7fff
	v_lshrrev_b32_e32 v8, 16, v8
	s_delay_alu instid0(VALU_DEP_1) | instskip(SKIP_3) | instid1(SALU_CYCLE_1)
	v_cndmask_b32_e32 v6, 0x7fc0, v8, vcc_lo
	global_store_b16 v[12:13], v6, off
	s_wait_xcnt 0x0
	s_or_b32 exec_lo, exec_lo, s1
	s_mov_b32 s1, exec_lo
	v_cmpx_lt_u64_e64 v[10:11], v[4:5]
	s_cbranch_execz .LBB87_8
.LBB87_24:                              ;   in Loop: Header=BB87_9 Depth=1
	v_and_b32_e32 v6, 0xffff0000, v9
	s_delay_alu instid0(VALU_DEP_1) | instskip(SKIP_1) | instid1(VALU_DEP_2)
	v_div_scale_f32 v8, null, v6, v6, s21
	v_div_scale_f32 v13, vcc_lo, s21, v6, s21
	v_rcp_f32_e32 v9, v8
	v_nop
	s_delay_alu instid0(TRANS32_DEP_1) | instskip(NEXT) | instid1(VALU_DEP_1)
	v_fma_f32 v12, -v8, v9, 1.0
	v_fmac_f32_e32 v9, v12, v9
	s_delay_alu instid0(VALU_DEP_1) | instskip(NEXT) | instid1(VALU_DEP_1)
	v_mul_f32_e32 v12, v13, v9
	v_fma_f32 v14, -v8, v12, v13
	s_delay_alu instid0(VALU_DEP_1) | instskip(NEXT) | instid1(VALU_DEP_1)
	v_fmac_f32_e32 v12, v14, v9
	v_fma_f32 v8, -v8, v12, v13
	s_delay_alu instid0(VALU_DEP_1) | instskip(SKIP_1) | instid1(VALU_DEP_2)
	v_div_fmas_f32 v8, v8, v9, v12
	v_and_b32_e32 v9, 0xffff0000, v7
	v_div_fixup_f32 v6, v8, v6, s21
	s_delay_alu instid0(VALU_DEP_1) | instskip(SKIP_1) | instid1(VALU_DEP_1)
	v_add_f32_e32 v8, v6, v9
	v_fma_mix_f32_bf16 v6, s20, v6, v7 op_sel:[0,0,1] op_sel_hi:[0,0,1]
	v_cndmask_b32_e64 v6, v6, v8, s0
	s_delay_alu instid0(VALU_DEP_1) | instskip(SKIP_1) | instid1(VALU_DEP_2)
	v_bfe_u32 v7, v6, 16, 1
	v_cmp_o_f32_e32 vcc_lo, v6, v6
	v_add3_u32 v7, v6, v7, 0x7fff
	s_delay_alu instid0(VALU_DEP_1) | instskip(NEXT) | instid1(VALU_DEP_1)
	v_lshrrev_b32_e32 v7, 16, v7
	v_cndmask_b32_e32 v8, 0x7fc0, v7, vcc_lo
	v_lshl_add_u64 v[6:7], v[10:11], 1, s[8:9]
	global_store_b16 v[6:7], v8, off
	s_branch .LBB87_8
.LBB87_25:
	s_endpgm
	.section	.rodata,"a",@progbits
	.p2align	6, 0x0
	.amdhsa_kernel _ZN2at6native12_GLOBAL__N_125multi_tensor_apply_kernelINS1_18TensorListMetadataILi3EEENS1_32PointwiseOpScalar0dTensorFunctorIN3c108BFloat16ELi3ELi2ELi0EEEJSt7dividesIfEfEEEvT_T0_DpT1_
		.amdhsa_group_segment_fixed_size 0
		.amdhsa_private_segment_fixed_size 0
		.amdhsa_kernarg_size 3408
		.amdhsa_user_sgpr_count 2
		.amdhsa_user_sgpr_dispatch_ptr 0
		.amdhsa_user_sgpr_queue_ptr 0
		.amdhsa_user_sgpr_kernarg_segment_ptr 1
		.amdhsa_user_sgpr_dispatch_id 0
		.amdhsa_user_sgpr_kernarg_preload_length 0
		.amdhsa_user_sgpr_kernarg_preload_offset 0
		.amdhsa_user_sgpr_private_segment_size 0
		.amdhsa_wavefront_size32 1
		.amdhsa_uses_dynamic_stack 0
		.amdhsa_enable_private_segment 0
		.amdhsa_system_sgpr_workgroup_id_x 1
		.amdhsa_system_sgpr_workgroup_id_y 0
		.amdhsa_system_sgpr_workgroup_id_z 0
		.amdhsa_system_sgpr_workgroup_info 0
		.amdhsa_system_vgpr_workitem_id 0
		.amdhsa_next_free_vgpr 41
		.amdhsa_next_free_sgpr 24
		.amdhsa_named_barrier_count 0
		.amdhsa_reserve_vcc 1
		.amdhsa_float_round_mode_32 0
		.amdhsa_float_round_mode_16_64 0
		.amdhsa_float_denorm_mode_32 3
		.amdhsa_float_denorm_mode_16_64 3
		.amdhsa_fp16_overflow 0
		.amdhsa_memory_ordered 1
		.amdhsa_forward_progress 1
		.amdhsa_inst_pref_size 22
		.amdhsa_round_robin_scheduling 0
		.amdhsa_exception_fp_ieee_invalid_op 0
		.amdhsa_exception_fp_denorm_src 0
		.amdhsa_exception_fp_ieee_div_zero 0
		.amdhsa_exception_fp_ieee_overflow 0
		.amdhsa_exception_fp_ieee_underflow 0
		.amdhsa_exception_fp_ieee_inexact 0
		.amdhsa_exception_int_div_zero 0
	.end_amdhsa_kernel
	.section	.text._ZN2at6native12_GLOBAL__N_125multi_tensor_apply_kernelINS1_18TensorListMetadataILi3EEENS1_32PointwiseOpScalar0dTensorFunctorIN3c108BFloat16ELi3ELi2ELi0EEEJSt7dividesIfEfEEEvT_T0_DpT1_,"axG",@progbits,_ZN2at6native12_GLOBAL__N_125multi_tensor_apply_kernelINS1_18TensorListMetadataILi3EEENS1_32PointwiseOpScalar0dTensorFunctorIN3c108BFloat16ELi3ELi2ELi0EEEJSt7dividesIfEfEEEvT_T0_DpT1_,comdat
.Lfunc_end87:
	.size	_ZN2at6native12_GLOBAL__N_125multi_tensor_apply_kernelINS1_18TensorListMetadataILi3EEENS1_32PointwiseOpScalar0dTensorFunctorIN3c108BFloat16ELi3ELi2ELi0EEEJSt7dividesIfEfEEEvT_T0_DpT1_, .Lfunc_end87-_ZN2at6native12_GLOBAL__N_125multi_tensor_apply_kernelINS1_18TensorListMetadataILi3EEENS1_32PointwiseOpScalar0dTensorFunctorIN3c108BFloat16ELi3ELi2ELi0EEEJSt7dividesIfEfEEEvT_T0_DpT1_
                                        ; -- End function
	.set _ZN2at6native12_GLOBAL__N_125multi_tensor_apply_kernelINS1_18TensorListMetadataILi3EEENS1_32PointwiseOpScalar0dTensorFunctorIN3c108BFloat16ELi3ELi2ELi0EEEJSt7dividesIfEfEEEvT_T0_DpT1_.num_vgpr, 41
	.set _ZN2at6native12_GLOBAL__N_125multi_tensor_apply_kernelINS1_18TensorListMetadataILi3EEENS1_32PointwiseOpScalar0dTensorFunctorIN3c108BFloat16ELi3ELi2ELi0EEEJSt7dividesIfEfEEEvT_T0_DpT1_.num_agpr, 0
	.set _ZN2at6native12_GLOBAL__N_125multi_tensor_apply_kernelINS1_18TensorListMetadataILi3EEENS1_32PointwiseOpScalar0dTensorFunctorIN3c108BFloat16ELi3ELi2ELi0EEEJSt7dividesIfEfEEEvT_T0_DpT1_.numbered_sgpr, 24
	.set _ZN2at6native12_GLOBAL__N_125multi_tensor_apply_kernelINS1_18TensorListMetadataILi3EEENS1_32PointwiseOpScalar0dTensorFunctorIN3c108BFloat16ELi3ELi2ELi0EEEJSt7dividesIfEfEEEvT_T0_DpT1_.num_named_barrier, 0
	.set _ZN2at6native12_GLOBAL__N_125multi_tensor_apply_kernelINS1_18TensorListMetadataILi3EEENS1_32PointwiseOpScalar0dTensorFunctorIN3c108BFloat16ELi3ELi2ELi0EEEJSt7dividesIfEfEEEvT_T0_DpT1_.private_seg_size, 0
	.set _ZN2at6native12_GLOBAL__N_125multi_tensor_apply_kernelINS1_18TensorListMetadataILi3EEENS1_32PointwiseOpScalar0dTensorFunctorIN3c108BFloat16ELi3ELi2ELi0EEEJSt7dividesIfEfEEEvT_T0_DpT1_.uses_vcc, 1
	.set _ZN2at6native12_GLOBAL__N_125multi_tensor_apply_kernelINS1_18TensorListMetadataILi3EEENS1_32PointwiseOpScalar0dTensorFunctorIN3c108BFloat16ELi3ELi2ELi0EEEJSt7dividesIfEfEEEvT_T0_DpT1_.uses_flat_scratch, 0
	.set _ZN2at6native12_GLOBAL__N_125multi_tensor_apply_kernelINS1_18TensorListMetadataILi3EEENS1_32PointwiseOpScalar0dTensorFunctorIN3c108BFloat16ELi3ELi2ELi0EEEJSt7dividesIfEfEEEvT_T0_DpT1_.has_dyn_sized_stack, 0
	.set _ZN2at6native12_GLOBAL__N_125multi_tensor_apply_kernelINS1_18TensorListMetadataILi3EEENS1_32PointwiseOpScalar0dTensorFunctorIN3c108BFloat16ELi3ELi2ELi0EEEJSt7dividesIfEfEEEvT_T0_DpT1_.has_recursion, 0
	.set _ZN2at6native12_GLOBAL__N_125multi_tensor_apply_kernelINS1_18TensorListMetadataILi3EEENS1_32PointwiseOpScalar0dTensorFunctorIN3c108BFloat16ELi3ELi2ELi0EEEJSt7dividesIfEfEEEvT_T0_DpT1_.has_indirect_call, 0
	.section	.AMDGPU.csdata,"",@progbits
; Kernel info:
; codeLenInByte = 2728
; TotalNumSgprs: 26
; NumVgprs: 41
; ScratchSize: 0
; MemoryBound: 0
; FloatMode: 240
; IeeeMode: 1
; LDSByteSize: 0 bytes/workgroup (compile time only)
; SGPRBlocks: 0
; VGPRBlocks: 2
; NumSGPRsForWavesPerEU: 26
; NumVGPRsForWavesPerEU: 41
; NamedBarCnt: 0
; Occupancy: 16
; WaveLimiterHint : 0
; COMPUTE_PGM_RSRC2:SCRATCH_EN: 0
; COMPUTE_PGM_RSRC2:USER_SGPR: 2
; COMPUTE_PGM_RSRC2:TRAP_HANDLER: 0
; COMPUTE_PGM_RSRC2:TGID_X_EN: 1
; COMPUTE_PGM_RSRC2:TGID_Y_EN: 0
; COMPUTE_PGM_RSRC2:TGID_Z_EN: 0
; COMPUTE_PGM_RSRC2:TIDIG_COMP_CNT: 0
	.section	.text._ZN2at6native12_GLOBAL__N_125multi_tensor_apply_kernelINS1_28TensorListScalarListMetadataIhLi4EEENS1_28PointwiseOpScalarListFunctorIhLi4ELi3ELi3EEEJSt10multipliesIhEEEEvT_T0_DpT1_,"axG",@progbits,_ZN2at6native12_GLOBAL__N_125multi_tensor_apply_kernelINS1_28TensorListScalarListMetadataIhLi4EEENS1_28PointwiseOpScalarListFunctorIhLi4ELi3ELi3EEEJSt10multipliesIhEEEEvT_T0_DpT1_,comdat
	.globl	_ZN2at6native12_GLOBAL__N_125multi_tensor_apply_kernelINS1_28TensorListScalarListMetadataIhLi4EEENS1_28PointwiseOpScalarListFunctorIhLi4ELi3ELi3EEEJSt10multipliesIhEEEEvT_T0_DpT1_ ; -- Begin function _ZN2at6native12_GLOBAL__N_125multi_tensor_apply_kernelINS1_28TensorListScalarListMetadataIhLi4EEENS1_28PointwiseOpScalarListFunctorIhLi4ELi3ELi3EEEJSt10multipliesIhEEEEvT_T0_DpT1_
	.p2align	8
	.type	_ZN2at6native12_GLOBAL__N_125multi_tensor_apply_kernelINS1_28TensorListScalarListMetadataIhLi4EEENS1_28PointwiseOpScalarListFunctorIhLi4ELi3ELi3EEEJSt10multipliesIhEEEEvT_T0_DpT1_,@function
_ZN2at6native12_GLOBAL__N_125multi_tensor_apply_kernelINS1_28TensorListScalarListMetadataIhLi4EEENS1_28PointwiseOpScalarListFunctorIhLi4ELi3ELi3EEEJSt10multipliesIhEEEEvT_T0_DpT1_: ; @_ZN2at6native12_GLOBAL__N_125multi_tensor_apply_kernelINS1_28TensorListScalarListMetadataIhLi4EEENS1_28PointwiseOpScalarListFunctorIhLi4ELi3ELi3EEEJSt10multipliesIhEEEEvT_T0_DpT1_
; %bb.0:
	s_bfe_u32 s2, ttmp6, 0x4000c
	s_and_b32 s3, ttmp6, 15
	s_add_co_i32 s2, s2, 1
	s_getreg_b32 s4, hwreg(HW_REG_IB_STS2, 6, 4)
	s_mul_i32 s2, ttmp9, s2
	v_mov_b32_e32 v3, 0
	s_add_co_i32 s3, s3, s2
	s_cmp_eq_u32 s4, 0
	s_cselect_b32 s2, ttmp9, s3
	s_mov_b32 s3, 0
	v_mov_b32_e32 v1, s2
	s_add_nc_u64 s[4:5], s[0:1], s[2:3]
	s_mul_u64 s[6:7], s[2:3], 3
	s_delay_alu instid0(SALU_CYCLE_1) | instskip(SKIP_4) | instid1(SALU_CYCLE_1)
	s_add_nc_u64 s[4:5], s[4:5], s[6:7]
	global_load_u8 v1, v1, s[0:1] offset:1476
	s_load_b32 s4, s[4:5], 0x704
	s_wait_kmcnt 0x0
	s_ashr_i32 s5, s4, 31
	s_lshl_b64 s[14:15], s[4:5], 16
	s_wait_loadcnt 0x0
	v_readfirstlane_b32 s8, v1
	s_delay_alu instid0(VALU_DEP_1) | instskip(SKIP_1) | instid1(VALU_DEP_1)
	v_mov_b32_e32 v2, s8
	s_and_b32 s2, s8, 0xff
	v_and_b32_e32 v2, 0xff, v2
	s_delay_alu instid0(VALU_DEP_1)
	v_add_nc_u64_e32 v[2:3], s[0:1], v[2:3]
	global_load_u8 v44, v[2:3], off offset:1440
	s_clause 0x4
	s_load_b64 s[6:7], s[0:1], s2 offset:0x120 scale_offset
	s_load_b64 s[8:9], s[0:1], s2 offset:0x240 scale_offset
	;; [unrolled: 1-line block ×5, first 2 shown]
	s_wait_kmcnt 0x0
	s_add_nc_u64 s[4:5], s[6:7], s[14:15]
	s_delay_alu instid0(SALU_CYCLE_1)
	s_and_b32 s2, s4, 3
	s_add_nc_u64 s[4:5], s[8:9], s[14:15]
	s_cmp_eq_u64 s[2:3], 0
	s_cselect_b32 s18, -1, 0
	s_or_b32 s2, s10, s4
	s_add_nc_u64 s[4:5], s[12:13], s[14:15]
	s_and_b32 s2, s2, 3
	s_delay_alu instid0(SALU_CYCLE_1)
	s_cmp_eq_u32 s2, 0
	s_cselect_b32 s19, -1, 0
	s_or_b64 s[4:5], s[16:17], s[4:5]
	s_sub_nc_u64 s[16:17], s[16:17], s[14:15]
	s_and_b32 s2, s4, 3
	s_and_b32 s4, s19, s18
	s_cmp_eq_u64 s[2:3], 0
	s_cselect_b32 s2, -1, 0
	s_delay_alu instid0(SALU_CYCLE_1) | instskip(NEXT) | instid1(SALU_CYCLE_1)
	s_and_b32 s2, s4, s2
	s_and_b32 vcc_lo, exec_lo, s2
	s_mov_b32 s2, -1
	s_cbranch_vccnz .LBB88_29
; %bb.1:
	v_cmp_lt_i64_e64 s2, s[16:17], 1
	s_and_b32 vcc_lo, exec_lo, s2
	s_cbranch_vccnz .LBB88_28
; %bb.2:
	s_load_b32 s2, s[0:1], 0xc1c
	v_min_i64 v[2:3], 0x10000, s[16:17]
	v_min_u64 v[4:5], 0x10000, s[16:17]
	v_mov_b32_e32 v1, 0
	s_mov_b32 s19, 0
	s_delay_alu instid0(SALU_CYCLE_1) | instskip(SKIP_1) | instid1(VALU_DEP_1)
	s_mov_b32 s3, s19
	s_mov_b32 s5, s19
	v_add_nc_u64_e32 v[14:15], s[14:15], v[0:1]
	s_delay_alu instid0(VALU_DEP_1)
	v_add_nc_u64_e32 v[6:7], s[12:13], v[14:15]
	v_add_nc_u64_e32 v[8:9], s[6:7], v[14:15]
	;; [unrolled: 1-line block ×4, first 2 shown]
	s_wait_kmcnt 0x0
	s_and_b32 s18, s2, 0xffff
	s_delay_alu instid0(SALU_CYCLE_1)
	s_lshl_b32 s2, s18, 1
	s_mul_i32 s4, s18, 3
	v_add_nc_u64_e32 v[24:25], s[18:19], v[14:15]
	s_add_nc_u64 s[20:21], s[14:15], s[4:5]
	v_add_nc_u64_e32 v[14:15], s[4:5], v[0:1]
	s_add_nc_u64 s[4:5], s[14:15], s[2:3]
	v_add_nc_u64_e32 v[32:33], s[20:21], v[0:1]
	v_add_nc_u64_e32 v[40:41], s[4:5], v[0:1]
	;; [unrolled: 1-line block ×16, first 2 shown]
	s_lshl_b32 s18, s18, 2
	s_mov_b64 s[20:21], 0
	s_branch .LBB88_4
.LBB88_3:                               ;   in Loop: Header=BB88_4 Depth=1
	s_wait_xcnt 0x0
	s_or_b32 exec_lo, exec_lo, s2
	s_add_nc_u64 s[20:21], s[20:21], s[18:19]
	s_delay_alu instid0(SALU_CYCLE_1)
	v_cmp_lt_i64_e32 vcc_lo, s[20:21], v[2:3]
	s_cbranch_vccz .LBB88_28
.LBB88_4:                               ; =>This Inner Loop Header: Depth=1
	s_wait_loadcnt 0x0
	v_add_nc_u64_e32 v[46:47], s[20:21], v[0:1]
	v_mov_b32_e32 v45, 0
	s_delay_alu instid0(VALU_DEP_2)
	v_cmp_lt_u64_e32 vcc_lo, v[46:47], v[4:5]
	v_mov_b32_e32 v46, 0
	s_and_saveexec_b32 s2, vcc_lo
	s_cbranch_execz .LBB88_6
; %bb.5:                                ;   in Loop: Header=BB88_4 Depth=1
	v_add_nc_u64_e32 v[48:49], s[20:21], v[6:7]
	v_add_nc_u64_e32 v[50:51], s[20:21], v[8:9]
	global_load_u8 v45, v[48:49], off
	global_load_u8 v46, v[50:51], off
.LBB88_6:                               ;   in Loop: Header=BB88_4 Depth=1
	s_wait_xcnt 0x0
	s_or_b32 exec_lo, exec_lo, s2
	v_dual_mov_b32 v47, 0 :: v_dual_mov_b32 v48, 0
	s_and_saveexec_b32 s2, vcc_lo
	s_cbranch_execz .LBB88_8
; %bb.7:                                ;   in Loop: Header=BB88_4 Depth=1
	v_add_nc_u64_e32 v[48:49], s[20:21], v[10:11]
	global_load_u8 v48, v[48:49], off
.LBB88_8:                               ;   in Loop: Header=BB88_4 Depth=1
	s_wait_xcnt 0x0
	s_or_b32 exec_lo, exec_lo, s2
	v_add_nc_u64_e32 v[50:51], s[20:21], v[42:43]
	v_mov_b32_e32 v49, 0
	s_delay_alu instid0(VALU_DEP_2)
	v_cmp_lt_u64_e64 s2, v[50:51], v[4:5]
	s_and_saveexec_b32 s3, s2
	s_cbranch_execz .LBB88_10
; %bb.9:                                ;   in Loop: Header=BB88_4 Depth=1
	v_add_nc_u64_e32 v[50:51], s[20:21], v[18:19]
	v_add_nc_u64_e32 v[52:53], s[20:21], v[20:21]
	global_load_u8 v49, v[50:51], off
	global_load_u8 v47, v[52:53], off
.LBB88_10:                              ;   in Loop: Header=BB88_4 Depth=1
	s_wait_xcnt 0x0
	s_or_b32 exec_lo, exec_lo, s3
	v_dual_mov_b32 v50, 0 :: v_dual_mov_b32 v51, 0
	s_and_saveexec_b32 s3, s2
	s_cbranch_execz .LBB88_12
; %bb.11:                               ;   in Loop: Header=BB88_4 Depth=1
	v_add_nc_u64_e32 v[52:53], s[20:21], v[22:23]
	global_load_u8 v51, v[52:53], off
.LBB88_12:                              ;   in Loop: Header=BB88_4 Depth=1
	s_wait_xcnt 0x0
	s_or_b32 exec_lo, exec_lo, s3
	v_add_nc_u64_e32 v[52:53], s[20:21], v[16:17]
	s_delay_alu instid0(VALU_DEP_1)
	v_cmp_lt_u64_e64 s3, v[52:53], v[4:5]
	v_mov_b32_e32 v52, 0
	s_and_saveexec_b32 s4, s3
	s_cbranch_execz .LBB88_14
; %bb.13:                               ;   in Loop: Header=BB88_4 Depth=1
	v_add_nc_u64_e32 v[54:55], s[20:21], v[34:35]
	v_add_nc_u64_e32 v[56:57], s[20:21], v[36:37]
	global_load_u8 v52, v[54:55], off
	global_load_u8 v50, v[56:57], off
.LBB88_14:                              ;   in Loop: Header=BB88_4 Depth=1
	s_wait_xcnt 0x0
	s_or_b32 exec_lo, exec_lo, s4
	v_dual_mov_b32 v53, 0 :: v_dual_mov_b32 v54, 0
	s_and_saveexec_b32 s4, s3
	s_cbranch_execz .LBB88_16
; %bb.15:                               ;   in Loop: Header=BB88_4 Depth=1
	v_add_nc_u64_e32 v[54:55], s[20:21], v[38:39]
	global_load_u8 v54, v[54:55], off
.LBB88_16:                              ;   in Loop: Header=BB88_4 Depth=1
	s_wait_xcnt 0x0
	s_or_b32 exec_lo, exec_lo, s4
	v_add_nc_u64_e32 v[56:57], s[20:21], v[14:15]
	v_mov_b32_e32 v55, 0
	s_delay_alu instid0(VALU_DEP_2)
	v_cmp_lt_u64_e64 s4, v[56:57], v[4:5]
	s_and_saveexec_b32 s5, s4
	s_cbranch_execnz .LBB88_22
; %bb.17:                               ;   in Loop: Header=BB88_4 Depth=1
	s_or_b32 exec_lo, exec_lo, s5
	v_mov_b32_e32 v56, 0
	s_and_saveexec_b32 s5, s4
	s_cbranch_execnz .LBB88_23
.LBB88_18:                              ;   in Loop: Header=BB88_4 Depth=1
	s_or_b32 exec_lo, exec_lo, s5
	s_and_saveexec_b32 s5, vcc_lo
	s_cbranch_execnz .LBB88_24
.LBB88_19:                              ;   in Loop: Header=BB88_4 Depth=1
	s_or_b32 exec_lo, exec_lo, s5
	s_and_saveexec_b32 s5, s2
	s_cbranch_execnz .LBB88_25
.LBB88_20:                              ;   in Loop: Header=BB88_4 Depth=1
	s_or_b32 exec_lo, exec_lo, s5
	s_and_saveexec_b32 s2, s3
	s_cbranch_execnz .LBB88_26
.LBB88_21:                              ;   in Loop: Header=BB88_4 Depth=1
	s_or_b32 exec_lo, exec_lo, s2
	s_and_saveexec_b32 s2, s4
	s_cbranch_execz .LBB88_3
	s_branch .LBB88_27
.LBB88_22:                              ;   in Loop: Header=BB88_4 Depth=1
	v_add_nc_u64_e32 v[56:57], s[20:21], v[26:27]
	v_add_nc_u64_e32 v[58:59], s[20:21], v[28:29]
	global_load_u8 v55, v[56:57], off
	global_load_u8 v53, v[58:59], off
	s_wait_xcnt 0x0
	s_or_b32 exec_lo, exec_lo, s5
	v_mov_b32_e32 v56, 0
	s_and_saveexec_b32 s5, s4
	s_cbranch_execz .LBB88_18
.LBB88_23:                              ;   in Loop: Header=BB88_4 Depth=1
	v_add_nc_u64_e32 v[56:57], s[20:21], v[30:31]
	global_load_u8 v56, v[56:57], off
	s_wait_xcnt 0x0
	s_or_b32 exec_lo, exec_lo, s5
	s_and_saveexec_b32 s5, vcc_lo
	s_cbranch_execz .LBB88_19
.LBB88_24:                              ;   in Loop: Header=BB88_4 Depth=1
	s_wait_loadcnt 0x0
	v_mul_lo_u16 v46, v46, v44
	v_add_nc_u64_e32 v[58:59], s[20:21], v[12:13]
	s_delay_alu instid0(VALU_DEP_2)
	v_mad_u16 v45, v46, v48, v45
	global_store_b8 v[58:59], v45, off
	s_wait_xcnt 0x0
	s_or_b32 exec_lo, exec_lo, s5
	s_and_saveexec_b32 s5, s2
	s_cbranch_execz .LBB88_20
.LBB88_25:                              ;   in Loop: Header=BB88_4 Depth=1
	s_wait_loadcnt 0x0
	v_mul_lo_u16 v45, v47, v44
	v_add_nc_u64_e32 v[46:47], s[20:21], v[24:25]
	s_delay_alu instid0(VALU_DEP_2)
	v_mad_u16 v45, v45, v51, v49
	global_store_b8 v[46:47], v45, off
	s_wait_xcnt 0x0
	s_or_b32 exec_lo, exec_lo, s5
	s_and_saveexec_b32 s2, s3
	s_cbranch_execz .LBB88_21
.LBB88_26:                              ;   in Loop: Header=BB88_4 Depth=1
	s_wait_loadcnt 0x0
	v_mul_lo_u16 v45, v50, v44
	v_add_nc_u64_e32 v[46:47], s[20:21], v[40:41]
	s_delay_alu instid0(VALU_DEP_2)
	v_mad_u16 v45, v45, v54, v52
	global_store_b8 v[46:47], v45, off
	s_wait_xcnt 0x0
	s_or_b32 exec_lo, exec_lo, s2
	s_and_saveexec_b32 s2, s4
	s_cbranch_execz .LBB88_3
.LBB88_27:                              ;   in Loop: Header=BB88_4 Depth=1
	s_wait_loadcnt 0x0
	v_mul_lo_u16 v45, v53, v44
	v_add_nc_u64_e32 v[46:47], s[20:21], v[32:33]
	s_delay_alu instid0(VALU_DEP_2)
	v_mad_u16 v45, v45, v56, v55
	global_store_b8 v[46:47], v45, off
	s_branch .LBB88_3
.LBB88_28:
	s_mov_b32 s2, 0
.LBB88_29:
	s_delay_alu instid0(SALU_CYCLE_1)
	s_and_not1_b32 vcc_lo, exec_lo, s2
	s_cbranch_vccnz .LBB88_33
; %bb.30:
	v_min_i64 v[2:3], 0x10000, s[16:17]
	v_dual_mov_b32 v5, 0 :: v_dual_lshlrev_b32 v4, 2, v0
	s_mov_b32 s2, exec_lo
	s_delay_alu instid0(VALU_DEP_1)
	v_cmpx_lt_i64_e64 v[4:5], v[2:3]
	s_cbranch_execz .LBB88_33
; %bb.31:
	s_load_b32 s0, s[0:1], 0xc1c
	v_mov_b32_e32 v1, v5
	v_add_nc_u64_e32 v[4:5], s[14:15], v[4:5]
	s_wait_xcnt 0x0
	s_mov_b32 s1, 0
	s_delay_alu instid0(SALU_CYCLE_1) | instskip(SKIP_3) | instid1(SALU_CYCLE_1)
	s_mov_b32 s3, s1
	s_mov_b32 s4, s1
	s_wait_kmcnt 0x0
	s_and_b32 s0, s0, 0xffff
	s_lshl_b32 s2, s0, 2
.LBB88_32:                              ; =>This Inner Loop Header: Depth=1
	v_add_nc_u64_e32 v[6:7], s[6:7], v[4:5]
	v_add_nc_u64_e32 v[8:9], s[12:13], v[4:5]
	;; [unrolled: 1-line block ×4, first 2 shown]
	global_load_b32 v12, v[6:7], off
	global_load_b32 v13, v[8:9], off
	;; [unrolled: 1-line block ×3, first 2 shown]
	s_wait_loadcnt 0x2
	s_wait_xcnt 0x1
	v_mul_lo_u16 v8, v44, v12
	s_wait_loadcnt 0x1
	v_dual_lshrrev_b32 v6, 8, v13 :: v_dual_lshrrev_b32 v7, 8, v12
	s_wait_loadcnt 0x0
	v_dual_lshrrev_b32 v9, 8, v14 :: v_dual_lshrrev_b32 v10, 16, v12
	v_dual_lshrrev_b32 v11, 16, v13 :: v_dual_lshrrev_b32 v15, 16, v14
	;; [unrolled: 1-line block ×3, first 2 shown]
	v_mul_lo_u16 v7, v44, v7
	s_delay_alu instid0(VALU_DEP_4) | instskip(SKIP_1) | instid1(VALU_DEP_4)
	v_mul_lo_u16 v10, v44, v10
	v_lshrrev_b32_e32 v17, 24, v14
	v_mul_lo_u16 v12, v44, v12
	v_mad_u16 v8, v8, v14, v13
	v_mad_u16 v9, v7, v9, v6
	;; [unrolled: 1-line block ×3, first 2 shown]
	v_lshlrev_b64_e32 v[6:7], 2, v[0:1]
	v_mad_u16 v11, v12, v17, v16
	s_delay_alu instid0(VALU_DEP_4) | instskip(NEXT) | instid1(VALU_DEP_4)
	v_and_b32_e32 v9, 0xff, v9
	v_and_b32_e32 v10, 0xff, v10
	s_delay_alu instid0(VALU_DEP_3) | instskip(SKIP_1) | instid1(VALU_DEP_4)
	v_lshlrev_b32_e32 v11, 24, v11
	v_cmp_ge_i64_e32 vcc_lo, v[6:7], v[2:3]
	v_perm_b32 v8, v9, v8, 0x6050400
	s_delay_alu instid0(VALU_DEP_4) | instskip(SKIP_2) | instid1(VALU_DEP_3)
	v_lshlrev_b32_e32 v9, 16, v10
	v_add_nc_u64_e32 v[6:7], s[10:11], v[4:5]
	v_add_nc_u64_e32 v[4:5], s[2:3], v[4:5]
	v_or3_b32 v8, v8, v9, v11
	s_or_b32 s4, vcc_lo, s4
	global_store_b32 v[6:7], v8, off
	s_wait_xcnt 0x0
	s_and_not1_b32 exec_lo, exec_lo, s4
	s_cbranch_execnz .LBB88_32
.LBB88_33:
	s_endpgm
	.section	.rodata,"a",@progbits
	.p2align	6, 0x0
	.amdhsa_kernel _ZN2at6native12_GLOBAL__N_125multi_tensor_apply_kernelINS1_28TensorListScalarListMetadataIhLi4EEENS1_28PointwiseOpScalarListFunctorIhLi4ELi3ELi3EEEJSt10multipliesIhEEEEvT_T0_DpT1_
		.amdhsa_group_segment_fixed_size 0
		.amdhsa_private_segment_fixed_size 0
		.amdhsa_kernarg_size 3344
		.amdhsa_user_sgpr_count 2
		.amdhsa_user_sgpr_dispatch_ptr 0
		.amdhsa_user_sgpr_queue_ptr 0
		.amdhsa_user_sgpr_kernarg_segment_ptr 1
		.amdhsa_user_sgpr_dispatch_id 0
		.amdhsa_user_sgpr_kernarg_preload_length 0
		.amdhsa_user_sgpr_kernarg_preload_offset 0
		.amdhsa_user_sgpr_private_segment_size 0
		.amdhsa_wavefront_size32 1
		.amdhsa_uses_dynamic_stack 0
		.amdhsa_enable_private_segment 0
		.amdhsa_system_sgpr_workgroup_id_x 1
		.amdhsa_system_sgpr_workgroup_id_y 0
		.amdhsa_system_sgpr_workgroup_id_z 0
		.amdhsa_system_sgpr_workgroup_info 0
		.amdhsa_system_vgpr_workitem_id 0
		.amdhsa_next_free_vgpr 60
		.amdhsa_next_free_sgpr 22
		.amdhsa_named_barrier_count 0
		.amdhsa_reserve_vcc 1
		.amdhsa_float_round_mode_32 0
		.amdhsa_float_round_mode_16_64 0
		.amdhsa_float_denorm_mode_32 3
		.amdhsa_float_denorm_mode_16_64 3
		.amdhsa_fp16_overflow 0
		.amdhsa_memory_ordered 1
		.amdhsa_forward_progress 1
		.amdhsa_inst_pref_size 13
		.amdhsa_round_robin_scheduling 0
		.amdhsa_exception_fp_ieee_invalid_op 0
		.amdhsa_exception_fp_denorm_src 0
		.amdhsa_exception_fp_ieee_div_zero 0
		.amdhsa_exception_fp_ieee_overflow 0
		.amdhsa_exception_fp_ieee_underflow 0
		.amdhsa_exception_fp_ieee_inexact 0
		.amdhsa_exception_int_div_zero 0
	.end_amdhsa_kernel
	.section	.text._ZN2at6native12_GLOBAL__N_125multi_tensor_apply_kernelINS1_28TensorListScalarListMetadataIhLi4EEENS1_28PointwiseOpScalarListFunctorIhLi4ELi3ELi3EEEJSt10multipliesIhEEEEvT_T0_DpT1_,"axG",@progbits,_ZN2at6native12_GLOBAL__N_125multi_tensor_apply_kernelINS1_28TensorListScalarListMetadataIhLi4EEENS1_28PointwiseOpScalarListFunctorIhLi4ELi3ELi3EEEJSt10multipliesIhEEEEvT_T0_DpT1_,comdat
.Lfunc_end88:
	.size	_ZN2at6native12_GLOBAL__N_125multi_tensor_apply_kernelINS1_28TensorListScalarListMetadataIhLi4EEENS1_28PointwiseOpScalarListFunctorIhLi4ELi3ELi3EEEJSt10multipliesIhEEEEvT_T0_DpT1_, .Lfunc_end88-_ZN2at6native12_GLOBAL__N_125multi_tensor_apply_kernelINS1_28TensorListScalarListMetadataIhLi4EEENS1_28PointwiseOpScalarListFunctorIhLi4ELi3ELi3EEEJSt10multipliesIhEEEEvT_T0_DpT1_
                                        ; -- End function
	.set _ZN2at6native12_GLOBAL__N_125multi_tensor_apply_kernelINS1_28TensorListScalarListMetadataIhLi4EEENS1_28PointwiseOpScalarListFunctorIhLi4ELi3ELi3EEEJSt10multipliesIhEEEEvT_T0_DpT1_.num_vgpr, 60
	.set _ZN2at6native12_GLOBAL__N_125multi_tensor_apply_kernelINS1_28TensorListScalarListMetadataIhLi4EEENS1_28PointwiseOpScalarListFunctorIhLi4ELi3ELi3EEEJSt10multipliesIhEEEEvT_T0_DpT1_.num_agpr, 0
	.set _ZN2at6native12_GLOBAL__N_125multi_tensor_apply_kernelINS1_28TensorListScalarListMetadataIhLi4EEENS1_28PointwiseOpScalarListFunctorIhLi4ELi3ELi3EEEJSt10multipliesIhEEEEvT_T0_DpT1_.numbered_sgpr, 22
	.set _ZN2at6native12_GLOBAL__N_125multi_tensor_apply_kernelINS1_28TensorListScalarListMetadataIhLi4EEENS1_28PointwiseOpScalarListFunctorIhLi4ELi3ELi3EEEJSt10multipliesIhEEEEvT_T0_DpT1_.num_named_barrier, 0
	.set _ZN2at6native12_GLOBAL__N_125multi_tensor_apply_kernelINS1_28TensorListScalarListMetadataIhLi4EEENS1_28PointwiseOpScalarListFunctorIhLi4ELi3ELi3EEEJSt10multipliesIhEEEEvT_T0_DpT1_.private_seg_size, 0
	.set _ZN2at6native12_GLOBAL__N_125multi_tensor_apply_kernelINS1_28TensorListScalarListMetadataIhLi4EEENS1_28PointwiseOpScalarListFunctorIhLi4ELi3ELi3EEEJSt10multipliesIhEEEEvT_T0_DpT1_.uses_vcc, 1
	.set _ZN2at6native12_GLOBAL__N_125multi_tensor_apply_kernelINS1_28TensorListScalarListMetadataIhLi4EEENS1_28PointwiseOpScalarListFunctorIhLi4ELi3ELi3EEEJSt10multipliesIhEEEEvT_T0_DpT1_.uses_flat_scratch, 0
	.set _ZN2at6native12_GLOBAL__N_125multi_tensor_apply_kernelINS1_28TensorListScalarListMetadataIhLi4EEENS1_28PointwiseOpScalarListFunctorIhLi4ELi3ELi3EEEJSt10multipliesIhEEEEvT_T0_DpT1_.has_dyn_sized_stack, 0
	.set _ZN2at6native12_GLOBAL__N_125multi_tensor_apply_kernelINS1_28TensorListScalarListMetadataIhLi4EEENS1_28PointwiseOpScalarListFunctorIhLi4ELi3ELi3EEEJSt10multipliesIhEEEEvT_T0_DpT1_.has_recursion, 0
	.set _ZN2at6native12_GLOBAL__N_125multi_tensor_apply_kernelINS1_28TensorListScalarListMetadataIhLi4EEENS1_28PointwiseOpScalarListFunctorIhLi4ELi3ELi3EEEJSt10multipliesIhEEEEvT_T0_DpT1_.has_indirect_call, 0
	.section	.AMDGPU.csdata,"",@progbits
; Kernel info:
; codeLenInByte = 1640
; TotalNumSgprs: 24
; NumVgprs: 60
; ScratchSize: 0
; MemoryBound: 0
; FloatMode: 240
; IeeeMode: 1
; LDSByteSize: 0 bytes/workgroup (compile time only)
; SGPRBlocks: 0
; VGPRBlocks: 3
; NumSGPRsForWavesPerEU: 24
; NumVGPRsForWavesPerEU: 60
; NamedBarCnt: 0
; Occupancy: 16
; WaveLimiterHint : 0
; COMPUTE_PGM_RSRC2:SCRATCH_EN: 0
; COMPUTE_PGM_RSRC2:USER_SGPR: 2
; COMPUTE_PGM_RSRC2:TRAP_HANDLER: 0
; COMPUTE_PGM_RSRC2:TGID_X_EN: 1
; COMPUTE_PGM_RSRC2:TGID_Y_EN: 0
; COMPUTE_PGM_RSRC2:TGID_Z_EN: 0
; COMPUTE_PGM_RSRC2:TIDIG_COMP_CNT: 0
	.section	.text._ZN2at6native12_GLOBAL__N_125multi_tensor_apply_kernelINS1_28TensorListScalarListMetadataIaLi4EEENS1_28PointwiseOpScalarListFunctorIaLi4ELi3ELi3EEEJSt10multipliesIaEEEEvT_T0_DpT1_,"axG",@progbits,_ZN2at6native12_GLOBAL__N_125multi_tensor_apply_kernelINS1_28TensorListScalarListMetadataIaLi4EEENS1_28PointwiseOpScalarListFunctorIaLi4ELi3ELi3EEEJSt10multipliesIaEEEEvT_T0_DpT1_,comdat
	.globl	_ZN2at6native12_GLOBAL__N_125multi_tensor_apply_kernelINS1_28TensorListScalarListMetadataIaLi4EEENS1_28PointwiseOpScalarListFunctorIaLi4ELi3ELi3EEEJSt10multipliesIaEEEEvT_T0_DpT1_ ; -- Begin function _ZN2at6native12_GLOBAL__N_125multi_tensor_apply_kernelINS1_28TensorListScalarListMetadataIaLi4EEENS1_28PointwiseOpScalarListFunctorIaLi4ELi3ELi3EEEJSt10multipliesIaEEEEvT_T0_DpT1_
	.p2align	8
	.type	_ZN2at6native12_GLOBAL__N_125multi_tensor_apply_kernelINS1_28TensorListScalarListMetadataIaLi4EEENS1_28PointwiseOpScalarListFunctorIaLi4ELi3ELi3EEEJSt10multipliesIaEEEEvT_T0_DpT1_,@function
_ZN2at6native12_GLOBAL__N_125multi_tensor_apply_kernelINS1_28TensorListScalarListMetadataIaLi4EEENS1_28PointwiseOpScalarListFunctorIaLi4ELi3ELi3EEEJSt10multipliesIaEEEEvT_T0_DpT1_: ; @_ZN2at6native12_GLOBAL__N_125multi_tensor_apply_kernelINS1_28TensorListScalarListMetadataIaLi4EEENS1_28PointwiseOpScalarListFunctorIaLi4ELi3ELi3EEEJSt10multipliesIaEEEEvT_T0_DpT1_
; %bb.0:
	s_bfe_u32 s2, ttmp6, 0x4000c
	s_and_b32 s3, ttmp6, 15
	s_add_co_i32 s2, s2, 1
	s_getreg_b32 s4, hwreg(HW_REG_IB_STS2, 6, 4)
	s_mul_i32 s2, ttmp9, s2
	v_mov_b32_e32 v3, 0
	s_add_co_i32 s3, s3, s2
	s_cmp_eq_u32 s4, 0
	s_cselect_b32 s2, ttmp9, s3
	s_mov_b32 s3, 0
	v_mov_b32_e32 v1, s2
	s_add_nc_u64 s[4:5], s[0:1], s[2:3]
	s_mul_u64 s[6:7], s[2:3], 3
	s_delay_alu instid0(SALU_CYCLE_1) | instskip(SKIP_4) | instid1(SALU_CYCLE_1)
	s_add_nc_u64 s[4:5], s[4:5], s[6:7]
	global_load_u8 v1, v1, s[0:1] offset:1476
	s_load_b32 s4, s[4:5], 0x704
	s_wait_kmcnt 0x0
	s_ashr_i32 s5, s4, 31
	s_lshl_b64 s[14:15], s[4:5], 16
	s_wait_loadcnt 0x0
	v_readfirstlane_b32 s8, v1
	s_delay_alu instid0(VALU_DEP_1) | instskip(SKIP_1) | instid1(VALU_DEP_1)
	v_mov_b32_e32 v2, s8
	s_and_b32 s2, s8, 0xff
	v_and_b32_e32 v2, 0xff, v2
	s_delay_alu instid0(VALU_DEP_1)
	v_add_nc_u64_e32 v[2:3], s[0:1], v[2:3]
	global_load_u8 v44, v[2:3], off offset:1440
	s_clause 0x4
	s_load_b64 s[6:7], s[0:1], s2 offset:0x120 scale_offset
	s_load_b64 s[8:9], s[0:1], s2 offset:0x240 scale_offset
	;; [unrolled: 1-line block ×5, first 2 shown]
	s_wait_kmcnt 0x0
	s_add_nc_u64 s[4:5], s[6:7], s[14:15]
	s_delay_alu instid0(SALU_CYCLE_1)
	s_and_b32 s2, s4, 3
	s_add_nc_u64 s[4:5], s[8:9], s[14:15]
	s_cmp_eq_u64 s[2:3], 0
	s_cselect_b32 s18, -1, 0
	s_or_b32 s2, s10, s4
	s_add_nc_u64 s[4:5], s[12:13], s[14:15]
	s_and_b32 s2, s2, 3
	s_delay_alu instid0(SALU_CYCLE_1)
	s_cmp_eq_u32 s2, 0
	s_cselect_b32 s19, -1, 0
	s_or_b64 s[4:5], s[16:17], s[4:5]
	s_sub_nc_u64 s[16:17], s[16:17], s[14:15]
	s_and_b32 s2, s4, 3
	s_and_b32 s4, s19, s18
	s_cmp_eq_u64 s[2:3], 0
	s_cselect_b32 s2, -1, 0
	s_delay_alu instid0(SALU_CYCLE_1) | instskip(NEXT) | instid1(SALU_CYCLE_1)
	s_and_b32 s2, s4, s2
	s_and_b32 vcc_lo, exec_lo, s2
	s_mov_b32 s2, -1
	s_cbranch_vccnz .LBB89_29
; %bb.1:
	v_cmp_lt_i64_e64 s2, s[16:17], 1
	s_and_b32 vcc_lo, exec_lo, s2
	s_cbranch_vccnz .LBB89_28
; %bb.2:
	s_load_b32 s2, s[0:1], 0xc1c
	v_min_i64 v[2:3], 0x10000, s[16:17]
	v_min_u64 v[4:5], 0x10000, s[16:17]
	v_mov_b32_e32 v1, 0
	s_mov_b32 s19, 0
	s_delay_alu instid0(SALU_CYCLE_1) | instskip(SKIP_1) | instid1(VALU_DEP_1)
	s_mov_b32 s3, s19
	s_mov_b32 s5, s19
	v_add_nc_u64_e32 v[14:15], s[14:15], v[0:1]
	s_delay_alu instid0(VALU_DEP_1)
	v_add_nc_u64_e32 v[6:7], s[12:13], v[14:15]
	v_add_nc_u64_e32 v[8:9], s[6:7], v[14:15]
	v_add_nc_u64_e32 v[10:11], s[8:9], v[14:15]
	v_add_nc_u64_e32 v[12:13], s[10:11], v[14:15]
	s_wait_kmcnt 0x0
	s_and_b32 s18, s2, 0xffff
	s_delay_alu instid0(SALU_CYCLE_1)
	s_lshl_b32 s2, s18, 1
	s_mul_i32 s4, s18, 3
	v_add_nc_u64_e32 v[24:25], s[18:19], v[14:15]
	s_add_nc_u64 s[20:21], s[14:15], s[4:5]
	v_add_nc_u64_e32 v[14:15], s[4:5], v[0:1]
	s_add_nc_u64 s[4:5], s[14:15], s[2:3]
	v_add_nc_u64_e32 v[32:33], s[20:21], v[0:1]
	v_add_nc_u64_e32 v[40:41], s[4:5], v[0:1]
	;; [unrolled: 1-line block ×16, first 2 shown]
	s_lshl_b32 s18, s18, 2
	s_mov_b64 s[20:21], 0
	s_branch .LBB89_4
.LBB89_3:                               ;   in Loop: Header=BB89_4 Depth=1
	s_wait_xcnt 0x0
	s_or_b32 exec_lo, exec_lo, s2
	s_add_nc_u64 s[20:21], s[20:21], s[18:19]
	s_delay_alu instid0(SALU_CYCLE_1)
	v_cmp_lt_i64_e32 vcc_lo, s[20:21], v[2:3]
	s_cbranch_vccz .LBB89_28
.LBB89_4:                               ; =>This Inner Loop Header: Depth=1
	s_wait_loadcnt 0x0
	v_add_nc_u64_e32 v[46:47], s[20:21], v[0:1]
	v_mov_b32_e32 v45, 0
	s_delay_alu instid0(VALU_DEP_2)
	v_cmp_lt_u64_e32 vcc_lo, v[46:47], v[4:5]
	v_mov_b32_e32 v46, 0
	s_and_saveexec_b32 s2, vcc_lo
	s_cbranch_execz .LBB89_6
; %bb.5:                                ;   in Loop: Header=BB89_4 Depth=1
	v_add_nc_u64_e32 v[48:49], s[20:21], v[6:7]
	v_add_nc_u64_e32 v[50:51], s[20:21], v[8:9]
	global_load_u8 v45, v[48:49], off
	global_load_u8 v46, v[50:51], off
.LBB89_6:                               ;   in Loop: Header=BB89_4 Depth=1
	s_wait_xcnt 0x0
	s_or_b32 exec_lo, exec_lo, s2
	v_dual_mov_b32 v47, 0 :: v_dual_mov_b32 v48, 0
	s_and_saveexec_b32 s2, vcc_lo
	s_cbranch_execz .LBB89_8
; %bb.7:                                ;   in Loop: Header=BB89_4 Depth=1
	v_add_nc_u64_e32 v[48:49], s[20:21], v[10:11]
	global_load_u8 v48, v[48:49], off
.LBB89_8:                               ;   in Loop: Header=BB89_4 Depth=1
	s_wait_xcnt 0x0
	s_or_b32 exec_lo, exec_lo, s2
	v_add_nc_u64_e32 v[50:51], s[20:21], v[42:43]
	v_mov_b32_e32 v49, 0
	s_delay_alu instid0(VALU_DEP_2)
	v_cmp_lt_u64_e64 s2, v[50:51], v[4:5]
	s_and_saveexec_b32 s3, s2
	s_cbranch_execz .LBB89_10
; %bb.9:                                ;   in Loop: Header=BB89_4 Depth=1
	v_add_nc_u64_e32 v[50:51], s[20:21], v[18:19]
	v_add_nc_u64_e32 v[52:53], s[20:21], v[20:21]
	global_load_u8 v49, v[50:51], off
	global_load_u8 v47, v[52:53], off
.LBB89_10:                              ;   in Loop: Header=BB89_4 Depth=1
	s_wait_xcnt 0x0
	s_or_b32 exec_lo, exec_lo, s3
	v_dual_mov_b32 v50, 0 :: v_dual_mov_b32 v51, 0
	s_and_saveexec_b32 s3, s2
	s_cbranch_execz .LBB89_12
; %bb.11:                               ;   in Loop: Header=BB89_4 Depth=1
	v_add_nc_u64_e32 v[52:53], s[20:21], v[22:23]
	global_load_u8 v51, v[52:53], off
.LBB89_12:                              ;   in Loop: Header=BB89_4 Depth=1
	s_wait_xcnt 0x0
	s_or_b32 exec_lo, exec_lo, s3
	v_add_nc_u64_e32 v[52:53], s[20:21], v[16:17]
	s_delay_alu instid0(VALU_DEP_1)
	v_cmp_lt_u64_e64 s3, v[52:53], v[4:5]
	v_mov_b32_e32 v52, 0
	s_and_saveexec_b32 s4, s3
	s_cbranch_execz .LBB89_14
; %bb.13:                               ;   in Loop: Header=BB89_4 Depth=1
	v_add_nc_u64_e32 v[54:55], s[20:21], v[34:35]
	v_add_nc_u64_e32 v[56:57], s[20:21], v[36:37]
	global_load_u8 v52, v[54:55], off
	global_load_u8 v50, v[56:57], off
.LBB89_14:                              ;   in Loop: Header=BB89_4 Depth=1
	s_wait_xcnt 0x0
	s_or_b32 exec_lo, exec_lo, s4
	v_dual_mov_b32 v53, 0 :: v_dual_mov_b32 v54, 0
	s_and_saveexec_b32 s4, s3
	s_cbranch_execz .LBB89_16
; %bb.15:                               ;   in Loop: Header=BB89_4 Depth=1
	v_add_nc_u64_e32 v[54:55], s[20:21], v[38:39]
	global_load_u8 v54, v[54:55], off
.LBB89_16:                              ;   in Loop: Header=BB89_4 Depth=1
	s_wait_xcnt 0x0
	s_or_b32 exec_lo, exec_lo, s4
	v_add_nc_u64_e32 v[56:57], s[20:21], v[14:15]
	v_mov_b32_e32 v55, 0
	s_delay_alu instid0(VALU_DEP_2)
	v_cmp_lt_u64_e64 s4, v[56:57], v[4:5]
	s_and_saveexec_b32 s5, s4
	s_cbranch_execnz .LBB89_22
; %bb.17:                               ;   in Loop: Header=BB89_4 Depth=1
	s_or_b32 exec_lo, exec_lo, s5
	v_mov_b32_e32 v56, 0
	s_and_saveexec_b32 s5, s4
	s_cbranch_execnz .LBB89_23
.LBB89_18:                              ;   in Loop: Header=BB89_4 Depth=1
	s_or_b32 exec_lo, exec_lo, s5
	s_and_saveexec_b32 s5, vcc_lo
	s_cbranch_execnz .LBB89_24
.LBB89_19:                              ;   in Loop: Header=BB89_4 Depth=1
	s_or_b32 exec_lo, exec_lo, s5
	s_and_saveexec_b32 s5, s2
	s_cbranch_execnz .LBB89_25
.LBB89_20:                              ;   in Loop: Header=BB89_4 Depth=1
	s_or_b32 exec_lo, exec_lo, s5
	s_and_saveexec_b32 s2, s3
	s_cbranch_execnz .LBB89_26
.LBB89_21:                              ;   in Loop: Header=BB89_4 Depth=1
	s_or_b32 exec_lo, exec_lo, s2
	s_and_saveexec_b32 s2, s4
	s_cbranch_execz .LBB89_3
	s_branch .LBB89_27
.LBB89_22:                              ;   in Loop: Header=BB89_4 Depth=1
	v_add_nc_u64_e32 v[56:57], s[20:21], v[26:27]
	v_add_nc_u64_e32 v[58:59], s[20:21], v[28:29]
	global_load_u8 v55, v[56:57], off
	global_load_u8 v53, v[58:59], off
	s_wait_xcnt 0x0
	s_or_b32 exec_lo, exec_lo, s5
	v_mov_b32_e32 v56, 0
	s_and_saveexec_b32 s5, s4
	s_cbranch_execz .LBB89_18
.LBB89_23:                              ;   in Loop: Header=BB89_4 Depth=1
	v_add_nc_u64_e32 v[56:57], s[20:21], v[30:31]
	global_load_u8 v56, v[56:57], off
	s_wait_xcnt 0x0
	s_or_b32 exec_lo, exec_lo, s5
	s_and_saveexec_b32 s5, vcc_lo
	s_cbranch_execz .LBB89_19
.LBB89_24:                              ;   in Loop: Header=BB89_4 Depth=1
	s_wait_loadcnt 0x0
	v_mul_lo_u16 v46, v46, v44
	v_add_nc_u64_e32 v[58:59], s[20:21], v[12:13]
	s_delay_alu instid0(VALU_DEP_2)
	v_mad_u16 v45, v46, v48, v45
	global_store_b8 v[58:59], v45, off
	s_wait_xcnt 0x0
	s_or_b32 exec_lo, exec_lo, s5
	s_and_saveexec_b32 s5, s2
	s_cbranch_execz .LBB89_20
.LBB89_25:                              ;   in Loop: Header=BB89_4 Depth=1
	s_wait_loadcnt 0x0
	v_mul_lo_u16 v45, v47, v44
	v_add_nc_u64_e32 v[46:47], s[20:21], v[24:25]
	s_delay_alu instid0(VALU_DEP_2)
	v_mad_u16 v45, v45, v51, v49
	global_store_b8 v[46:47], v45, off
	s_wait_xcnt 0x0
	s_or_b32 exec_lo, exec_lo, s5
	s_and_saveexec_b32 s2, s3
	s_cbranch_execz .LBB89_21
.LBB89_26:                              ;   in Loop: Header=BB89_4 Depth=1
	s_wait_loadcnt 0x0
	v_mul_lo_u16 v45, v50, v44
	v_add_nc_u64_e32 v[46:47], s[20:21], v[40:41]
	s_delay_alu instid0(VALU_DEP_2)
	v_mad_u16 v45, v45, v54, v52
	global_store_b8 v[46:47], v45, off
	s_wait_xcnt 0x0
	s_or_b32 exec_lo, exec_lo, s2
	s_and_saveexec_b32 s2, s4
	s_cbranch_execz .LBB89_3
.LBB89_27:                              ;   in Loop: Header=BB89_4 Depth=1
	s_wait_loadcnt 0x0
	v_mul_lo_u16 v45, v53, v44
	v_add_nc_u64_e32 v[46:47], s[20:21], v[32:33]
	s_delay_alu instid0(VALU_DEP_2)
	v_mad_u16 v45, v45, v56, v55
	global_store_b8 v[46:47], v45, off
	s_branch .LBB89_3
.LBB89_28:
	s_mov_b32 s2, 0
.LBB89_29:
	s_delay_alu instid0(SALU_CYCLE_1)
	s_and_not1_b32 vcc_lo, exec_lo, s2
	s_cbranch_vccnz .LBB89_33
; %bb.30:
	v_min_i64 v[2:3], 0x10000, s[16:17]
	v_dual_mov_b32 v5, 0 :: v_dual_lshlrev_b32 v4, 2, v0
	s_mov_b32 s2, exec_lo
	s_delay_alu instid0(VALU_DEP_1)
	v_cmpx_lt_i64_e64 v[4:5], v[2:3]
	s_cbranch_execz .LBB89_33
; %bb.31:
	s_load_b32 s0, s[0:1], 0xc1c
	v_mov_b32_e32 v1, v5
	v_add_nc_u64_e32 v[4:5], s[14:15], v[4:5]
	s_wait_xcnt 0x0
	s_mov_b32 s1, 0
	s_delay_alu instid0(SALU_CYCLE_1) | instskip(SKIP_3) | instid1(SALU_CYCLE_1)
	s_mov_b32 s3, s1
	s_mov_b32 s4, s1
	s_wait_kmcnt 0x0
	s_and_b32 s0, s0, 0xffff
	s_lshl_b32 s2, s0, 2
.LBB89_32:                              ; =>This Inner Loop Header: Depth=1
	v_add_nc_u64_e32 v[6:7], s[6:7], v[4:5]
	v_add_nc_u64_e32 v[8:9], s[12:13], v[4:5]
	;; [unrolled: 1-line block ×4, first 2 shown]
	global_load_b32 v12, v[6:7], off
	global_load_b32 v13, v[8:9], off
	;; [unrolled: 1-line block ×3, first 2 shown]
	s_wait_loadcnt 0x2
	s_wait_xcnt 0x1
	v_mul_lo_u16 v8, v44, v12
	s_wait_loadcnt 0x1
	v_dual_lshrrev_b32 v6, 8, v13 :: v_dual_lshrrev_b32 v7, 8, v12
	s_wait_loadcnt 0x0
	v_dual_lshrrev_b32 v9, 8, v14 :: v_dual_lshrrev_b32 v10, 16, v12
	v_dual_lshrrev_b32 v11, 16, v13 :: v_dual_lshrrev_b32 v15, 16, v14
	;; [unrolled: 1-line block ×3, first 2 shown]
	v_mul_lo_u16 v7, v44, v7
	s_delay_alu instid0(VALU_DEP_4) | instskip(SKIP_1) | instid1(VALU_DEP_4)
	v_mul_lo_u16 v10, v44, v10
	v_lshrrev_b32_e32 v17, 24, v14
	v_mul_lo_u16 v12, v44, v12
	v_mad_u16 v8, v8, v14, v13
	v_mad_u16 v9, v7, v9, v6
	;; [unrolled: 1-line block ×3, first 2 shown]
	v_lshlrev_b64_e32 v[6:7], 2, v[0:1]
	v_mad_u16 v11, v12, v17, v16
	s_delay_alu instid0(VALU_DEP_4) | instskip(NEXT) | instid1(VALU_DEP_4)
	v_and_b32_e32 v9, 0xff, v9
	v_and_b32_e32 v10, 0xff, v10
	s_delay_alu instid0(VALU_DEP_3) | instskip(SKIP_1) | instid1(VALU_DEP_4)
	v_lshlrev_b32_e32 v11, 24, v11
	v_cmp_ge_i64_e32 vcc_lo, v[6:7], v[2:3]
	v_perm_b32 v8, v9, v8, 0x6050400
	s_delay_alu instid0(VALU_DEP_4) | instskip(SKIP_2) | instid1(VALU_DEP_3)
	v_lshlrev_b32_e32 v9, 16, v10
	v_add_nc_u64_e32 v[6:7], s[10:11], v[4:5]
	v_add_nc_u64_e32 v[4:5], s[2:3], v[4:5]
	v_or3_b32 v8, v8, v9, v11
	s_or_b32 s4, vcc_lo, s4
	global_store_b32 v[6:7], v8, off
	s_wait_xcnt 0x0
	s_and_not1_b32 exec_lo, exec_lo, s4
	s_cbranch_execnz .LBB89_32
.LBB89_33:
	s_endpgm
	.section	.rodata,"a",@progbits
	.p2align	6, 0x0
	.amdhsa_kernel _ZN2at6native12_GLOBAL__N_125multi_tensor_apply_kernelINS1_28TensorListScalarListMetadataIaLi4EEENS1_28PointwiseOpScalarListFunctorIaLi4ELi3ELi3EEEJSt10multipliesIaEEEEvT_T0_DpT1_
		.amdhsa_group_segment_fixed_size 0
		.amdhsa_private_segment_fixed_size 0
		.amdhsa_kernarg_size 3344
		.amdhsa_user_sgpr_count 2
		.amdhsa_user_sgpr_dispatch_ptr 0
		.amdhsa_user_sgpr_queue_ptr 0
		.amdhsa_user_sgpr_kernarg_segment_ptr 1
		.amdhsa_user_sgpr_dispatch_id 0
		.amdhsa_user_sgpr_kernarg_preload_length 0
		.amdhsa_user_sgpr_kernarg_preload_offset 0
		.amdhsa_user_sgpr_private_segment_size 0
		.amdhsa_wavefront_size32 1
		.amdhsa_uses_dynamic_stack 0
		.amdhsa_enable_private_segment 0
		.amdhsa_system_sgpr_workgroup_id_x 1
		.amdhsa_system_sgpr_workgroup_id_y 0
		.amdhsa_system_sgpr_workgroup_id_z 0
		.amdhsa_system_sgpr_workgroup_info 0
		.amdhsa_system_vgpr_workitem_id 0
		.amdhsa_next_free_vgpr 60
		.amdhsa_next_free_sgpr 22
		.amdhsa_named_barrier_count 0
		.amdhsa_reserve_vcc 1
		.amdhsa_float_round_mode_32 0
		.amdhsa_float_round_mode_16_64 0
		.amdhsa_float_denorm_mode_32 3
		.amdhsa_float_denorm_mode_16_64 3
		.amdhsa_fp16_overflow 0
		.amdhsa_memory_ordered 1
		.amdhsa_forward_progress 1
		.amdhsa_inst_pref_size 13
		.amdhsa_round_robin_scheduling 0
		.amdhsa_exception_fp_ieee_invalid_op 0
		.amdhsa_exception_fp_denorm_src 0
		.amdhsa_exception_fp_ieee_div_zero 0
		.amdhsa_exception_fp_ieee_overflow 0
		.amdhsa_exception_fp_ieee_underflow 0
		.amdhsa_exception_fp_ieee_inexact 0
		.amdhsa_exception_int_div_zero 0
	.end_amdhsa_kernel
	.section	.text._ZN2at6native12_GLOBAL__N_125multi_tensor_apply_kernelINS1_28TensorListScalarListMetadataIaLi4EEENS1_28PointwiseOpScalarListFunctorIaLi4ELi3ELi3EEEJSt10multipliesIaEEEEvT_T0_DpT1_,"axG",@progbits,_ZN2at6native12_GLOBAL__N_125multi_tensor_apply_kernelINS1_28TensorListScalarListMetadataIaLi4EEENS1_28PointwiseOpScalarListFunctorIaLi4ELi3ELi3EEEJSt10multipliesIaEEEEvT_T0_DpT1_,comdat
.Lfunc_end89:
	.size	_ZN2at6native12_GLOBAL__N_125multi_tensor_apply_kernelINS1_28TensorListScalarListMetadataIaLi4EEENS1_28PointwiseOpScalarListFunctorIaLi4ELi3ELi3EEEJSt10multipliesIaEEEEvT_T0_DpT1_, .Lfunc_end89-_ZN2at6native12_GLOBAL__N_125multi_tensor_apply_kernelINS1_28TensorListScalarListMetadataIaLi4EEENS1_28PointwiseOpScalarListFunctorIaLi4ELi3ELi3EEEJSt10multipliesIaEEEEvT_T0_DpT1_
                                        ; -- End function
	.set _ZN2at6native12_GLOBAL__N_125multi_tensor_apply_kernelINS1_28TensorListScalarListMetadataIaLi4EEENS1_28PointwiseOpScalarListFunctorIaLi4ELi3ELi3EEEJSt10multipliesIaEEEEvT_T0_DpT1_.num_vgpr, 60
	.set _ZN2at6native12_GLOBAL__N_125multi_tensor_apply_kernelINS1_28TensorListScalarListMetadataIaLi4EEENS1_28PointwiseOpScalarListFunctorIaLi4ELi3ELi3EEEJSt10multipliesIaEEEEvT_T0_DpT1_.num_agpr, 0
	.set _ZN2at6native12_GLOBAL__N_125multi_tensor_apply_kernelINS1_28TensorListScalarListMetadataIaLi4EEENS1_28PointwiseOpScalarListFunctorIaLi4ELi3ELi3EEEJSt10multipliesIaEEEEvT_T0_DpT1_.numbered_sgpr, 22
	.set _ZN2at6native12_GLOBAL__N_125multi_tensor_apply_kernelINS1_28TensorListScalarListMetadataIaLi4EEENS1_28PointwiseOpScalarListFunctorIaLi4ELi3ELi3EEEJSt10multipliesIaEEEEvT_T0_DpT1_.num_named_barrier, 0
	.set _ZN2at6native12_GLOBAL__N_125multi_tensor_apply_kernelINS1_28TensorListScalarListMetadataIaLi4EEENS1_28PointwiseOpScalarListFunctorIaLi4ELi3ELi3EEEJSt10multipliesIaEEEEvT_T0_DpT1_.private_seg_size, 0
	.set _ZN2at6native12_GLOBAL__N_125multi_tensor_apply_kernelINS1_28TensorListScalarListMetadataIaLi4EEENS1_28PointwiseOpScalarListFunctorIaLi4ELi3ELi3EEEJSt10multipliesIaEEEEvT_T0_DpT1_.uses_vcc, 1
	.set _ZN2at6native12_GLOBAL__N_125multi_tensor_apply_kernelINS1_28TensorListScalarListMetadataIaLi4EEENS1_28PointwiseOpScalarListFunctorIaLi4ELi3ELi3EEEJSt10multipliesIaEEEEvT_T0_DpT1_.uses_flat_scratch, 0
	.set _ZN2at6native12_GLOBAL__N_125multi_tensor_apply_kernelINS1_28TensorListScalarListMetadataIaLi4EEENS1_28PointwiseOpScalarListFunctorIaLi4ELi3ELi3EEEJSt10multipliesIaEEEEvT_T0_DpT1_.has_dyn_sized_stack, 0
	.set _ZN2at6native12_GLOBAL__N_125multi_tensor_apply_kernelINS1_28TensorListScalarListMetadataIaLi4EEENS1_28PointwiseOpScalarListFunctorIaLi4ELi3ELi3EEEJSt10multipliesIaEEEEvT_T0_DpT1_.has_recursion, 0
	.set _ZN2at6native12_GLOBAL__N_125multi_tensor_apply_kernelINS1_28TensorListScalarListMetadataIaLi4EEENS1_28PointwiseOpScalarListFunctorIaLi4ELi3ELi3EEEJSt10multipliesIaEEEEvT_T0_DpT1_.has_indirect_call, 0
	.section	.AMDGPU.csdata,"",@progbits
; Kernel info:
; codeLenInByte = 1640
; TotalNumSgprs: 24
; NumVgprs: 60
; ScratchSize: 0
; MemoryBound: 0
; FloatMode: 240
; IeeeMode: 1
; LDSByteSize: 0 bytes/workgroup (compile time only)
; SGPRBlocks: 0
; VGPRBlocks: 3
; NumSGPRsForWavesPerEU: 24
; NumVGPRsForWavesPerEU: 60
; NamedBarCnt: 0
; Occupancy: 16
; WaveLimiterHint : 0
; COMPUTE_PGM_RSRC2:SCRATCH_EN: 0
; COMPUTE_PGM_RSRC2:USER_SGPR: 2
; COMPUTE_PGM_RSRC2:TRAP_HANDLER: 0
; COMPUTE_PGM_RSRC2:TGID_X_EN: 1
; COMPUTE_PGM_RSRC2:TGID_Y_EN: 0
; COMPUTE_PGM_RSRC2:TGID_Z_EN: 0
; COMPUTE_PGM_RSRC2:TIDIG_COMP_CNT: 0
	.section	.text._ZN2at6native12_GLOBAL__N_125multi_tensor_apply_kernelINS1_28TensorListScalarListMetadataIiLi4EEENS1_28PointwiseOpScalarListFunctorIiLi4ELi3ELi3EEEJSt10multipliesIiEEEEvT_T0_DpT1_,"axG",@progbits,_ZN2at6native12_GLOBAL__N_125multi_tensor_apply_kernelINS1_28TensorListScalarListMetadataIiLi4EEENS1_28PointwiseOpScalarListFunctorIiLi4ELi3ELi3EEEJSt10multipliesIiEEEEvT_T0_DpT1_,comdat
	.globl	_ZN2at6native12_GLOBAL__N_125multi_tensor_apply_kernelINS1_28TensorListScalarListMetadataIiLi4EEENS1_28PointwiseOpScalarListFunctorIiLi4ELi3ELi3EEEJSt10multipliesIiEEEEvT_T0_DpT1_ ; -- Begin function _ZN2at6native12_GLOBAL__N_125multi_tensor_apply_kernelINS1_28TensorListScalarListMetadataIiLi4EEENS1_28PointwiseOpScalarListFunctorIiLi4ELi3ELi3EEEJSt10multipliesIiEEEEvT_T0_DpT1_
	.p2align	8
	.type	_ZN2at6native12_GLOBAL__N_125multi_tensor_apply_kernelINS1_28TensorListScalarListMetadataIiLi4EEENS1_28PointwiseOpScalarListFunctorIiLi4ELi3ELi3EEEJSt10multipliesIiEEEEvT_T0_DpT1_,@function
_ZN2at6native12_GLOBAL__N_125multi_tensor_apply_kernelINS1_28TensorListScalarListMetadataIiLi4EEENS1_28PointwiseOpScalarListFunctorIiLi4ELi3ELi3EEEJSt10multipliesIiEEEEvT_T0_DpT1_: ; @_ZN2at6native12_GLOBAL__N_125multi_tensor_apply_kernelINS1_28TensorListScalarListMetadataIiLi4EEENS1_28PointwiseOpScalarListFunctorIiLi4ELi3ELi3EEEJSt10multipliesIiEEEEvT_T0_DpT1_
; %bb.0:
	s_bfe_u32 s2, ttmp6, 0x4000c
	s_and_b32 s3, ttmp6, 15
	s_add_co_i32 s2, s2, 1
	s_getreg_b32 s4, hwreg(HW_REG_IB_STS2, 6, 4)
	s_mul_i32 s2, ttmp9, s2
	s_delay_alu instid0(SALU_CYCLE_1)
	s_add_co_i32 s3, s3, s2
	s_cmp_eq_u32 s4, 0
	s_cselect_b32 s2, ttmp9, s3
	s_mov_b32 s3, 0
	s_load_u8 s24, s[0:1], s2 offset:0x630
	s_add_nc_u64 s[4:5], s[0:1], s[2:3]
	s_mul_u64 s[6:7], s[2:3], 3
	s_delay_alu instid0(SALU_CYCLE_1)
	s_add_nc_u64 s[4:5], s[4:5], s[6:7]
	s_load_b32 s16, s[4:5], 0x770
	s_wait_kmcnt 0x0
	s_clause 0x4
	s_load_b64 s[10:11], s[0:1], s24 offset:0x120 scale_offset
	s_load_b64 s[12:13], s[0:1], s24 offset:0x0 scale_offset
	;; [unrolled: 1-line block ×5, first 2 shown]
	s_lshl_b32 s2, s24, 3
	s_delay_alu instid0(SALU_CYCLE_1) | instskip(SKIP_1) | instid1(SALU_CYCLE_1)
	s_add_nc_u64 s[20:21], s[0:1], s[2:3]
	s_ashr_i32 s17, s16, 31
	s_lshl_b64 s[14:15], s[16:17], 18
	s_wait_kmcnt 0x0
	s_add_nc_u64 s[4:5], s[10:11], s[14:15]
	s_add_nc_u64 s[22:23], s[6:7], s[14:15]
	s_and_b32 s2, s4, 15
	s_and_b64 s[4:5], s[12:13], 15
	s_cmp_eq_u64 s[2:3], 0
	s_cselect_b32 s25, -1, 0
	s_or_b32 s2, s8, s22
	s_delay_alu instid0(SALU_CYCLE_1) | instskip(NEXT) | instid1(SALU_CYCLE_1)
	s_and_b32 s2, s2, 15
	s_cmp_eq_u32 s2, 0
	s_cselect_b32 s26, -1, 0
	s_lshl_b32 s2, s24, 2
	s_delay_alu instid0(SALU_CYCLE_1)
	s_sub_nc_u64 s[22:23], 0, s[2:3]
	s_and_b32 s2, s18, 3
	s_add_nc_u64 s[20:21], s[20:21], s[22:23]
	s_or_b64 s[2:3], s[4:5], s[2:3]
	s_load_b32 s24, s[20:21], 0x5a0
	s_wait_xcnt 0x0
	s_and_b32 s20, s26, s25
	s_lshl_b64 s[4:5], s[16:17], 16
	s_cmp_eq_u64 s[2:3], 0
	s_sub_nc_u64 s[16:17], s[18:19], s[4:5]
	s_cselect_b32 s2, -1, 0
	s_delay_alu instid0(SALU_CYCLE_1) | instskip(NEXT) | instid1(SALU_CYCLE_1)
	s_and_b32 s2, s20, s2
	s_and_b32 vcc_lo, exec_lo, s2
	s_mov_b32 s2, -1
	s_cbranch_vccnz .LBB90_29
; %bb.1:
	v_cmp_lt_i64_e64 s2, s[16:17], 1
	s_and_b32 vcc_lo, exec_lo, s2
	s_cbranch_vccnz .LBB90_28
; %bb.2:
	s_load_b32 s2, s[0:1], 0xc84
	v_min_i64 v[2:3], 0x10000, s[16:17]
	v_min_u64 v[4:5], 0x10000, s[16:17]
	v_dual_mov_b32 v1, 0 :: v_dual_lshlrev_b32 v14, 2, v0
	s_mov_b32 s21, 0
	s_mov_b64 s[22:23], 0
	s_mov_b32 s19, s21
	s_delay_alu instid0(VALU_DEP_1) | instskip(SKIP_2) | instid1(VALU_DEP_1)
	v_dual_mov_b32 v15, v1 :: v_dual_mov_b32 v43, v1
	s_mov_b32 s3, s21
	s_mov_b32 s5, s21
	v_add_nc_u64_e32 v[6:7], s[12:13], v[14:15]
	v_add_nc_u64_e32 v[8:9], s[10:11], v[14:15]
	v_add_nc_u64_e32 v[10:11], s[6:7], v[14:15]
	s_wait_kmcnt 0x0
	s_and_b32 s20, s2, 0xffff
	s_delay_alu instid0(SALU_CYCLE_1)
	v_add_nc_u64_e32 v[12:13], s[20:21], v[0:1]
	v_mad_nc_u64_u32 v[34:35], s20, 12, v[14:15]
	s_lshl_b32 s18, s20, 3
	s_mul_i32 s4, s20, 3
	v_add_nc_u64_e32 v[26:27], s[18:19], v[14:15]
	s_lshl_b32 s2, s20, 1
	v_add_nc_u64_e32 v[14:15], s[8:9], v[14:15]
	v_lshlrev_b32_e32 v42, 2, v12
	v_add_nc_u64_e32 v[16:17], s[4:5], v[0:1]
	v_add_nc_u64_e32 v[18:19], s[2:3], v[0:1]
	s_lshl_b32 s18, s20, 2
	v_add_nc_u64_e32 v[20:21], s[12:13], v[26:27]
	v_add_nc_u64_e32 v[22:23], s[10:11], v[26:27]
	;; [unrolled: 1-line block ×12, first 2 shown]
	s_lshl_b32 s20, s20, 4
	s_branch .LBB90_4
.LBB90_3:                               ;   in Loop: Header=BB90_4 Depth=1
	s_wait_xcnt 0x0
	s_or_b32 exec_lo, exec_lo, s2
	s_add_nc_u64 s[22:23], s[22:23], s[18:19]
	v_add_nc_u64_e32 v[6:7], s[20:21], v[6:7]
	v_cmp_lt_i64_e32 vcc_lo, s[22:23], v[2:3]
	v_add_nc_u64_e32 v[8:9], s[20:21], v[8:9]
	v_add_nc_u64_e32 v[10:11], s[20:21], v[10:11]
	;; [unrolled: 1-line block ×15, first 2 shown]
	s_cbranch_vccz .LBB90_28
.LBB90_4:                               ; =>This Inner Loop Header: Depth=1
	s_wait_loadcnt 0x0
	v_add_nc_u64_e32 v[44:45], s[22:23], v[0:1]
	s_delay_alu instid0(VALU_DEP_1)
	v_cmp_lt_u64_e32 vcc_lo, v[44:45], v[4:5]
	v_dual_mov_b32 v45, 0 :: v_dual_mov_b32 v44, 0
	s_and_saveexec_b32 s2, vcc_lo
	s_cbranch_execz .LBB90_6
; %bb.5:                                ;   in Loop: Header=BB90_4 Depth=1
	v_add_nc_u64_e32 v[46:47], s[14:15], v[6:7]
	v_add_nc_u64_e32 v[48:49], s[14:15], v[8:9]
	global_load_b32 v44, v[46:47], off
	global_load_b32 v45, v[48:49], off
.LBB90_6:                               ;   in Loop: Header=BB90_4 Depth=1
	s_wait_xcnt 0x0
	s_or_b32 exec_lo, exec_lo, s2
	v_dual_mov_b32 v46, 0 :: v_dual_mov_b32 v47, 0
	s_and_saveexec_b32 s2, vcc_lo
	s_cbranch_execz .LBB90_8
; %bb.7:                                ;   in Loop: Header=BB90_4 Depth=1
	v_add_nc_u64_e32 v[48:49], s[14:15], v[10:11]
	global_load_b32 v47, v[48:49], off
.LBB90_8:                               ;   in Loop: Header=BB90_4 Depth=1
	s_wait_xcnt 0x0
	s_or_b32 exec_lo, exec_lo, s2
	v_add_nc_u64_e32 v[48:49], s[22:23], v[12:13]
	s_delay_alu instid0(VALU_DEP_1)
	v_cmp_lt_u64_e64 s2, v[48:49], v[4:5]
	v_mov_b32_e32 v48, 0
	s_and_saveexec_b32 s3, s2
	s_cbranch_execz .LBB90_10
; %bb.9:                                ;   in Loop: Header=BB90_4 Depth=1
	v_add_nc_u64_e32 v[50:51], s[14:15], v[36:37]
	v_add_nc_u64_e32 v[52:53], s[14:15], v[38:39]
	global_load_b32 v48, v[50:51], off
	global_load_b32 v46, v[52:53], off
.LBB90_10:                              ;   in Loop: Header=BB90_4 Depth=1
	s_wait_xcnt 0x0
	s_or_b32 exec_lo, exec_lo, s3
	v_dual_mov_b32 v49, 0 :: v_dual_mov_b32 v50, 0
	s_and_saveexec_b32 s3, s2
	s_cbranch_execz .LBB90_12
; %bb.11:                               ;   in Loop: Header=BB90_4 Depth=1
	v_add_nc_u64_e32 v[50:51], s[14:15], v[40:41]
	global_load_b32 v50, v[50:51], off
.LBB90_12:                              ;   in Loop: Header=BB90_4 Depth=1
	s_wait_xcnt 0x0
	s_or_b32 exec_lo, exec_lo, s3
	v_add_nc_u64_e32 v[52:53], s[22:23], v[18:19]
	v_mov_b32_e32 v51, 0
	s_delay_alu instid0(VALU_DEP_2)
	v_cmp_lt_u64_e64 s3, v[52:53], v[4:5]
	s_and_saveexec_b32 s4, s3
	s_cbranch_execz .LBB90_14
; %bb.13:                               ;   in Loop: Header=BB90_4 Depth=1
	v_add_nc_u64_e32 v[52:53], s[14:15], v[20:21]
	v_add_nc_u64_e32 v[54:55], s[14:15], v[22:23]
	global_load_b32 v51, v[52:53], off
	global_load_b32 v49, v[54:55], off
.LBB90_14:                              ;   in Loop: Header=BB90_4 Depth=1
	s_wait_xcnt 0x0
	s_or_b32 exec_lo, exec_lo, s4
	v_dual_mov_b32 v52, 0 :: v_dual_mov_b32 v53, 0
	s_and_saveexec_b32 s4, s3
	s_cbranch_execz .LBB90_16
; %bb.15:                               ;   in Loop: Header=BB90_4 Depth=1
	v_add_nc_u64_e32 v[54:55], s[14:15], v[24:25]
	global_load_b32 v53, v[54:55], off
.LBB90_16:                              ;   in Loop: Header=BB90_4 Depth=1
	s_wait_xcnt 0x0
	s_or_b32 exec_lo, exec_lo, s4
	v_add_nc_u64_e32 v[54:55], s[22:23], v[16:17]
	s_delay_alu instid0(VALU_DEP_1)
	v_cmp_lt_u64_e64 s4, v[54:55], v[4:5]
	v_mov_b32_e32 v54, 0
	s_and_saveexec_b32 s5, s4
	s_cbranch_execnz .LBB90_22
; %bb.17:                               ;   in Loop: Header=BB90_4 Depth=1
	s_or_b32 exec_lo, exec_lo, s5
	v_mov_b32_e32 v55, 0
	s_and_saveexec_b32 s5, s4
	s_cbranch_execnz .LBB90_23
.LBB90_18:                              ;   in Loop: Header=BB90_4 Depth=1
	s_or_b32 exec_lo, exec_lo, s5
	s_and_saveexec_b32 s5, vcc_lo
	s_cbranch_execnz .LBB90_24
.LBB90_19:                              ;   in Loop: Header=BB90_4 Depth=1
	s_or_b32 exec_lo, exec_lo, s5
	s_and_saveexec_b32 s5, s2
	s_cbranch_execnz .LBB90_25
.LBB90_20:                              ;   in Loop: Header=BB90_4 Depth=1
	s_or_b32 exec_lo, exec_lo, s5
	s_and_saveexec_b32 s2, s3
	s_cbranch_execnz .LBB90_26
.LBB90_21:                              ;   in Loop: Header=BB90_4 Depth=1
	s_or_b32 exec_lo, exec_lo, s2
	s_and_saveexec_b32 s2, s4
	s_cbranch_execz .LBB90_3
	s_branch .LBB90_27
.LBB90_22:                              ;   in Loop: Header=BB90_4 Depth=1
	v_add_nc_u64_e32 v[56:57], s[14:15], v[28:29]
	v_add_nc_u64_e32 v[58:59], s[14:15], v[30:31]
	global_load_b32 v54, v[56:57], off
	global_load_b32 v52, v[58:59], off
	s_wait_xcnt 0x0
	s_or_b32 exec_lo, exec_lo, s5
	v_mov_b32_e32 v55, 0
	s_and_saveexec_b32 s5, s4
	s_cbranch_execz .LBB90_18
.LBB90_23:                              ;   in Loop: Header=BB90_4 Depth=1
	v_add_nc_u64_e32 v[56:57], s[14:15], v[32:33]
	global_load_b32 v55, v[56:57], off
	s_wait_xcnt 0x0
	s_or_b32 exec_lo, exec_lo, s5
	s_and_saveexec_b32 s5, vcc_lo
	s_cbranch_execz .LBB90_19
.LBB90_24:                              ;   in Loop: Header=BB90_4 Depth=1
	s_wait_loadcnt 0x0
	v_mul_lo_u32 v45, v45, s24
	s_delay_alu instid0(VALU_DEP_1)
	v_mad_u32 v47, v45, v47, v44
	v_add_nc_u64_e32 v[44:45], s[14:15], v[14:15]
	global_store_b32 v[44:45], v47, off
	s_wait_xcnt 0x0
	s_or_b32 exec_lo, exec_lo, s5
	s_and_saveexec_b32 s5, s2
	s_cbranch_execz .LBB90_20
.LBB90_25:                              ;   in Loop: Header=BB90_4 Depth=1
	s_wait_loadcnt 0x0
	v_mul_lo_u32 v44, v46, s24
	s_delay_alu instid0(VALU_DEP_1)
	v_mad_u32 v46, v44, v50, v48
	v_add_nc_u64_e32 v[44:45], s[14:15], v[42:43]
	global_store_b32 v[44:45], v46, off
	s_wait_xcnt 0x0
	s_or_b32 exec_lo, exec_lo, s5
	s_and_saveexec_b32 s2, s3
	s_cbranch_execz .LBB90_21
.LBB90_26:                              ;   in Loop: Header=BB90_4 Depth=1
	s_wait_loadcnt 0x0
	v_mul_lo_u32 v44, v49, s24
	s_delay_alu instid0(VALU_DEP_1)
	v_mad_u32 v46, v44, v53, v51
	v_add_nc_u64_e32 v[44:45], s[14:15], v[26:27]
	global_store_b32 v[44:45], v46, off
	s_wait_xcnt 0x0
	s_or_b32 exec_lo, exec_lo, s2
	s_and_saveexec_b32 s2, s4
	s_cbranch_execz .LBB90_3
.LBB90_27:                              ;   in Loop: Header=BB90_4 Depth=1
	s_wait_loadcnt 0x0
	v_mul_lo_u32 v44, v52, s24
	s_delay_alu instid0(VALU_DEP_1)
	v_mad_u32 v46, v44, v55, v54
	v_add_nc_u64_e32 v[44:45], s[14:15], v[34:35]
	global_store_b32 v[44:45], v46, off
	s_branch .LBB90_3
.LBB90_28:
	s_mov_b32 s2, 0
.LBB90_29:
	s_delay_alu instid0(SALU_CYCLE_1)
	s_and_not1_b32 vcc_lo, exec_lo, s2
	s_cbranch_vccnz .LBB90_33
; %bb.30:
	v_min_i64 v[2:3], 0x10000, s[16:17]
	v_dual_mov_b32 v5, 0 :: v_dual_lshlrev_b32 v4, 2, v0
	s_mov_b32 s2, exec_lo
	s_delay_alu instid0(VALU_DEP_1)
	v_cmpx_lt_i64_e64 v[4:5], v[2:3]
	s_cbranch_execz .LBB90_33
; %bb.31:
	s_load_b32 s0, s[0:1], 0xc84
	v_dual_mov_b32 v1, v5 :: v_dual_lshlrev_b32 v4, 4, v0
	s_wait_xcnt 0x0
	s_mov_b32 s1, 0
	s_wait_kmcnt 0x0
	s_mov_b32 s16, s24
	s_add_nc_u64 s[2:3], s[12:13], 8
	v_add_nc_u64_e32 v[4:5], s[14:15], v[4:5]
	s_add_nc_u64 s[4:5], s[10:11], 8
	s_mov_b32 s11, s1
	s_mov_b32 s12, s1
	s_and_b32 s0, s0, 0xffff
	s_delay_alu instid0(SALU_CYCLE_1)
	s_lshl_b32 s10, s0, 4
.LBB90_32:                              ; =>This Inner Loop Header: Depth=1
	s_delay_alu instid0(VALU_DEP_1)
	v_add_nc_u64_e32 v[6:7], s[4:5], v[4:5]
	v_add_nc_u64_e32 v[18:19], s[2:3], v[4:5]
	v_add_nc_u64_e32 v[20:21], s[6:7], v[4:5]
	v_add_nc_u64_e32 v[0:1], s[0:1], v[0:1]
	global_load_b128 v[6:9], v[6:7], off offset:-8
	global_load_b128 v[10:13], v[18:19], off offset:-8
	global_load_b128 v[14:17], v[20:21], off
	s_wait_xcnt 0x1
	v_lshlrev_b64_e32 v[18:19], 2, v[0:1]
	s_delay_alu instid0(VALU_DEP_1)
	v_cmp_ge_i64_e32 vcc_lo, v[18:19], v[2:3]
	s_or_b32 s12, vcc_lo, s12
	s_wait_loadcnt 0x2
	v_mul_lo_u32 v7, v7, s16
	v_mul_lo_u32 v6, v6, s24
	;; [unrolled: 1-line block ×4, first 2 shown]
	s_wait_loadcnt 0x0
	s_delay_alu instid0(VALU_DEP_4) | instskip(NEXT) | instid1(VALU_DEP_4)
	v_mad_u32 v7, v7, v15, v11
	v_mad_u32 v6, v6, v14, v10
	s_delay_alu instid0(VALU_DEP_4) | instskip(NEXT) | instid1(VALU_DEP_4)
	v_mad_u32 v9, v9, v17, v13
	v_mad_u32 v8, v8, v16, v12
	v_add_nc_u64_e32 v[10:11], s[8:9], v[4:5]
	v_add_nc_u64_e32 v[4:5], s[10:11], v[4:5]
	global_store_b128 v[10:11], v[6:9], off
	s_wait_xcnt 0x0
	s_and_not1_b32 exec_lo, exec_lo, s12
	s_cbranch_execnz .LBB90_32
.LBB90_33:
	s_endpgm
	.section	.rodata,"a",@progbits
	.p2align	6, 0x0
	.amdhsa_kernel _ZN2at6native12_GLOBAL__N_125multi_tensor_apply_kernelINS1_28TensorListScalarListMetadataIiLi4EEENS1_28PointwiseOpScalarListFunctorIiLi4ELi3ELi3EEEJSt10multipliesIiEEEEvT_T0_DpT1_
		.amdhsa_group_segment_fixed_size 0
		.amdhsa_private_segment_fixed_size 0
		.amdhsa_kernarg_size 3448
		.amdhsa_user_sgpr_count 2
		.amdhsa_user_sgpr_dispatch_ptr 0
		.amdhsa_user_sgpr_queue_ptr 0
		.amdhsa_user_sgpr_kernarg_segment_ptr 1
		.amdhsa_user_sgpr_dispatch_id 0
		.amdhsa_user_sgpr_kernarg_preload_length 0
		.amdhsa_user_sgpr_kernarg_preload_offset 0
		.amdhsa_user_sgpr_private_segment_size 0
		.amdhsa_wavefront_size32 1
		.amdhsa_uses_dynamic_stack 0
		.amdhsa_enable_private_segment 0
		.amdhsa_system_sgpr_workgroup_id_x 1
		.amdhsa_system_sgpr_workgroup_id_y 0
		.amdhsa_system_sgpr_workgroup_id_z 0
		.amdhsa_system_sgpr_workgroup_info 0
		.amdhsa_system_vgpr_workitem_id 0
		.amdhsa_next_free_vgpr 60
		.amdhsa_next_free_sgpr 27
		.amdhsa_named_barrier_count 0
		.amdhsa_reserve_vcc 1
		.amdhsa_float_round_mode_32 0
		.amdhsa_float_round_mode_16_64 0
		.amdhsa_float_denorm_mode_32 3
		.amdhsa_float_denorm_mode_16_64 3
		.amdhsa_fp16_overflow 0
		.amdhsa_memory_ordered 1
		.amdhsa_forward_progress 1
		.amdhsa_inst_pref_size 13
		.amdhsa_round_robin_scheduling 0
		.amdhsa_exception_fp_ieee_invalid_op 0
		.amdhsa_exception_fp_denorm_src 0
		.amdhsa_exception_fp_ieee_div_zero 0
		.amdhsa_exception_fp_ieee_overflow 0
		.amdhsa_exception_fp_ieee_underflow 0
		.amdhsa_exception_fp_ieee_inexact 0
		.amdhsa_exception_int_div_zero 0
	.end_amdhsa_kernel
	.section	.text._ZN2at6native12_GLOBAL__N_125multi_tensor_apply_kernelINS1_28TensorListScalarListMetadataIiLi4EEENS1_28PointwiseOpScalarListFunctorIiLi4ELi3ELi3EEEJSt10multipliesIiEEEEvT_T0_DpT1_,"axG",@progbits,_ZN2at6native12_GLOBAL__N_125multi_tensor_apply_kernelINS1_28TensorListScalarListMetadataIiLi4EEENS1_28PointwiseOpScalarListFunctorIiLi4ELi3ELi3EEEJSt10multipliesIiEEEEvT_T0_DpT1_,comdat
.Lfunc_end90:
	.size	_ZN2at6native12_GLOBAL__N_125multi_tensor_apply_kernelINS1_28TensorListScalarListMetadataIiLi4EEENS1_28PointwiseOpScalarListFunctorIiLi4ELi3ELi3EEEJSt10multipliesIiEEEEvT_T0_DpT1_, .Lfunc_end90-_ZN2at6native12_GLOBAL__N_125multi_tensor_apply_kernelINS1_28TensorListScalarListMetadataIiLi4EEENS1_28PointwiseOpScalarListFunctorIiLi4ELi3ELi3EEEJSt10multipliesIiEEEEvT_T0_DpT1_
                                        ; -- End function
	.set _ZN2at6native12_GLOBAL__N_125multi_tensor_apply_kernelINS1_28TensorListScalarListMetadataIiLi4EEENS1_28PointwiseOpScalarListFunctorIiLi4ELi3ELi3EEEJSt10multipliesIiEEEEvT_T0_DpT1_.num_vgpr, 60
	.set _ZN2at6native12_GLOBAL__N_125multi_tensor_apply_kernelINS1_28TensorListScalarListMetadataIiLi4EEENS1_28PointwiseOpScalarListFunctorIiLi4ELi3ELi3EEEJSt10multipliesIiEEEEvT_T0_DpT1_.num_agpr, 0
	.set _ZN2at6native12_GLOBAL__N_125multi_tensor_apply_kernelINS1_28TensorListScalarListMetadataIiLi4EEENS1_28PointwiseOpScalarListFunctorIiLi4ELi3ELi3EEEJSt10multipliesIiEEEEvT_T0_DpT1_.numbered_sgpr, 27
	.set _ZN2at6native12_GLOBAL__N_125multi_tensor_apply_kernelINS1_28TensorListScalarListMetadataIiLi4EEENS1_28PointwiseOpScalarListFunctorIiLi4ELi3ELi3EEEJSt10multipliesIiEEEEvT_T0_DpT1_.num_named_barrier, 0
	.set _ZN2at6native12_GLOBAL__N_125multi_tensor_apply_kernelINS1_28TensorListScalarListMetadataIiLi4EEENS1_28PointwiseOpScalarListFunctorIiLi4ELi3ELi3EEEJSt10multipliesIiEEEEvT_T0_DpT1_.private_seg_size, 0
	.set _ZN2at6native12_GLOBAL__N_125multi_tensor_apply_kernelINS1_28TensorListScalarListMetadataIiLi4EEENS1_28PointwiseOpScalarListFunctorIiLi4ELi3ELi3EEEJSt10multipliesIiEEEEvT_T0_DpT1_.uses_vcc, 1
	.set _ZN2at6native12_GLOBAL__N_125multi_tensor_apply_kernelINS1_28TensorListScalarListMetadataIiLi4EEENS1_28PointwiseOpScalarListFunctorIiLi4ELi3ELi3EEEJSt10multipliesIiEEEEvT_T0_DpT1_.uses_flat_scratch, 0
	.set _ZN2at6native12_GLOBAL__N_125multi_tensor_apply_kernelINS1_28TensorListScalarListMetadataIiLi4EEENS1_28PointwiseOpScalarListFunctorIiLi4ELi3ELi3EEEJSt10multipliesIiEEEEvT_T0_DpT1_.has_dyn_sized_stack, 0
	.set _ZN2at6native12_GLOBAL__N_125multi_tensor_apply_kernelINS1_28TensorListScalarListMetadataIiLi4EEENS1_28PointwiseOpScalarListFunctorIiLi4ELi3ELi3EEEJSt10multipliesIiEEEEvT_T0_DpT1_.has_recursion, 0
	.set _ZN2at6native12_GLOBAL__N_125multi_tensor_apply_kernelINS1_28TensorListScalarListMetadataIiLi4EEENS1_28PointwiseOpScalarListFunctorIiLi4ELi3ELi3EEEJSt10multipliesIiEEEEvT_T0_DpT1_.has_indirect_call, 0
	.section	.AMDGPU.csdata,"",@progbits
; Kernel info:
; codeLenInByte = 1612
; TotalNumSgprs: 29
; NumVgprs: 60
; ScratchSize: 0
; MemoryBound: 0
; FloatMode: 240
; IeeeMode: 1
; LDSByteSize: 0 bytes/workgroup (compile time only)
; SGPRBlocks: 0
; VGPRBlocks: 3
; NumSGPRsForWavesPerEU: 29
; NumVGPRsForWavesPerEU: 60
; NamedBarCnt: 0
; Occupancy: 16
; WaveLimiterHint : 0
; COMPUTE_PGM_RSRC2:SCRATCH_EN: 0
; COMPUTE_PGM_RSRC2:USER_SGPR: 2
; COMPUTE_PGM_RSRC2:TRAP_HANDLER: 0
; COMPUTE_PGM_RSRC2:TGID_X_EN: 1
; COMPUTE_PGM_RSRC2:TGID_Y_EN: 0
; COMPUTE_PGM_RSRC2:TGID_Z_EN: 0
; COMPUTE_PGM_RSRC2:TIDIG_COMP_CNT: 0
	.section	.text._ZN2at6native12_GLOBAL__N_125multi_tensor_apply_kernelINS1_28TensorListScalarListMetadataIlLi4EEENS1_28PointwiseOpScalarListFunctorIlLi4ELi3ELi3EEEJSt10multipliesIlEEEEvT_T0_DpT1_,"axG",@progbits,_ZN2at6native12_GLOBAL__N_125multi_tensor_apply_kernelINS1_28TensorListScalarListMetadataIlLi4EEENS1_28PointwiseOpScalarListFunctorIlLi4ELi3ELi3EEEJSt10multipliesIlEEEEvT_T0_DpT1_,comdat
	.globl	_ZN2at6native12_GLOBAL__N_125multi_tensor_apply_kernelINS1_28TensorListScalarListMetadataIlLi4EEENS1_28PointwiseOpScalarListFunctorIlLi4ELi3ELi3EEEJSt10multipliesIlEEEEvT_T0_DpT1_ ; -- Begin function _ZN2at6native12_GLOBAL__N_125multi_tensor_apply_kernelINS1_28TensorListScalarListMetadataIlLi4EEENS1_28PointwiseOpScalarListFunctorIlLi4ELi3ELi3EEEJSt10multipliesIlEEEEvT_T0_DpT1_
	.p2align	8
	.type	_ZN2at6native12_GLOBAL__N_125multi_tensor_apply_kernelINS1_28TensorListScalarListMetadataIlLi4EEENS1_28PointwiseOpScalarListFunctorIlLi4ELi3ELi3EEEJSt10multipliesIlEEEEvT_T0_DpT1_,@function
_ZN2at6native12_GLOBAL__N_125multi_tensor_apply_kernelINS1_28TensorListScalarListMetadataIlLi4EEENS1_28PointwiseOpScalarListFunctorIlLi4ELi3ELi3EEEJSt10multipliesIlEEEEvT_T0_DpT1_: ; @_ZN2at6native12_GLOBAL__N_125multi_tensor_apply_kernelINS1_28TensorListScalarListMetadataIlLi4EEENS1_28PointwiseOpScalarListFunctorIlLi4ELi3ELi3EEEJSt10multipliesIlEEEEvT_T0_DpT1_
; %bb.0:
	s_bfe_u32 s2, ttmp6, 0x4000c
	s_and_b32 s3, ttmp6, 15
	s_add_co_i32 s2, s2, 1
	s_getreg_b32 s4, hwreg(HW_REG_IB_STS2, 6, 4)
	s_mul_i32 s2, ttmp9, s2
	s_mov_b32 s19, 0
	s_add_co_i32 s3, s3, s2
	s_cmp_eq_u32 s4, 0
	s_cselect_b32 s18, ttmp9, s3
	s_load_u8 s10, s[0:1], s18 offset:0x6c0
	s_add_nc_u64 s[2:3], s[0:1], s[18:19]
	s_mul_u64 s[4:5], s[18:19], 3
	s_delay_alu instid0(SALU_CYCLE_1)
	s_add_nc_u64 s[8:9], s[2:3], s[4:5]
	s_load_b32 s24, s[8:9], 0x800
	s_wait_kmcnt 0x0
	s_clause 0x5
	s_load_b64 s[2:3], s[0:1], s10 offset:0x0 scale_offset
	s_load_b64 s[4:5], s[0:1], s10 offset:0x120 scale_offset
	;; [unrolled: 1-line block ×6, first 2 shown]
	s_ashr_i32 s25, s24, 31
	s_delay_alu instid0(SALU_CYCLE_1)
	s_lshl_b64 s[16:17], s[24:25], 19
	s_wait_kmcnt 0x0
	s_add_nc_u64 s[10:11], s[4:5], s[16:17]
	s_add_nc_u64 s[8:9], s[2:3], s[16:17]
	s_and_b32 s18, s10, 31
	s_and_b64 s[28:29], s[8:9], 31
	s_add_nc_u64 s[12:13], s[20:21], s[16:17]
	s_cmp_eq_u64 s[18:19], 0
	s_add_nc_u64 s[14:15], s[22:23], s[16:17]
	s_cselect_b32 s30, -1, 0
	s_or_b32 s18, s14, s12
	s_delay_alu instid0(SALU_CYCLE_1) | instskip(NEXT) | instid1(SALU_CYCLE_1)
	s_and_b32 s18, s18, 31
	s_cmp_eq_u32 s18, 0
	s_cselect_b32 s31, -1, 0
	s_and_b32 s18, s26, 3
	s_and_b32 s30, s31, s30
	s_or_b64 s[18:19], s[28:29], s[18:19]
	s_lshl_b64 s[24:25], s[24:25], 16
	s_cmp_eq_u64 s[18:19], 0
	s_cselect_b32 s18, -1, 0
	s_delay_alu instid0(SALU_CYCLE_1)
	s_and_b32 s28, s30, s18
	s_sub_nc_u64 s[18:19], s[26:27], s[24:25]
	s_and_b32 vcc_lo, exec_lo, s28
	s_mov_b32 s24, -1
	s_cbranch_vccnz .LBB91_29
; %bb.1:
	v_cmp_lt_i64_e64 s24, s[18:19], 1
	s_and_b32 vcc_lo, exec_lo, s24
	s_cbranch_vccnz .LBB91_28
; %bb.2:
	s_load_b32 s24, s[0:1], 0xd14
	v_min_i64 v[2:3], 0x10000, s[18:19]
	v_min_u64 v[4:5], 0x10000, s[18:19]
	v_dual_mov_b32 v1, 0 :: v_dual_lshlrev_b32 v14, 3, v0
	s_mov_b32 s25, 0
	s_delay_alu instid0(SALU_CYCLE_1) | instskip(NEXT) | instid1(VALU_DEP_1)
	s_mov_b32 s31, s25
	v_dual_mov_b32 v15, v1 :: v_dual_mov_b32 v43, v1
	s_mov_b32 s27, s25
	s_mov_b32 s29, s25
	s_delay_alu instid0(VALU_DEP_1) | instskip(SKIP_4) | instid1(SALU_CYCLE_1)
	v_add_nc_u64_e32 v[6:7], s[2:3], v[14:15]
	v_add_nc_u64_e32 v[8:9], s[4:5], v[14:15]
	;; [unrolled: 1-line block ×3, first 2 shown]
	s_wait_kmcnt 0x0
	s_and_b32 s24, s24, 0xffff
	v_add_nc_u64_e32 v[12:13], s[24:25], v[0:1]
	v_mad_nc_u64_u32 v[34:35], s24, 24, v[14:15]
	s_lshl_b32 s30, s24, 4
	s_mul_i32 s28, s24, 3
	v_add_nc_u64_e32 v[26:27], s[30:31], v[14:15]
	s_lshl_b32 s26, s24, 1
	v_add_nc_u64_e32 v[14:15], s[22:23], v[14:15]
	v_lshlrev_b32_e32 v42, 3, v12
	v_add_nc_u64_e32 v[16:17], s[28:29], v[0:1]
	v_add_nc_u64_e32 v[18:19], s[26:27], v[0:1]
	;; [unrolled: 1-line block ×14, first 2 shown]
	s_lshl_b32 s20, s24, 2
	s_mov_b32 s21, s25
	s_lshl_b32 s22, s24, 5
	s_mov_b32 s23, s25
	s_mov_b64 s[24:25], 0
	s_branch .LBB91_4
.LBB91_3:                               ;   in Loop: Header=BB91_4 Depth=1
	s_wait_xcnt 0x0
	s_or_b32 exec_lo, exec_lo, s2
	s_add_nc_u64 s[24:25], s[24:25], s[20:21]
	v_add_nc_u64_e32 v[6:7], s[22:23], v[6:7]
	v_cmp_lt_i64_e32 vcc_lo, s[24:25], v[2:3]
	v_add_nc_u64_e32 v[8:9], s[22:23], v[8:9]
	v_add_nc_u64_e32 v[10:11], s[22:23], v[10:11]
	v_add_nc_u64_e32 v[14:15], s[22:23], v[14:15]
	v_add_nc_u64_e32 v[28:29], s[22:23], v[28:29]
	v_add_nc_u64_e32 v[30:31], s[22:23], v[30:31]
	v_add_nc_u64_e32 v[32:33], s[22:23], v[32:33]
	v_add_nc_u64_e32 v[34:35], s[22:23], v[34:35]
	v_add_nc_u64_e32 v[20:21], s[22:23], v[20:21]
	v_add_nc_u64_e32 v[22:23], s[22:23], v[22:23]
	v_add_nc_u64_e32 v[24:25], s[22:23], v[24:25]
	v_add_nc_u64_e32 v[26:27], s[22:23], v[26:27]
	v_add_nc_u64_e32 v[36:37], s[22:23], v[36:37]
	v_add_nc_u64_e32 v[38:39], s[22:23], v[38:39]
	v_add_nc_u64_e32 v[40:41], s[22:23], v[40:41]
	v_add_nc_u64_e32 v[42:43], s[22:23], v[42:43]
	s_cbranch_vccz .LBB91_28
.LBB91_4:                               ; =>This Inner Loop Header: Depth=1
	s_wait_loadcnt 0x1
	v_add_nc_u64_e32 v[48:49], s[24:25], v[0:1]
	s_wait_loadcnt 0x0
	v_mov_b64_e32 v[44:45], 0
	v_mov_b64_e32 v[46:47], 0
	s_delay_alu instid0(VALU_DEP_3)
	v_cmp_lt_u64_e32 vcc_lo, v[48:49], v[4:5]
	v_mov_b64_e32 v[48:49], 0
	s_and_saveexec_b32 s2, vcc_lo
	s_cbranch_execz .LBB91_6
; %bb.5:                                ;   in Loop: Header=BB91_4 Depth=1
	v_add_nc_u64_e32 v[50:51], s[16:17], v[6:7]
	v_add_nc_u64_e32 v[52:53], s[16:17], v[8:9]
	global_load_b64 v[48:49], v[50:51], off
	global_load_b64 v[46:47], v[52:53], off
.LBB91_6:                               ;   in Loop: Header=BB91_4 Depth=1
	s_wait_xcnt 0x0
	s_or_b32 exec_lo, exec_lo, s2
	s_and_saveexec_b32 s2, vcc_lo
	s_cbranch_execz .LBB91_8
; %bb.7:                                ;   in Loop: Header=BB91_4 Depth=1
	v_add_nc_u64_e32 v[44:45], s[16:17], v[10:11]
	global_load_b64 v[44:45], v[44:45], off
.LBB91_8:                               ;   in Loop: Header=BB91_4 Depth=1
	s_wait_xcnt 0x0
	s_or_b32 exec_lo, exec_lo, s2
	v_add_nc_u64_e32 v[54:55], s[24:25], v[12:13]
	v_mov_b64_e32 v[50:51], 0
	v_mov_b64_e32 v[52:53], 0
	s_delay_alu instid0(VALU_DEP_3)
	v_cmp_lt_u64_e64 s2, v[54:55], v[4:5]
	v_mov_b64_e32 v[54:55], 0
	s_and_saveexec_b32 s3, s2
	s_cbranch_execz .LBB91_10
; %bb.9:                                ;   in Loop: Header=BB91_4 Depth=1
	v_add_nc_u64_e32 v[56:57], s[16:17], v[36:37]
	v_add_nc_u64_e32 v[58:59], s[16:17], v[38:39]
	global_load_b64 v[54:55], v[56:57], off
	global_load_b64 v[52:53], v[58:59], off
.LBB91_10:                              ;   in Loop: Header=BB91_4 Depth=1
	s_wait_xcnt 0x0
	s_or_b32 exec_lo, exec_lo, s3
	s_and_saveexec_b32 s3, s2
	s_cbranch_execz .LBB91_12
; %bb.11:                               ;   in Loop: Header=BB91_4 Depth=1
	v_add_nc_u64_e32 v[50:51], s[16:17], v[40:41]
	global_load_b64 v[50:51], v[50:51], off
.LBB91_12:                              ;   in Loop: Header=BB91_4 Depth=1
	s_wait_xcnt 0x0
	s_or_b32 exec_lo, exec_lo, s3
	v_add_nc_u64_e32 v[60:61], s[24:25], v[18:19]
	v_mov_b64_e32 v[56:57], 0
	v_mov_b64_e32 v[58:59], 0
	s_delay_alu instid0(VALU_DEP_3)
	v_cmp_lt_u64_e64 s3, v[60:61], v[4:5]
	v_mov_b64_e32 v[60:61], 0
	s_and_saveexec_b32 s4, s3
	s_cbranch_execz .LBB91_14
; %bb.13:                               ;   in Loop: Header=BB91_4 Depth=1
	v_add_nc_u64_e32 v[62:63], s[16:17], v[20:21]
	v_add_nc_u64_e32 v[64:65], s[16:17], v[22:23]
	global_load_b64 v[60:61], v[62:63], off
	global_load_b64 v[58:59], v[64:65], off
.LBB91_14:                              ;   in Loop: Header=BB91_4 Depth=1
	s_wait_xcnt 0x0
	s_or_b32 exec_lo, exec_lo, s4
	s_and_saveexec_b32 s4, s3
	s_cbranch_execz .LBB91_16
; %bb.15:                               ;   in Loop: Header=BB91_4 Depth=1
	v_add_nc_u64_e32 v[56:57], s[16:17], v[24:25]
	global_load_b64 v[56:57], v[56:57], off
.LBB91_16:                              ;   in Loop: Header=BB91_4 Depth=1
	s_wait_xcnt 0x0
	s_or_b32 exec_lo, exec_lo, s4
	v_add_nc_u64_e32 v[66:67], s[24:25], v[16:17]
	v_mov_b64_e32 v[62:63], 0
	v_mov_b64_e32 v[64:65], 0
	s_delay_alu instid0(VALU_DEP_3)
	v_cmp_lt_u64_e64 s4, v[66:67], v[4:5]
	v_mov_b64_e32 v[66:67], 0
	s_and_saveexec_b32 s5, s4
	s_cbranch_execnz .LBB91_22
; %bb.17:                               ;   in Loop: Header=BB91_4 Depth=1
	s_or_b32 exec_lo, exec_lo, s5
	s_and_saveexec_b32 s5, s4
	s_cbranch_execnz .LBB91_23
.LBB91_18:                              ;   in Loop: Header=BB91_4 Depth=1
	s_or_b32 exec_lo, exec_lo, s5
	s_and_saveexec_b32 s5, vcc_lo
	s_cbranch_execnz .LBB91_24
.LBB91_19:                              ;   in Loop: Header=BB91_4 Depth=1
	s_or_b32 exec_lo, exec_lo, s5
	s_and_saveexec_b32 s5, s2
	s_cbranch_execnz .LBB91_25
.LBB91_20:                              ;   in Loop: Header=BB91_4 Depth=1
	s_or_b32 exec_lo, exec_lo, s5
	s_and_saveexec_b32 s2, s3
	s_cbranch_execnz .LBB91_26
.LBB91_21:                              ;   in Loop: Header=BB91_4 Depth=1
	s_or_b32 exec_lo, exec_lo, s2
	s_and_saveexec_b32 s2, s4
	s_cbranch_execz .LBB91_3
	s_branch .LBB91_27
.LBB91_22:                              ;   in Loop: Header=BB91_4 Depth=1
	v_add_nc_u64_e32 v[68:69], s[16:17], v[28:29]
	v_add_nc_u64_e32 v[70:71], s[16:17], v[30:31]
	global_load_b64 v[66:67], v[68:69], off
	global_load_b64 v[64:65], v[70:71], off
	s_wait_xcnt 0x0
	s_or_b32 exec_lo, exec_lo, s5
	s_and_saveexec_b32 s5, s4
	s_cbranch_execz .LBB91_18
.LBB91_23:                              ;   in Loop: Header=BB91_4 Depth=1
	v_add_nc_u64_e32 v[62:63], s[16:17], v[32:33]
	global_load_b64 v[62:63], v[62:63], off
	s_wait_xcnt 0x0
	s_or_b32 exec_lo, exec_lo, s5
	s_and_saveexec_b32 s5, vcc_lo
	s_cbranch_execz .LBB91_19
.LBB91_24:                              ;   in Loop: Header=BB91_4 Depth=1
	s_wait_loadcnt 0x0
	v_mul_u64_e32 v[46:47], s[6:7], v[46:47]
	s_delay_alu instid0(VALU_DEP_1) | instskip(NEXT) | instid1(VALU_DEP_1)
	v_mad_nc_u64_u32 v[48:49], v46, v44, v[48:49]
	v_mad_u32 v44, v47, v44, v49
	s_delay_alu instid0(VALU_DEP_1)
	v_mad_u32 v49, v46, v45, v44
	v_add_nc_u64_e32 v[44:45], s[16:17], v[14:15]
	global_store_b64 v[44:45], v[48:49], off
	s_wait_xcnt 0x0
	s_or_b32 exec_lo, exec_lo, s5
	s_and_saveexec_b32 s5, s2
	s_cbranch_execz .LBB91_20
.LBB91_25:                              ;   in Loop: Header=BB91_4 Depth=1
	s_wait_loadcnt 0x0
	v_mul_u64_e32 v[44:45], s[6:7], v[52:53]
	s_delay_alu instid0(VALU_DEP_1) | instskip(NEXT) | instid1(VALU_DEP_1)
	v_mad_nc_u64_u32 v[46:47], v44, v50, v[54:55]
	v_mad_u32 v45, v45, v50, v47
	s_delay_alu instid0(VALU_DEP_1)
	v_mad_u32 v47, v44, v51, v45
	v_add_nc_u64_e32 v[44:45], s[16:17], v[42:43]
	global_store_b64 v[44:45], v[46:47], off
	s_wait_xcnt 0x0
	s_or_b32 exec_lo, exec_lo, s5
	s_and_saveexec_b32 s2, s3
	s_cbranch_execz .LBB91_21
.LBB91_26:                              ;   in Loop: Header=BB91_4 Depth=1
	s_wait_loadcnt 0x0
	v_mul_u64_e32 v[44:45], s[6:7], v[58:59]
	s_delay_alu instid0(VALU_DEP_1) | instskip(NEXT) | instid1(VALU_DEP_1)
	v_mad_nc_u64_u32 v[46:47], v44, v56, v[60:61]
	v_mad_u32 v45, v45, v56, v47
	s_delay_alu instid0(VALU_DEP_1)
	v_mad_u32 v47, v44, v57, v45
	v_add_nc_u64_e32 v[44:45], s[16:17], v[26:27]
	global_store_b64 v[44:45], v[46:47], off
	s_wait_xcnt 0x0
	s_or_b32 exec_lo, exec_lo, s2
	s_and_saveexec_b32 s2, s4
	s_cbranch_execz .LBB91_3
.LBB91_27:                              ;   in Loop: Header=BB91_4 Depth=1
	s_wait_loadcnt 0x0
	v_mul_u64_e32 v[44:45], s[6:7], v[64:65]
	s_delay_alu instid0(VALU_DEP_1) | instskip(NEXT) | instid1(VALU_DEP_1)
	v_mad_nc_u64_u32 v[46:47], v44, v62, v[66:67]
	v_mad_u32 v45, v45, v62, v47
	s_delay_alu instid0(VALU_DEP_1)
	v_mad_u32 v47, v44, v63, v45
	v_add_nc_u64_e32 v[44:45], s[16:17], v[34:35]
	global_store_b64 v[44:45], v[46:47], off
	s_branch .LBB91_3
.LBB91_28:
	s_mov_b32 s24, 0
.LBB91_29:
	s_delay_alu instid0(SALU_CYCLE_1)
	s_and_not1_b32 vcc_lo, exec_lo, s24
	s_cbranch_vccnz .LBB91_33
; %bb.30:
	v_min_i64 v[2:3], 0x10000, s[18:19]
	v_dual_mov_b32 v5, 0 :: v_dual_lshlrev_b32 v4, 2, v0
	s_mov_b32 s2, exec_lo
	s_delay_alu instid0(VALU_DEP_1)
	v_cmpx_lt_i64_e64 v[4:5], v[2:3]
	s_cbranch_execz .LBB91_33
; %bb.31:
	s_load_b32 s0, s[0:1], 0xd14
	v_dual_mov_b32 v1, v5 :: v_dual_lshlrev_b32 v4, 5, v0
	s_wait_xcnt 0x0
	s_mov_b32 s1, 0
	s_delay_alu instid0(SALU_CYCLE_1) | instskip(SKIP_3) | instid1(SALU_CYCLE_1)
	s_mov_b32 s3, s1
	s_mov_b32 s4, s1
	s_wait_kmcnt 0x0
	s_and_b32 s0, s0, 0xffff
	s_lshl_b32 s2, s0, 5
.LBB91_32:                              ; =>This Inner Loop Header: Depth=1
	v_add_nc_u64_e32 v[14:15], s[10:11], v[4:5]
	v_add_nc_u64_e32 v[30:31], s[12:13], v[4:5]
	;; [unrolled: 1-line block ×4, first 2 shown]
	s_add_nc_u64 s[8:9], s[8:9], s[2:3]
	s_add_nc_u64 s[12:13], s[12:13], s[2:3]
	;; [unrolled: 1-line block ×3, first 2 shown]
	s_clause 0x1
	global_load_b128 v[6:9], v[14:15], off
	global_load_b128 v[10:13], v[14:15], off offset:16
	global_load_b128 v[14:17], v[30:31], off
	s_clause 0x1
	global_load_b128 v[18:21], v[32:33], off
	global_load_b128 v[22:25], v[32:33], off offset:16
	global_load_b128 v[26:29], v[30:31], off offset:16
	s_wait_loadcnt 0x5
	s_wait_xcnt 0x0
	v_mul_u64_e32 v[30:31], s[6:7], v[6:7]
	v_mul_u64_e32 v[32:33], s[6:7], v[8:9]
	s_wait_loadcnt 0x4
	v_mul_u64_e32 v[34:35], s[6:7], v[10:11]
	v_mul_u64_e32 v[36:37], s[6:7], v[12:13]
	s_wait_loadcnt 0x2
	s_delay_alu instid0(VALU_DEP_4) | instskip(NEXT) | instid1(VALU_DEP_4)
	v_mad_nc_u64_u32 v[6:7], v30, v14, v[18:19]
	v_mad_nc_u64_u32 v[8:9], v32, v16, v[20:21]
	s_wait_loadcnt 0x0
	s_delay_alu instid0(VALU_DEP_4) | instskip(NEXT) | instid1(VALU_DEP_4)
	v_mad_nc_u64_u32 v[10:11], v34, v26, v[22:23]
	v_mad_nc_u64_u32 v[12:13], v36, v28, v[24:25]
	v_lshlrev_b64_e32 v[18:19], 2, v[0:1]
	s_delay_alu instid0(VALU_DEP_1)
	v_cmp_ge_i64_e32 vcc_lo, v[18:19], v[2:3]
	v_mad_u32 v7, v31, v14, v7
	v_mad_u32 v9, v33, v16, v9
	;; [unrolled: 1-line block ×4, first 2 shown]
	s_or_b32 s4, vcc_lo, s4
	s_delay_alu instid0(VALU_DEP_4) | instskip(NEXT) | instid1(VALU_DEP_4)
	v_mad_u32 v7, v30, v15, v7
	v_mad_u32 v9, v32, v17, v9
	s_delay_alu instid0(VALU_DEP_4) | instskip(NEXT) | instid1(VALU_DEP_4)
	v_mad_u32 v11, v34, v27, v11
	v_mad_u32 v13, v36, v29, v13
	v_add_nc_u64_e32 v[14:15], s[14:15], v[4:5]
	s_add_nc_u64 s[14:15], s[14:15], s[2:3]
	s_clause 0x1
	global_store_b128 v[14:15], v[6:9], off
	global_store_b128 v[14:15], v[10:13], off offset:16
	s_wait_xcnt 0x0
	s_and_not1_b32 exec_lo, exec_lo, s4
	s_cbranch_execnz .LBB91_32
.LBB91_33:
	s_sendmsg sendmsg(MSG_DEALLOC_VGPRS)
	s_endpgm
	.section	.rodata,"a",@progbits
	.p2align	6, 0x0
	.amdhsa_kernel _ZN2at6native12_GLOBAL__N_125multi_tensor_apply_kernelINS1_28TensorListScalarListMetadataIlLi4EEENS1_28PointwiseOpScalarListFunctorIlLi4ELi3ELi3EEEJSt10multipliesIlEEEEvT_T0_DpT1_
		.amdhsa_group_segment_fixed_size 0
		.amdhsa_private_segment_fixed_size 0
		.amdhsa_kernarg_size 3592
		.amdhsa_user_sgpr_count 2
		.amdhsa_user_sgpr_dispatch_ptr 0
		.amdhsa_user_sgpr_queue_ptr 0
		.amdhsa_user_sgpr_kernarg_segment_ptr 1
		.amdhsa_user_sgpr_dispatch_id 0
		.amdhsa_user_sgpr_kernarg_preload_length 0
		.amdhsa_user_sgpr_kernarg_preload_offset 0
		.amdhsa_user_sgpr_private_segment_size 0
		.amdhsa_wavefront_size32 1
		.amdhsa_uses_dynamic_stack 0
		.amdhsa_enable_private_segment 0
		.amdhsa_system_sgpr_workgroup_id_x 1
		.amdhsa_system_sgpr_workgroup_id_y 0
		.amdhsa_system_sgpr_workgroup_id_z 0
		.amdhsa_system_sgpr_workgroup_info 0
		.amdhsa_system_vgpr_workitem_id 0
		.amdhsa_next_free_vgpr 72
		.amdhsa_next_free_sgpr 32
		.amdhsa_named_barrier_count 0
		.amdhsa_reserve_vcc 1
		.amdhsa_float_round_mode_32 0
		.amdhsa_float_round_mode_16_64 0
		.amdhsa_float_denorm_mode_32 3
		.amdhsa_float_denorm_mode_16_64 3
		.amdhsa_fp16_overflow 0
		.amdhsa_memory_ordered 1
		.amdhsa_forward_progress 1
		.amdhsa_inst_pref_size 14
		.amdhsa_round_robin_scheduling 0
		.amdhsa_exception_fp_ieee_invalid_op 0
		.amdhsa_exception_fp_denorm_src 0
		.amdhsa_exception_fp_ieee_div_zero 0
		.amdhsa_exception_fp_ieee_overflow 0
		.amdhsa_exception_fp_ieee_underflow 0
		.amdhsa_exception_fp_ieee_inexact 0
		.amdhsa_exception_int_div_zero 0
	.end_amdhsa_kernel
	.section	.text._ZN2at6native12_GLOBAL__N_125multi_tensor_apply_kernelINS1_28TensorListScalarListMetadataIlLi4EEENS1_28PointwiseOpScalarListFunctorIlLi4ELi3ELi3EEEJSt10multipliesIlEEEEvT_T0_DpT1_,"axG",@progbits,_ZN2at6native12_GLOBAL__N_125multi_tensor_apply_kernelINS1_28TensorListScalarListMetadataIlLi4EEENS1_28PointwiseOpScalarListFunctorIlLi4ELi3ELi3EEEJSt10multipliesIlEEEEvT_T0_DpT1_,comdat
.Lfunc_end91:
	.size	_ZN2at6native12_GLOBAL__N_125multi_tensor_apply_kernelINS1_28TensorListScalarListMetadataIlLi4EEENS1_28PointwiseOpScalarListFunctorIlLi4ELi3ELi3EEEJSt10multipliesIlEEEEvT_T0_DpT1_, .Lfunc_end91-_ZN2at6native12_GLOBAL__N_125multi_tensor_apply_kernelINS1_28TensorListScalarListMetadataIlLi4EEENS1_28PointwiseOpScalarListFunctorIlLi4ELi3ELi3EEEJSt10multipliesIlEEEEvT_T0_DpT1_
                                        ; -- End function
	.set _ZN2at6native12_GLOBAL__N_125multi_tensor_apply_kernelINS1_28TensorListScalarListMetadataIlLi4EEENS1_28PointwiseOpScalarListFunctorIlLi4ELi3ELi3EEEJSt10multipliesIlEEEEvT_T0_DpT1_.num_vgpr, 72
	.set _ZN2at6native12_GLOBAL__N_125multi_tensor_apply_kernelINS1_28TensorListScalarListMetadataIlLi4EEENS1_28PointwiseOpScalarListFunctorIlLi4ELi3ELi3EEEJSt10multipliesIlEEEEvT_T0_DpT1_.num_agpr, 0
	.set _ZN2at6native12_GLOBAL__N_125multi_tensor_apply_kernelINS1_28TensorListScalarListMetadataIlLi4EEENS1_28PointwiseOpScalarListFunctorIlLi4ELi3ELi3EEEJSt10multipliesIlEEEEvT_T0_DpT1_.numbered_sgpr, 32
	.set _ZN2at6native12_GLOBAL__N_125multi_tensor_apply_kernelINS1_28TensorListScalarListMetadataIlLi4EEENS1_28PointwiseOpScalarListFunctorIlLi4ELi3ELi3EEEJSt10multipliesIlEEEEvT_T0_DpT1_.num_named_barrier, 0
	.set _ZN2at6native12_GLOBAL__N_125multi_tensor_apply_kernelINS1_28TensorListScalarListMetadataIlLi4EEENS1_28PointwiseOpScalarListFunctorIlLi4ELi3ELi3EEEJSt10multipliesIlEEEEvT_T0_DpT1_.private_seg_size, 0
	.set _ZN2at6native12_GLOBAL__N_125multi_tensor_apply_kernelINS1_28TensorListScalarListMetadataIlLi4EEENS1_28PointwiseOpScalarListFunctorIlLi4ELi3ELi3EEEJSt10multipliesIlEEEEvT_T0_DpT1_.uses_vcc, 1
	.set _ZN2at6native12_GLOBAL__N_125multi_tensor_apply_kernelINS1_28TensorListScalarListMetadataIlLi4EEENS1_28PointwiseOpScalarListFunctorIlLi4ELi3ELi3EEEJSt10multipliesIlEEEEvT_T0_DpT1_.uses_flat_scratch, 0
	.set _ZN2at6native12_GLOBAL__N_125multi_tensor_apply_kernelINS1_28TensorListScalarListMetadataIlLi4EEENS1_28PointwiseOpScalarListFunctorIlLi4ELi3ELi3EEEJSt10multipliesIlEEEEvT_T0_DpT1_.has_dyn_sized_stack, 0
	.set _ZN2at6native12_GLOBAL__N_125multi_tensor_apply_kernelINS1_28TensorListScalarListMetadataIlLi4EEENS1_28PointwiseOpScalarListFunctorIlLi4ELi3ELi3EEEJSt10multipliesIlEEEEvT_T0_DpT1_.has_recursion, 0
	.set _ZN2at6native12_GLOBAL__N_125multi_tensor_apply_kernelINS1_28TensorListScalarListMetadataIlLi4EEENS1_28PointwiseOpScalarListFunctorIlLi4ELi3ELi3EEEJSt10multipliesIlEEEEvT_T0_DpT1_.has_indirect_call, 0
	.section	.AMDGPU.csdata,"",@progbits
; Kernel info:
; codeLenInByte = 1780
; TotalNumSgprs: 34
; NumVgprs: 72
; ScratchSize: 0
; MemoryBound: 0
; FloatMode: 240
; IeeeMode: 1
; LDSByteSize: 0 bytes/workgroup (compile time only)
; SGPRBlocks: 0
; VGPRBlocks: 4
; NumSGPRsForWavesPerEU: 34
; NumVGPRsForWavesPerEU: 72
; NamedBarCnt: 0
; Occupancy: 12
; WaveLimiterHint : 1
; COMPUTE_PGM_RSRC2:SCRATCH_EN: 0
; COMPUTE_PGM_RSRC2:USER_SGPR: 2
; COMPUTE_PGM_RSRC2:TRAP_HANDLER: 0
; COMPUTE_PGM_RSRC2:TGID_X_EN: 1
; COMPUTE_PGM_RSRC2:TGID_Y_EN: 0
; COMPUTE_PGM_RSRC2:TGID_Z_EN: 0
; COMPUTE_PGM_RSRC2:TIDIG_COMP_CNT: 0
	.section	.text._ZN2at6native12_GLOBAL__N_125multi_tensor_apply_kernelINS1_28TensorListScalarListMetadataIsLi4EEENS1_28PointwiseOpScalarListFunctorIsLi4ELi3ELi3EEEJSt10multipliesIsEEEEvT_T0_DpT1_,"axG",@progbits,_ZN2at6native12_GLOBAL__N_125multi_tensor_apply_kernelINS1_28TensorListScalarListMetadataIsLi4EEENS1_28PointwiseOpScalarListFunctorIsLi4ELi3ELi3EEEJSt10multipliesIsEEEEvT_T0_DpT1_,comdat
	.globl	_ZN2at6native12_GLOBAL__N_125multi_tensor_apply_kernelINS1_28TensorListScalarListMetadataIsLi4EEENS1_28PointwiseOpScalarListFunctorIsLi4ELi3ELi3EEEJSt10multipliesIsEEEEvT_T0_DpT1_ ; -- Begin function _ZN2at6native12_GLOBAL__N_125multi_tensor_apply_kernelINS1_28TensorListScalarListMetadataIsLi4EEENS1_28PointwiseOpScalarListFunctorIsLi4ELi3ELi3EEEJSt10multipliesIsEEEEvT_T0_DpT1_
	.p2align	8
	.type	_ZN2at6native12_GLOBAL__N_125multi_tensor_apply_kernelINS1_28TensorListScalarListMetadataIsLi4EEENS1_28PointwiseOpScalarListFunctorIsLi4ELi3ELi3EEEJSt10multipliesIsEEEEvT_T0_DpT1_,@function
_ZN2at6native12_GLOBAL__N_125multi_tensor_apply_kernelINS1_28TensorListScalarListMetadataIsLi4EEENS1_28PointwiseOpScalarListFunctorIsLi4ELi3ELi3EEEJSt10multipliesIsEEEEvT_T0_DpT1_: ; @_ZN2at6native12_GLOBAL__N_125multi_tensor_apply_kernelINS1_28TensorListScalarListMetadataIsLi4EEENS1_28PointwiseOpScalarListFunctorIsLi4ELi3ELi3EEEJSt10multipliesIsEEEEvT_T0_DpT1_
; %bb.0:
	s_bfe_u32 s2, ttmp6, 0x4000c
	s_and_b32 s3, ttmp6, 15
	s_add_co_i32 s2, s2, 1
	s_getreg_b32 s4, hwreg(HW_REG_IB_STS2, 6, 4)
	s_mul_i32 s2, ttmp9, s2
	v_mov_b32_e32 v3, 0
	s_add_co_i32 s3, s3, s2
	s_cmp_eq_u32 s4, 0
	s_cselect_b32 s2, ttmp9, s3
	s_mov_b32 s3, 0
	v_mov_b32_e32 v1, s2
	s_add_nc_u64 s[4:5], s[0:1], s[2:3]
	global_load_u8 v1, v1, s[0:1] offset:1512
	s_wait_loadcnt 0x0
	v_readfirstlane_b32 s6, v1
	s_delay_alu instid0(VALU_DEP_1)
	v_mov_b32_e32 v2, s6
	s_and_b32 s14, s6, 0xff
	s_mul_u64 s[6:7], s[2:3], 3
	s_lshl_b32 s2, s14, 3
	s_add_nc_u64 s[4:5], s[4:5], s[6:7]
	v_and_b32_e32 v2, 0xff, v2
	s_add_nc_u64 s[8:9], s[0:1], s[2:3]
	s_delay_alu instid0(VALU_DEP_1) | instskip(NEXT) | instid1(VALU_DEP_1)
	v_mul_u64_e32 v[2:3], -6, v[2:3]
	v_add_nc_u64_e32 v[2:3], s[8:9], v[2:3]
	global_load_u16 v44, v[2:3], off offset:1440
	s_clause 0x5
	s_load_b32 s16, s[4:5], 0x728
	s_load_b64 s[6:7], s[0:1], s14 offset:0x120 scale_offset
	s_load_b64 s[8:9], s[0:1], s14 offset:0x0 scale_offset
	s_load_b64 s[10:11], s[0:1], s14 offset:0x240 scale_offset
	s_load_b64 s[12:13], s[0:1], s14 offset:0x360 scale_offset
	s_load_b64 s[18:19], s[0:1], s14 offset:0x480 scale_offset
	s_wait_kmcnt 0x0
	s_ashr_i32 s17, s16, 31
	s_delay_alu instid0(SALU_CYCLE_1) | instskip(NEXT) | instid1(SALU_CYCLE_1)
	s_lshl_b64 s[14:15], s[16:17], 17
	s_add_nc_u64 s[4:5], s[6:7], s[14:15]
	s_add_nc_u64 s[20:21], s[10:11], s[14:15]
	s_and_b32 s2, s4, 7
	s_and_b64 s[4:5], s[8:9], 7
	s_cmp_eq_u64 s[2:3], 0
	s_cselect_b32 s21, -1, 0
	s_or_b32 s2, s12, s20
	s_delay_alu instid0(SALU_CYCLE_1) | instskip(NEXT) | instid1(SALU_CYCLE_1)
	s_and_b32 s2, s2, 7
	s_cmp_eq_u32 s2, 0
	s_cselect_b32 s20, -1, 0
	s_and_b32 s2, s18, 3
	s_and_b32 s20, s20, s21
	s_or_b64 s[2:3], s[4:5], s[2:3]
	s_lshl_b64 s[4:5], s[16:17], 16
	s_cmp_eq_u64 s[2:3], 0
	s_sub_nc_u64 s[16:17], s[18:19], s[4:5]
	s_cselect_b32 s2, -1, 0
	s_delay_alu instid0(SALU_CYCLE_1) | instskip(NEXT) | instid1(SALU_CYCLE_1)
	s_and_b32 s2, s20, s2
	s_and_b32 vcc_lo, exec_lo, s2
	s_mov_b32 s2, -1
	s_cbranch_vccnz .LBB92_29
; %bb.1:
	v_cmp_lt_i64_e64 s2, s[16:17], 1
	s_and_b32 vcc_lo, exec_lo, s2
	s_cbranch_vccnz .LBB92_28
; %bb.2:
	s_load_b32 s2, s[0:1], 0xc3c
	v_min_i64 v[2:3], 0x10000, s[16:17]
	v_min_u64 v[4:5], 0x10000, s[16:17]
	v_dual_mov_b32 v1, 0 :: v_dual_lshlrev_b32 v14, 1, v0
	s_mov_b32 s21, 0
	s_mov_b64 s[22:23], 0
	s_mov_b32 s19, s21
	s_delay_alu instid0(VALU_DEP_1) | instskip(SKIP_2) | instid1(VALU_DEP_1)
	v_dual_mov_b32 v15, v1 :: v_dual_mov_b32 v43, v1
	s_mov_b32 s3, s21
	s_mov_b32 s5, s21
	v_add_nc_u64_e32 v[6:7], s[8:9], v[14:15]
	v_add_nc_u64_e32 v[8:9], s[6:7], v[14:15]
	;; [unrolled: 1-line block ×3, first 2 shown]
	s_wait_kmcnt 0x0
	s_and_b32 s20, s2, 0xffff
	s_delay_alu instid0(SALU_CYCLE_1)
	v_add_nc_u64_e32 v[12:13], s[20:21], v[0:1]
	v_mad_nc_u64_u32 v[34:35], s20, 6, v[14:15]
	s_lshl_b32 s18, s20, 2
	s_mul_i32 s4, s20, 3
	v_add_nc_u64_e32 v[26:27], s[18:19], v[14:15]
	s_lshl_b32 s2, s20, 1
	v_add_nc_u64_e32 v[14:15], s[12:13], v[14:15]
	v_lshlrev_b32_e32 v42, 1, v12
	v_add_nc_u64_e32 v[16:17], s[4:5], v[0:1]
	v_add_nc_u64_e32 v[18:19], s[2:3], v[0:1]
	s_lshl_b32 s20, s20, 3
	v_add_nc_u64_e32 v[20:21], s[8:9], v[26:27]
	v_add_nc_u64_e32 v[22:23], s[6:7], v[26:27]
	;; [unrolled: 1-line block ×12, first 2 shown]
	s_branch .LBB92_4
.LBB92_3:                               ;   in Loop: Header=BB92_4 Depth=1
	s_wait_xcnt 0x0
	s_or_b32 exec_lo, exec_lo, s2
	s_add_nc_u64 s[22:23], s[22:23], s[18:19]
	v_add_nc_u64_e32 v[6:7], s[20:21], v[6:7]
	v_cmp_lt_i64_e32 vcc_lo, s[22:23], v[2:3]
	v_add_nc_u64_e32 v[8:9], s[20:21], v[8:9]
	v_add_nc_u64_e32 v[10:11], s[20:21], v[10:11]
	;; [unrolled: 1-line block ×15, first 2 shown]
	s_cbranch_vccz .LBB92_28
.LBB92_4:                               ; =>This Inner Loop Header: Depth=1
	s_wait_loadcnt 0x0
	v_add_nc_u64_e32 v[46:47], s[22:23], v[0:1]
	v_mov_b32_e32 v45, 0
	s_delay_alu instid0(VALU_DEP_2)
	v_cmp_lt_u64_e32 vcc_lo, v[46:47], v[4:5]
	v_mov_b32_e32 v46, 0
	s_and_saveexec_b32 s2, vcc_lo
	s_cbranch_execz .LBB92_6
; %bb.5:                                ;   in Loop: Header=BB92_4 Depth=1
	v_add_nc_u64_e32 v[48:49], s[14:15], v[6:7]
	v_add_nc_u64_e32 v[50:51], s[14:15], v[8:9]
	global_load_u16 v45, v[48:49], off
	global_load_u16 v46, v[50:51], off
.LBB92_6:                               ;   in Loop: Header=BB92_4 Depth=1
	s_wait_xcnt 0x0
	s_or_b32 exec_lo, exec_lo, s2
	v_dual_mov_b32 v47, 0 :: v_dual_mov_b32 v48, 0
	s_and_saveexec_b32 s2, vcc_lo
	s_cbranch_execz .LBB92_8
; %bb.7:                                ;   in Loop: Header=BB92_4 Depth=1
	v_add_nc_u64_e32 v[48:49], s[14:15], v[10:11]
	global_load_u16 v48, v[48:49], off
.LBB92_8:                               ;   in Loop: Header=BB92_4 Depth=1
	s_wait_xcnt 0x0
	s_or_b32 exec_lo, exec_lo, s2
	v_add_nc_u64_e32 v[50:51], s[22:23], v[12:13]
	v_mov_b32_e32 v49, 0
	s_delay_alu instid0(VALU_DEP_2)
	v_cmp_lt_u64_e64 s2, v[50:51], v[4:5]
	s_and_saveexec_b32 s3, s2
	s_cbranch_execz .LBB92_10
; %bb.9:                                ;   in Loop: Header=BB92_4 Depth=1
	v_add_nc_u64_e32 v[50:51], s[14:15], v[36:37]
	v_add_nc_u64_e32 v[52:53], s[14:15], v[38:39]
	global_load_u16 v49, v[50:51], off
	global_load_u16 v47, v[52:53], off
.LBB92_10:                              ;   in Loop: Header=BB92_4 Depth=1
	s_wait_xcnt 0x0
	s_or_b32 exec_lo, exec_lo, s3
	v_dual_mov_b32 v50, 0 :: v_dual_mov_b32 v51, 0
	s_and_saveexec_b32 s3, s2
	s_cbranch_execz .LBB92_12
; %bb.11:                               ;   in Loop: Header=BB92_4 Depth=1
	v_add_nc_u64_e32 v[52:53], s[14:15], v[40:41]
	global_load_u16 v51, v[52:53], off
.LBB92_12:                              ;   in Loop: Header=BB92_4 Depth=1
	s_wait_xcnt 0x0
	s_or_b32 exec_lo, exec_lo, s3
	v_add_nc_u64_e32 v[52:53], s[22:23], v[18:19]
	s_delay_alu instid0(VALU_DEP_1)
	v_cmp_lt_u64_e64 s3, v[52:53], v[4:5]
	v_mov_b32_e32 v52, 0
	s_and_saveexec_b32 s4, s3
	s_cbranch_execz .LBB92_14
; %bb.13:                               ;   in Loop: Header=BB92_4 Depth=1
	v_add_nc_u64_e32 v[54:55], s[14:15], v[20:21]
	v_add_nc_u64_e32 v[56:57], s[14:15], v[22:23]
	global_load_u16 v52, v[54:55], off
	global_load_u16 v50, v[56:57], off
.LBB92_14:                              ;   in Loop: Header=BB92_4 Depth=1
	s_wait_xcnt 0x0
	s_or_b32 exec_lo, exec_lo, s4
	v_dual_mov_b32 v53, 0 :: v_dual_mov_b32 v54, 0
	s_and_saveexec_b32 s4, s3
	s_cbranch_execz .LBB92_16
; %bb.15:                               ;   in Loop: Header=BB92_4 Depth=1
	v_add_nc_u64_e32 v[54:55], s[14:15], v[24:25]
	global_load_u16 v54, v[54:55], off
.LBB92_16:                              ;   in Loop: Header=BB92_4 Depth=1
	s_wait_xcnt 0x0
	s_or_b32 exec_lo, exec_lo, s4
	v_add_nc_u64_e32 v[56:57], s[22:23], v[16:17]
	v_mov_b32_e32 v55, 0
	s_delay_alu instid0(VALU_DEP_2)
	v_cmp_lt_u64_e64 s4, v[56:57], v[4:5]
	s_and_saveexec_b32 s5, s4
	s_cbranch_execnz .LBB92_22
; %bb.17:                               ;   in Loop: Header=BB92_4 Depth=1
	s_or_b32 exec_lo, exec_lo, s5
	v_mov_b32_e32 v56, 0
	s_and_saveexec_b32 s5, s4
	s_cbranch_execnz .LBB92_23
.LBB92_18:                              ;   in Loop: Header=BB92_4 Depth=1
	s_or_b32 exec_lo, exec_lo, s5
	s_and_saveexec_b32 s5, vcc_lo
	s_cbranch_execnz .LBB92_24
.LBB92_19:                              ;   in Loop: Header=BB92_4 Depth=1
	s_or_b32 exec_lo, exec_lo, s5
	s_and_saveexec_b32 s5, s2
	s_cbranch_execnz .LBB92_25
.LBB92_20:                              ;   in Loop: Header=BB92_4 Depth=1
	s_or_b32 exec_lo, exec_lo, s5
	s_and_saveexec_b32 s2, s3
	s_cbranch_execnz .LBB92_26
.LBB92_21:                              ;   in Loop: Header=BB92_4 Depth=1
	s_or_b32 exec_lo, exec_lo, s2
	s_and_saveexec_b32 s2, s4
	s_cbranch_execz .LBB92_3
	s_branch .LBB92_27
.LBB92_22:                              ;   in Loop: Header=BB92_4 Depth=1
	v_add_nc_u64_e32 v[56:57], s[14:15], v[28:29]
	v_add_nc_u64_e32 v[58:59], s[14:15], v[30:31]
	global_load_u16 v55, v[56:57], off
	global_load_u16 v53, v[58:59], off
	s_wait_xcnt 0x0
	s_or_b32 exec_lo, exec_lo, s5
	v_mov_b32_e32 v56, 0
	s_and_saveexec_b32 s5, s4
	s_cbranch_execz .LBB92_18
.LBB92_23:                              ;   in Loop: Header=BB92_4 Depth=1
	v_add_nc_u64_e32 v[56:57], s[14:15], v[32:33]
	global_load_u16 v56, v[56:57], off
	s_wait_xcnt 0x0
	s_or_b32 exec_lo, exec_lo, s5
	s_and_saveexec_b32 s5, vcc_lo
	s_cbranch_execz .LBB92_19
.LBB92_24:                              ;   in Loop: Header=BB92_4 Depth=1
	s_wait_loadcnt 0x0
	v_mul_lo_u16 v46, v46, v44
	v_add_nc_u64_e32 v[58:59], s[14:15], v[14:15]
	s_delay_alu instid0(VALU_DEP_2)
	v_mad_u16 v45, v46, v48, v45
	global_store_b16 v[58:59], v45, off
	s_wait_xcnt 0x0
	s_or_b32 exec_lo, exec_lo, s5
	s_and_saveexec_b32 s5, s2
	s_cbranch_execz .LBB92_20
.LBB92_25:                              ;   in Loop: Header=BB92_4 Depth=1
	s_wait_loadcnt 0x0
	v_mul_lo_u16 v45, v47, v44
	v_add_nc_u64_e32 v[46:47], s[14:15], v[42:43]
	s_delay_alu instid0(VALU_DEP_2)
	v_mad_u16 v45, v45, v51, v49
	global_store_b16 v[46:47], v45, off
	s_wait_xcnt 0x0
	s_or_b32 exec_lo, exec_lo, s5
	s_and_saveexec_b32 s2, s3
	s_cbranch_execz .LBB92_21
.LBB92_26:                              ;   in Loop: Header=BB92_4 Depth=1
	s_wait_loadcnt 0x0
	v_mul_lo_u16 v45, v50, v44
	v_add_nc_u64_e32 v[46:47], s[14:15], v[26:27]
	s_delay_alu instid0(VALU_DEP_2)
	v_mad_u16 v45, v45, v54, v52
	global_store_b16 v[46:47], v45, off
	s_wait_xcnt 0x0
	s_or_b32 exec_lo, exec_lo, s2
	s_and_saveexec_b32 s2, s4
	s_cbranch_execz .LBB92_3
.LBB92_27:                              ;   in Loop: Header=BB92_4 Depth=1
	s_wait_loadcnt 0x0
	v_mul_lo_u16 v45, v53, v44
	v_add_nc_u64_e32 v[46:47], s[14:15], v[34:35]
	s_delay_alu instid0(VALU_DEP_2)
	v_mad_u16 v45, v45, v56, v55
	global_store_b16 v[46:47], v45, off
	s_branch .LBB92_3
.LBB92_28:
	s_mov_b32 s2, 0
.LBB92_29:
	s_delay_alu instid0(SALU_CYCLE_1)
	s_and_not1_b32 vcc_lo, exec_lo, s2
	s_cbranch_vccnz .LBB92_33
; %bb.30:
	v_min_i64 v[2:3], 0x10000, s[16:17]
	v_dual_mov_b32 v5, 0 :: v_dual_lshlrev_b32 v4, 2, v0
	s_mov_b32 s2, exec_lo
	s_delay_alu instid0(VALU_DEP_1)
	v_cmpx_lt_i64_e64 v[4:5], v[2:3]
	s_cbranch_execz .LBB92_33
; %bb.31:
	s_load_b32 s0, s[0:1], 0xc3c
	v_dual_mov_b32 v1, v5 :: v_dual_lshlrev_b32 v4, 3, v0
	s_wait_xcnt 0x0
	s_mov_b32 s1, 0
	s_delay_alu instid0(SALU_CYCLE_1) | instskip(NEXT) | instid1(VALU_DEP_1)
	s_mov_b32 s3, s1
	v_add_nc_u64_e32 v[4:5], s[14:15], v[4:5]
	s_mov_b32 s4, s1
	s_wait_kmcnt 0x0
	s_and_b32 s0, s0, 0xffff
	s_delay_alu instid0(SALU_CYCLE_1)
	s_lshl_b32 s2, s0, 3
.LBB92_32:                              ; =>This Inner Loop Header: Depth=1
	s_delay_alu instid0(VALU_DEP_1)
	v_add_nc_u64_e32 v[6:7], s[6:7], v[4:5]
	v_add_nc_u64_e32 v[8:9], s[8:9], v[4:5]
	;; [unrolled: 1-line block ×4, first 2 shown]
	global_load_b64 v[12:13], v[6:7], off
	global_load_b64 v[14:15], v[8:9], off
	;; [unrolled: 1-line block ×3, first 2 shown]
	s_wait_loadcnt 0x1
	s_wait_xcnt 0x1
	v_dual_lshrrev_b32 v7, 16, v12 :: v_dual_lshrrev_b32 v8, 16, v14
	v_mul_lo_u16 v6, v44, v12
	s_wait_loadcnt 0x0
	v_dual_lshrrev_b32 v9, 16, v16 :: v_dual_lshrrev_b32 v11, 16, v13
	s_delay_alu instid0(VALU_DEP_3)
	v_mul_lo_u16 v7, v44, v7
	v_mul_lo_u16 v10, v44, v13
	v_dual_lshrrev_b32 v12, 16, v15 :: v_dual_lshrrev_b32 v13, 16, v17
	v_mad_u16 v14, v6, v16, v14
	v_mul_lo_u16 v11, v44, v11
	v_mad_u16 v8, v7, v9, v8
	v_lshlrev_b64_e32 v[6:7], 2, v[0:1]
	v_mad_u16 v9, v10, v17, v15
	v_and_b32_e32 v10, 0xffff, v14
	v_mad_u16 v11, v11, v13, v12
	v_lshlrev_b32_e32 v8, 16, v8
	s_delay_alu instid0(VALU_DEP_4) | instskip(SKIP_1) | instid1(VALU_DEP_3)
	v_and_b32_e32 v9, 0xffff, v9
	v_cmp_ge_i64_e32 vcc_lo, v[6:7], v[2:3]
	v_dual_lshlrev_b32 v11, 16, v11 :: v_dual_bitop2_b32 v8, v8, v10 bitop3:0x54
	v_add_nc_u64_e32 v[6:7], s[12:13], v[4:5]
	v_add_nc_u64_e32 v[4:5], s[2:3], v[4:5]
	s_delay_alu instid0(VALU_DEP_3) | instskip(NEXT) | instid1(VALU_DEP_4)
	v_or3_b32 v9, 0, v9, v11
	v_or3_b32 v8, v8, 0, 0
	s_or_b32 s4, vcc_lo, s4
	global_store_b64 v[6:7], v[8:9], off
	s_wait_xcnt 0x0
	s_and_not1_b32 exec_lo, exec_lo, s4
	s_cbranch_execnz .LBB92_32
.LBB92_33:
	s_endpgm
	.section	.rodata,"a",@progbits
	.p2align	6, 0x0
	.amdhsa_kernel _ZN2at6native12_GLOBAL__N_125multi_tensor_apply_kernelINS1_28TensorListScalarListMetadataIsLi4EEENS1_28PointwiseOpScalarListFunctorIsLi4ELi3ELi3EEEJSt10multipliesIsEEEEvT_T0_DpT1_
		.amdhsa_group_segment_fixed_size 0
		.amdhsa_private_segment_fixed_size 0
		.amdhsa_kernarg_size 3376
		.amdhsa_user_sgpr_count 2
		.amdhsa_user_sgpr_dispatch_ptr 0
		.amdhsa_user_sgpr_queue_ptr 0
		.amdhsa_user_sgpr_kernarg_segment_ptr 1
		.amdhsa_user_sgpr_dispatch_id 0
		.amdhsa_user_sgpr_kernarg_preload_length 0
		.amdhsa_user_sgpr_kernarg_preload_offset 0
		.amdhsa_user_sgpr_private_segment_size 0
		.amdhsa_wavefront_size32 1
		.amdhsa_uses_dynamic_stack 0
		.amdhsa_enable_private_segment 0
		.amdhsa_system_sgpr_workgroup_id_x 1
		.amdhsa_system_sgpr_workgroup_id_y 0
		.amdhsa_system_sgpr_workgroup_id_z 0
		.amdhsa_system_sgpr_workgroup_info 0
		.amdhsa_system_vgpr_workitem_id 0
		.amdhsa_next_free_vgpr 60
		.amdhsa_next_free_sgpr 24
		.amdhsa_named_barrier_count 0
		.amdhsa_reserve_vcc 1
		.amdhsa_float_round_mode_32 0
		.amdhsa_float_round_mode_16_64 0
		.amdhsa_float_denorm_mode_32 3
		.amdhsa_float_denorm_mode_16_64 3
		.amdhsa_fp16_overflow 0
		.amdhsa_memory_ordered 1
		.amdhsa_forward_progress 1
		.amdhsa_inst_pref_size 14
		.amdhsa_round_robin_scheduling 0
		.amdhsa_exception_fp_ieee_invalid_op 0
		.amdhsa_exception_fp_denorm_src 0
		.amdhsa_exception_fp_ieee_div_zero 0
		.amdhsa_exception_fp_ieee_overflow 0
		.amdhsa_exception_fp_ieee_underflow 0
		.amdhsa_exception_fp_ieee_inexact 0
		.amdhsa_exception_int_div_zero 0
	.end_amdhsa_kernel
	.section	.text._ZN2at6native12_GLOBAL__N_125multi_tensor_apply_kernelINS1_28TensorListScalarListMetadataIsLi4EEENS1_28PointwiseOpScalarListFunctorIsLi4ELi3ELi3EEEJSt10multipliesIsEEEEvT_T0_DpT1_,"axG",@progbits,_ZN2at6native12_GLOBAL__N_125multi_tensor_apply_kernelINS1_28TensorListScalarListMetadataIsLi4EEENS1_28PointwiseOpScalarListFunctorIsLi4ELi3ELi3EEEJSt10multipliesIsEEEEvT_T0_DpT1_,comdat
.Lfunc_end92:
	.size	_ZN2at6native12_GLOBAL__N_125multi_tensor_apply_kernelINS1_28TensorListScalarListMetadataIsLi4EEENS1_28PointwiseOpScalarListFunctorIsLi4ELi3ELi3EEEJSt10multipliesIsEEEEvT_T0_DpT1_, .Lfunc_end92-_ZN2at6native12_GLOBAL__N_125multi_tensor_apply_kernelINS1_28TensorListScalarListMetadataIsLi4EEENS1_28PointwiseOpScalarListFunctorIsLi4ELi3ELi3EEEJSt10multipliesIsEEEEvT_T0_DpT1_
                                        ; -- End function
	.set _ZN2at6native12_GLOBAL__N_125multi_tensor_apply_kernelINS1_28TensorListScalarListMetadataIsLi4EEENS1_28PointwiseOpScalarListFunctorIsLi4ELi3ELi3EEEJSt10multipliesIsEEEEvT_T0_DpT1_.num_vgpr, 60
	.set _ZN2at6native12_GLOBAL__N_125multi_tensor_apply_kernelINS1_28TensorListScalarListMetadataIsLi4EEENS1_28PointwiseOpScalarListFunctorIsLi4ELi3ELi3EEEJSt10multipliesIsEEEEvT_T0_DpT1_.num_agpr, 0
	.set _ZN2at6native12_GLOBAL__N_125multi_tensor_apply_kernelINS1_28TensorListScalarListMetadataIsLi4EEENS1_28PointwiseOpScalarListFunctorIsLi4ELi3ELi3EEEJSt10multipliesIsEEEEvT_T0_DpT1_.numbered_sgpr, 24
	.set _ZN2at6native12_GLOBAL__N_125multi_tensor_apply_kernelINS1_28TensorListScalarListMetadataIsLi4EEENS1_28PointwiseOpScalarListFunctorIsLi4ELi3ELi3EEEJSt10multipliesIsEEEEvT_T0_DpT1_.num_named_barrier, 0
	.set _ZN2at6native12_GLOBAL__N_125multi_tensor_apply_kernelINS1_28TensorListScalarListMetadataIsLi4EEENS1_28PointwiseOpScalarListFunctorIsLi4ELi3ELi3EEEJSt10multipliesIsEEEEvT_T0_DpT1_.private_seg_size, 0
	.set _ZN2at6native12_GLOBAL__N_125multi_tensor_apply_kernelINS1_28TensorListScalarListMetadataIsLi4EEENS1_28PointwiseOpScalarListFunctorIsLi4ELi3ELi3EEEJSt10multipliesIsEEEEvT_T0_DpT1_.uses_vcc, 1
	.set _ZN2at6native12_GLOBAL__N_125multi_tensor_apply_kernelINS1_28TensorListScalarListMetadataIsLi4EEENS1_28PointwiseOpScalarListFunctorIsLi4ELi3ELi3EEEJSt10multipliesIsEEEEvT_T0_DpT1_.uses_flat_scratch, 0
	.set _ZN2at6native12_GLOBAL__N_125multi_tensor_apply_kernelINS1_28TensorListScalarListMetadataIsLi4EEENS1_28PointwiseOpScalarListFunctorIsLi4ELi3ELi3EEEJSt10multipliesIsEEEEvT_T0_DpT1_.has_dyn_sized_stack, 0
	.set _ZN2at6native12_GLOBAL__N_125multi_tensor_apply_kernelINS1_28TensorListScalarListMetadataIsLi4EEENS1_28PointwiseOpScalarListFunctorIsLi4ELi3ELi3EEEJSt10multipliesIsEEEEvT_T0_DpT1_.has_recursion, 0
	.set _ZN2at6native12_GLOBAL__N_125multi_tensor_apply_kernelINS1_28TensorListScalarListMetadataIsLi4EEENS1_28PointwiseOpScalarListFunctorIsLi4ELi3ELi3EEEJSt10multipliesIsEEEEvT_T0_DpT1_.has_indirect_call, 0
	.section	.AMDGPU.csdata,"",@progbits
; Kernel info:
; codeLenInByte = 1712
; TotalNumSgprs: 26
; NumVgprs: 60
; ScratchSize: 0
; MemoryBound: 0
; FloatMode: 240
; IeeeMode: 1
; LDSByteSize: 0 bytes/workgroup (compile time only)
; SGPRBlocks: 0
; VGPRBlocks: 3
; NumSGPRsForWavesPerEU: 26
; NumVGPRsForWavesPerEU: 60
; NamedBarCnt: 0
; Occupancy: 16
; WaveLimiterHint : 0
; COMPUTE_PGM_RSRC2:SCRATCH_EN: 0
; COMPUTE_PGM_RSRC2:USER_SGPR: 2
; COMPUTE_PGM_RSRC2:TRAP_HANDLER: 0
; COMPUTE_PGM_RSRC2:TGID_X_EN: 1
; COMPUTE_PGM_RSRC2:TGID_Y_EN: 0
; COMPUTE_PGM_RSRC2:TGID_Z_EN: 0
; COMPUTE_PGM_RSRC2:TIDIG_COMP_CNT: 0
	.section	.text._ZN2at6native12_GLOBAL__N_125multi_tensor_apply_kernelINS1_28TensorListScalarListMetadataIdLi4EEENS1_28PointwiseOpScalarListFunctorIdLi4ELi3ELi3EEEJSt10multipliesIdEEEEvT_T0_DpT1_,"axG",@progbits,_ZN2at6native12_GLOBAL__N_125multi_tensor_apply_kernelINS1_28TensorListScalarListMetadataIdLi4EEENS1_28PointwiseOpScalarListFunctorIdLi4ELi3ELi3EEEJSt10multipliesIdEEEEvT_T0_DpT1_,comdat
	.globl	_ZN2at6native12_GLOBAL__N_125multi_tensor_apply_kernelINS1_28TensorListScalarListMetadataIdLi4EEENS1_28PointwiseOpScalarListFunctorIdLi4ELi3ELi3EEEJSt10multipliesIdEEEEvT_T0_DpT1_ ; -- Begin function _ZN2at6native12_GLOBAL__N_125multi_tensor_apply_kernelINS1_28TensorListScalarListMetadataIdLi4EEENS1_28PointwiseOpScalarListFunctorIdLi4ELi3ELi3EEEJSt10multipliesIdEEEEvT_T0_DpT1_
	.p2align	8
	.type	_ZN2at6native12_GLOBAL__N_125multi_tensor_apply_kernelINS1_28TensorListScalarListMetadataIdLi4EEENS1_28PointwiseOpScalarListFunctorIdLi4ELi3ELi3EEEJSt10multipliesIdEEEEvT_T0_DpT1_,@function
_ZN2at6native12_GLOBAL__N_125multi_tensor_apply_kernelINS1_28TensorListScalarListMetadataIdLi4EEENS1_28PointwiseOpScalarListFunctorIdLi4ELi3ELi3EEEJSt10multipliesIdEEEEvT_T0_DpT1_: ; @_ZN2at6native12_GLOBAL__N_125multi_tensor_apply_kernelINS1_28TensorListScalarListMetadataIdLi4EEENS1_28PointwiseOpScalarListFunctorIdLi4ELi3ELi3EEEJSt10multipliesIdEEEEvT_T0_DpT1_
; %bb.0:
	s_bfe_u32 s2, ttmp6, 0x4000c
	s_and_b32 s3, ttmp6, 15
	s_add_co_i32 s2, s2, 1
	s_getreg_b32 s4, hwreg(HW_REG_IB_STS2, 6, 4)
	s_mul_i32 s2, ttmp9, s2
	s_mov_b32 s19, 0
	s_add_co_i32 s3, s3, s2
	s_cmp_eq_u32 s4, 0
	s_cselect_b32 s18, ttmp9, s3
	s_load_u8 s10, s[0:1], s18 offset:0x6c0
	s_add_nc_u64 s[2:3], s[0:1], s[18:19]
	s_mul_u64 s[4:5], s[18:19], 3
	s_delay_alu instid0(SALU_CYCLE_1)
	s_add_nc_u64 s[8:9], s[2:3], s[4:5]
	s_load_b32 s24, s[8:9], 0x800
	s_wait_kmcnt 0x0
	s_clause 0x5
	s_load_b64 s[2:3], s[0:1], s10 offset:0x0 scale_offset
	s_load_b64 s[4:5], s[0:1], s10 offset:0x120 scale_offset
	;; [unrolled: 1-line block ×6, first 2 shown]
	s_ashr_i32 s25, s24, 31
	s_delay_alu instid0(SALU_CYCLE_1)
	s_lshl_b64 s[16:17], s[24:25], 19
	s_wait_kmcnt 0x0
	s_add_nc_u64 s[10:11], s[4:5], s[16:17]
	s_add_nc_u64 s[8:9], s[2:3], s[16:17]
	s_and_b32 s18, s10, 31
	s_and_b64 s[28:29], s[8:9], 31
	s_add_nc_u64 s[12:13], s[20:21], s[16:17]
	s_cmp_eq_u64 s[18:19], 0
	s_add_nc_u64 s[14:15], s[22:23], s[16:17]
	s_cselect_b32 s30, -1, 0
	s_or_b32 s18, s14, s12
	s_delay_alu instid0(SALU_CYCLE_1) | instskip(NEXT) | instid1(SALU_CYCLE_1)
	s_and_b32 s18, s18, 31
	s_cmp_eq_u32 s18, 0
	s_cselect_b32 s31, -1, 0
	s_and_b32 s18, s26, 3
	s_and_b32 s30, s31, s30
	s_or_b64 s[18:19], s[28:29], s[18:19]
	s_lshl_b64 s[24:25], s[24:25], 16
	s_cmp_eq_u64 s[18:19], 0
	s_cselect_b32 s18, -1, 0
	s_delay_alu instid0(SALU_CYCLE_1)
	s_and_b32 s28, s30, s18
	s_sub_nc_u64 s[18:19], s[26:27], s[24:25]
	s_and_b32 vcc_lo, exec_lo, s28
	s_mov_b32 s24, -1
	s_cbranch_vccnz .LBB93_45
; %bb.1:
	v_cmp_lt_i64_e64 s24, s[18:19], 1
	s_and_b32 vcc_lo, exec_lo, s24
	s_cbranch_vccnz .LBB93_44
; %bb.2:
	s_load_b32 s24, s[0:1], 0xd14
	v_min_i64 v[2:3], 0x10000, s[18:19]
	v_min_u64 v[4:5], 0x10000, s[18:19]
	v_cmp_neq_f64_e64 s26, s[6:7], 1.0
	v_dual_mov_b32 v1, 0 :: v_dual_lshlrev_b32 v14, 3, v0
	s_mov_b32 s25, 0
	s_delay_alu instid0(SALU_CYCLE_1) | instskip(NEXT) | instid1(VALU_DEP_1)
	s_mov_b32 s35, s25
	v_dual_mov_b32 v15, v1 :: v_dual_mov_b32 v43, v1
	s_mov_b32 s29, s25
	s_mov_b32 s31, s25
	s_delay_alu instid0(VALU_DEP_1) | instskip(SKIP_4) | instid1(SALU_CYCLE_1)
	v_add_nc_u64_e32 v[6:7], s[2:3], v[14:15]
	v_add_nc_u64_e32 v[8:9], s[4:5], v[14:15]
	v_add_nc_u64_e32 v[10:11], s[20:21], v[14:15]
	s_wait_kmcnt 0x0
	s_and_b32 s24, s24, 0xffff
	v_add_nc_u64_e32 v[12:13], s[24:25], v[0:1]
	v_mad_nc_u64_u32 v[34:35], s24, 24, v[14:15]
	s_lshl_b32 s34, s24, 4
	s_mul_i32 s30, s24, 3
	v_add_nc_u64_e32 v[26:27], s[34:35], v[14:15]
	s_lshl_b32 s28, s24, 1
	v_add_nc_u64_e32 v[14:15], s[22:23], v[14:15]
	v_lshlrev_b32_e32 v42, 3, v12
	v_add_nc_u64_e32 v[16:17], s[30:31], v[0:1]
	v_add_nc_u64_e32 v[18:19], s[28:29], v[0:1]
	;; [unrolled: 1-line block ×14, first 2 shown]
	s_lshl_b32 s20, s24, 2
	s_mov_b32 s21, s25
	s_lshl_b32 s22, s24, 5
	s_mov_b32 s23, s25
	s_mov_b64 s[24:25], 0
	s_branch .LBB93_4
.LBB93_3:                               ;   in Loop: Header=BB93_4 Depth=1
	s_wait_xcnt 0x0
	s_or_b32 exec_lo, exec_lo, s2
	s_add_nc_u64 s[24:25], s[24:25], s[20:21]
	v_add_nc_u64_e32 v[6:7], s[22:23], v[6:7]
	v_cmp_ge_i64_e32 vcc_lo, s[24:25], v[2:3]
	v_add_nc_u64_e32 v[8:9], s[22:23], v[8:9]
	v_add_nc_u64_e32 v[10:11], s[22:23], v[10:11]
	;; [unrolled: 1-line block ×15, first 2 shown]
	s_cbranch_vccnz .LBB93_44
.LBB93_4:                               ; =>This Inner Loop Header: Depth=1
	s_wait_loadcnt 0x1
	v_add_nc_u64_e32 v[48:49], s[24:25], v[0:1]
	s_wait_loadcnt 0x0
	v_mov_b64_e32 v[44:45], 0
	v_mov_b64_e32 v[46:47], 0
	s_delay_alu instid0(VALU_DEP_3)
	v_cmp_lt_u64_e64 s2, v[48:49], v[4:5]
	v_mov_b64_e32 v[48:49], 0
	s_and_saveexec_b32 s3, s2
	s_cbranch_execz .LBB93_6
; %bb.5:                                ;   in Loop: Header=BB93_4 Depth=1
	v_add_nc_u64_e32 v[50:51], s[16:17], v[6:7]
	v_add_nc_u64_e32 v[52:53], s[16:17], v[8:9]
	global_load_b64 v[48:49], v[50:51], off
	global_load_b64 v[46:47], v[52:53], off
.LBB93_6:                               ;   in Loop: Header=BB93_4 Depth=1
	s_wait_xcnt 0x0
	s_or_b32 exec_lo, exec_lo, s3
	s_and_saveexec_b32 s3, s2
	s_cbranch_execz .LBB93_8
; %bb.7:                                ;   in Loop: Header=BB93_4 Depth=1
	v_add_nc_u64_e32 v[44:45], s[16:17], v[10:11]
	global_load_b64 v[44:45], v[44:45], off
.LBB93_8:                               ;   in Loop: Header=BB93_4 Depth=1
	s_wait_xcnt 0x0
	s_or_b32 exec_lo, exec_lo, s3
	v_add_nc_u64_e32 v[54:55], s[24:25], v[12:13]
	v_mov_b64_e32 v[50:51], 0
	v_mov_b64_e32 v[52:53], 0
	s_delay_alu instid0(VALU_DEP_3)
	v_cmp_lt_u64_e64 s3, v[54:55], v[4:5]
	v_mov_b64_e32 v[54:55], 0
	s_and_saveexec_b32 s4, s3
	s_cbranch_execz .LBB93_10
; %bb.9:                                ;   in Loop: Header=BB93_4 Depth=1
	v_add_nc_u64_e32 v[56:57], s[16:17], v[36:37]
	v_add_nc_u64_e32 v[58:59], s[16:17], v[38:39]
	global_load_b64 v[54:55], v[56:57], off
	global_load_b64 v[52:53], v[58:59], off
.LBB93_10:                              ;   in Loop: Header=BB93_4 Depth=1
	s_wait_xcnt 0x0
	s_or_b32 exec_lo, exec_lo, s4
	s_and_saveexec_b32 s4, s3
	s_cbranch_execz .LBB93_12
; %bb.11:                               ;   in Loop: Header=BB93_4 Depth=1
	v_add_nc_u64_e32 v[50:51], s[16:17], v[40:41]
	global_load_b64 v[50:51], v[50:51], off
.LBB93_12:                              ;   in Loop: Header=BB93_4 Depth=1
	s_wait_xcnt 0x0
	s_or_b32 exec_lo, exec_lo, s4
	v_add_nc_u64_e32 v[60:61], s[24:25], v[18:19]
	v_mov_b64_e32 v[56:57], 0
	v_mov_b64_e32 v[58:59], 0
	s_delay_alu instid0(VALU_DEP_3)
	v_cmp_lt_u64_e64 s4, v[60:61], v[4:5]
	v_mov_b64_e32 v[60:61], 0
	s_and_saveexec_b32 s5, s4
	s_cbranch_execz .LBB93_14
; %bb.13:                               ;   in Loop: Header=BB93_4 Depth=1
	v_add_nc_u64_e32 v[62:63], s[16:17], v[20:21]
	v_add_nc_u64_e32 v[64:65], s[16:17], v[22:23]
	global_load_b64 v[60:61], v[62:63], off
	global_load_b64 v[58:59], v[64:65], off
.LBB93_14:                              ;   in Loop: Header=BB93_4 Depth=1
	s_wait_xcnt 0x0
	s_or_b32 exec_lo, exec_lo, s5
	s_and_saveexec_b32 s5, s4
	s_cbranch_execz .LBB93_16
; %bb.15:                               ;   in Loop: Header=BB93_4 Depth=1
	v_add_nc_u64_e32 v[56:57], s[16:17], v[24:25]
	global_load_b64 v[56:57], v[56:57], off
.LBB93_16:                              ;   in Loop: Header=BB93_4 Depth=1
	s_wait_xcnt 0x0
	s_or_b32 exec_lo, exec_lo, s5
	v_add_nc_u64_e32 v[66:67], s[24:25], v[16:17]
	v_mov_b64_e32 v[62:63], 0
	v_mov_b64_e32 v[64:65], 0
	s_delay_alu instid0(VALU_DEP_3)
	v_cmp_lt_u64_e64 s5, v[66:67], v[4:5]
	v_mov_b64_e32 v[66:67], 0
	s_and_saveexec_b32 s27, s5
	s_cbranch_execnz .LBB93_34
; %bb.17:                               ;   in Loop: Header=BB93_4 Depth=1
	s_or_b32 exec_lo, exec_lo, s27
	s_and_saveexec_b32 s27, s5
	s_cbranch_execnz .LBB93_35
.LBB93_18:                              ;   in Loop: Header=BB93_4 Depth=1
	s_or_b32 exec_lo, exec_lo, s27
	s_delay_alu instid0(SALU_CYCLE_1)
	s_and_b32 vcc_lo, exec_lo, s26
	s_cbranch_vccz .LBB93_36
.LBB93_19:                              ;   in Loop: Header=BB93_4 Depth=1
	s_wait_loadcnt 0x0
	v_mul_f64_e32 v[68:69], v[46:47], v[44:45]
	s_delay_alu instid0(VALU_DEP_1)
	v_fma_f64 v[68:69], s[6:7], v[68:69], v[48:49]
	s_cbranch_execnz .LBB93_21
.LBB93_20:                              ;   in Loop: Header=BB93_4 Depth=1
	s_wait_loadcnt 0x0
	v_fmac_f64_e32 v[48:49], v[46:47], v[44:45]
	s_delay_alu instid0(VALU_DEP_1)
	v_mov_b64_e32 v[68:69], v[48:49]
.LBB93_21:                              ;   in Loop: Header=BB93_4 Depth=1
	s_and_not1_b32 vcc_lo, exec_lo, s26
	s_cbranch_vccnz .LBB93_41
; %bb.22:                               ;   in Loop: Header=BB93_4 Depth=1
	s_wait_loadcnt 0x0
	v_mul_f64_e32 v[44:45], v[52:53], v[50:51]
	s_delay_alu instid0(VALU_DEP_1)
	v_fma_f64 v[44:45], s[6:7], v[44:45], v[54:55]
	s_cbranch_execnz .LBB93_24
.LBB93_23:                              ;   in Loop: Header=BB93_4 Depth=1
	s_wait_loadcnt 0x0
	v_fmac_f64_e32 v[54:55], v[52:53], v[50:51]
	s_delay_alu instid0(VALU_DEP_1)
	v_mov_b64_e32 v[44:45], v[54:55]
.LBB93_24:                              ;   in Loop: Header=BB93_4 Depth=1
	s_and_not1_b32 vcc_lo, exec_lo, s26
	s_cbranch_vccnz .LBB93_42
; %bb.25:                               ;   in Loop: Header=BB93_4 Depth=1
	s_wait_loadcnt 0x0
	v_mul_f64_e32 v[46:47], v[58:59], v[56:57]
	s_delay_alu instid0(VALU_DEP_1)
	v_fma_f64 v[46:47], s[6:7], v[46:47], v[60:61]
	s_cbranch_execnz .LBB93_27
.LBB93_26:                              ;   in Loop: Header=BB93_4 Depth=1
	s_wait_loadcnt 0x0
	v_fmac_f64_e32 v[60:61], v[58:59], v[56:57]
	s_delay_alu instid0(VALU_DEP_1)
	v_mov_b64_e32 v[46:47], v[60:61]
.LBB93_27:                              ;   in Loop: Header=BB93_4 Depth=1
	s_and_not1_b32 vcc_lo, exec_lo, s26
	s_cbranch_vccnz .LBB93_43
; %bb.28:                               ;   in Loop: Header=BB93_4 Depth=1
	s_wait_loadcnt 0x0
	v_mul_f64_e32 v[48:49], v[64:65], v[62:63]
	s_delay_alu instid0(VALU_DEP_1)
	v_fma_f64 v[48:49], s[6:7], v[48:49], v[66:67]
	s_cbranch_execnz .LBB93_30
.LBB93_29:                              ;   in Loop: Header=BB93_4 Depth=1
	s_wait_loadcnt 0x0
	v_fmac_f64_e32 v[66:67], v[64:65], v[62:63]
	s_delay_alu instid0(VALU_DEP_1)
	v_mov_b64_e32 v[48:49], v[66:67]
.LBB93_30:                              ;   in Loop: Header=BB93_4 Depth=1
	s_and_saveexec_b32 s27, s2
	s_delay_alu instid0(SALU_CYCLE_1)
	s_xor_b32 s2, exec_lo, s27
	s_cbranch_execnz .LBB93_37
; %bb.31:                               ;   in Loop: Header=BB93_4 Depth=1
	s_or_b32 exec_lo, exec_lo, s2
	s_and_saveexec_b32 s2, s3
	s_cbranch_execnz .LBB93_38
.LBB93_32:                              ;   in Loop: Header=BB93_4 Depth=1
	s_or_b32 exec_lo, exec_lo, s2
	s_and_saveexec_b32 s2, s4
	s_cbranch_execnz .LBB93_39
.LBB93_33:                              ;   in Loop: Header=BB93_4 Depth=1
	s_or_b32 exec_lo, exec_lo, s2
	s_and_saveexec_b32 s2, s5
	s_cbranch_execz .LBB93_3
	s_branch .LBB93_40
.LBB93_34:                              ;   in Loop: Header=BB93_4 Depth=1
	v_add_nc_u64_e32 v[68:69], s[16:17], v[28:29]
	v_add_nc_u64_e32 v[70:71], s[16:17], v[30:31]
	global_load_b64 v[66:67], v[68:69], off
	global_load_b64 v[64:65], v[70:71], off
	s_wait_xcnt 0x0
	s_or_b32 exec_lo, exec_lo, s27
	s_and_saveexec_b32 s27, s5
	s_cbranch_execz .LBB93_18
.LBB93_35:                              ;   in Loop: Header=BB93_4 Depth=1
	v_add_nc_u64_e32 v[62:63], s[16:17], v[32:33]
	global_load_b64 v[62:63], v[62:63], off
	s_wait_xcnt 0x0
	s_or_b32 exec_lo, exec_lo, s27
	s_delay_alu instid0(SALU_CYCLE_1)
	s_and_b32 vcc_lo, exec_lo, s26
	s_cbranch_vccnz .LBB93_19
.LBB93_36:                              ;   in Loop: Header=BB93_4 Depth=1
                                        ; implicit-def: $vgpr68_vgpr69
	s_branch .LBB93_20
.LBB93_37:                              ;   in Loop: Header=BB93_4 Depth=1
	s_wait_loadcnt 0x0
	v_add_nc_u64_e32 v[50:51], s[16:17], v[14:15]
	global_store_b64 v[50:51], v[68:69], off
	s_wait_xcnt 0x0
	s_or_b32 exec_lo, exec_lo, s2
	s_and_saveexec_b32 s2, s3
	s_cbranch_execz .LBB93_32
.LBB93_38:                              ;   in Loop: Header=BB93_4 Depth=1
	s_wait_loadcnt 0x0
	v_add_nc_u64_e32 v[50:51], s[16:17], v[42:43]
	global_store_b64 v[50:51], v[44:45], off
	s_wait_xcnt 0x0
	s_or_b32 exec_lo, exec_lo, s2
	s_and_saveexec_b32 s2, s4
	s_cbranch_execz .LBB93_33
.LBB93_39:                              ;   in Loop: Header=BB93_4 Depth=1
	s_wait_loadcnt 0x0
	v_add_nc_u64_e32 v[44:45], s[16:17], v[26:27]
	global_store_b64 v[44:45], v[46:47], off
	s_wait_xcnt 0x0
	s_or_b32 exec_lo, exec_lo, s2
	s_and_saveexec_b32 s2, s5
	s_cbranch_execz .LBB93_3
.LBB93_40:                              ;   in Loop: Header=BB93_4 Depth=1
	s_wait_loadcnt 0x0
	v_add_nc_u64_e32 v[44:45], s[16:17], v[34:35]
	global_store_b64 v[44:45], v[48:49], off
	s_branch .LBB93_3
.LBB93_41:                              ;   in Loop: Header=BB93_4 Depth=1
                                        ; implicit-def: $vgpr44_vgpr45
	s_branch .LBB93_23
.LBB93_42:                              ;   in Loop: Header=BB93_4 Depth=1
                                        ; implicit-def: $vgpr46_vgpr47
	s_branch .LBB93_26
.LBB93_43:                              ;   in Loop: Header=BB93_4 Depth=1
                                        ; implicit-def: $vgpr48_vgpr49
	s_branch .LBB93_29
.LBB93_44:
	s_mov_b32 s24, 0
.LBB93_45:
	s_delay_alu instid0(SALU_CYCLE_1)
	s_and_not1_b32 vcc_lo, exec_lo, s24
	s_cbranch_vccnz .LBB93_65
; %bb.46:
	v_min_i64 v[30:31], 0x10000, s[18:19]
	v_dual_mov_b32 v33, 0 :: v_dual_lshlrev_b32 v32, 2, v0
	s_mov_b32 s2, exec_lo
	s_delay_alu instid0(VALU_DEP_1)
	v_cmpx_lt_i64_e64 v[32:33], v[30:31]
	s_cbranch_execz .LBB93_65
; %bb.47:
	v_cmp_neq_f64_e64 s4, s[6:7], 1.0
	s_load_b32 s0, s[0:1], 0xd14
	v_dual_mov_b32 v1, v33 :: v_dual_lshlrev_b32 v32, 5, v0
	s_wait_xcnt 0x0
	s_mov_b32 s1, 0
	s_delay_alu instid0(SALU_CYCLE_1) | instskip(SKIP_3) | instid1(SALU_CYCLE_1)
	s_mov_b32 s3, s1
	s_mov_b32 s5, s1
	s_wait_kmcnt 0x0
	s_and_b32 s0, s0, 0xffff
	s_lshl_b32 s2, s0, 5
	s_branch .LBB93_49
.LBB93_48:                              ;   in Loop: Header=BB93_49 Depth=1
	v_add_nc_u64_e32 v[0:1], s[0:1], v[0:1]
	s_add_nc_u64 s[8:9], s[8:9], s[2:3]
	s_add_nc_u64 s[12:13], s[12:13], s[2:3]
	;; [unrolled: 1-line block ×3, first 2 shown]
	s_wait_loadcnt 0x5
	s_delay_alu instid0(VALU_DEP_1) | instskip(NEXT) | instid1(VALU_DEP_1)
	v_lshlrev_b64_e32 v[6:7], 2, v[0:1]
	v_cmp_ge_i64_e32 vcc_lo, v[6:7], v[30:31]
	v_add_nc_u64_e32 v[6:7], s[14:15], v[32:33]
	s_add_nc_u64 s[14:15], s[14:15], s[2:3]
	global_store_b128 v[6:7], v[2:5], off
	s_wait_loadcnt 0x4
	global_store_b128 v[6:7], v[18:21], off offset:16
	s_or_b32 s5, vcc_lo, s5
	s_wait_xcnt 0x0
	s_and_not1_b32 exec_lo, exec_lo, s5
	s_cbranch_execz .LBB93_65
.LBB93_49:                              ; =>This Inner Loop Header: Depth=1
	v_add_nc_u64_e32 v[2:3], s[8:9], v[32:33]
	v_add_nc_u64_e32 v[4:5], s[10:11], v[32:33]
	;; [unrolled: 1-line block ×3, first 2 shown]
	s_and_b32 vcc_lo, exec_lo, s4
	s_clause 0x1
	global_load_b128 v[6:9], v[2:3], off offset:16
	global_load_b128 v[18:21], v[2:3], off
	s_wait_loadcnt 0x5
	global_load_b128 v[10:13], v[4:5], off offset:16
	s_wait_loadcnt 0x5
	global_load_b128 v[22:25], v[4:5], off
	s_wait_loadcnt 0x5
	global_load_b128 v[14:17], v[34:35], off offset:16
	s_wait_loadcnt 0x5
	global_load_b128 v[26:29], v[34:35], off
	s_cbranch_vccz .LBB93_60
; %bb.50:                               ;   in Loop: Header=BB93_49 Depth=1
	s_wait_loadcnt 0x0
	s_wait_xcnt 0x4
	v_mul_f64_e32 v[2:3], v[22:23], v[26:27]
	s_delay_alu instid0(VALU_DEP_1)
	v_fma_f64 v[2:3], s[6:7], v[2:3], v[18:19]
	s_cbranch_execnz .LBB93_52
.LBB93_51:                              ;   in Loop: Header=BB93_49 Depth=1
	s_wait_loadcnt 0x0
	v_fmac_f64_e32 v[18:19], v[22:23], v[26:27]
	s_wait_xcnt 0x4
	s_delay_alu instid0(VALU_DEP_1)
	v_mov_b64_e32 v[2:3], v[18:19]
.LBB93_52:                              ;   in Loop: Header=BB93_49 Depth=1
	s_and_not1_b32 vcc_lo, exec_lo, s4
	s_cbranch_vccnz .LBB93_61
; %bb.53:                               ;   in Loop: Header=BB93_49 Depth=1
	s_wait_loadcnt 0x0
	s_wait_xcnt 0x2
	v_mul_f64_e32 v[4:5], v[24:25], v[28:29]
	s_delay_alu instid0(VALU_DEP_1)
	v_fma_f64 v[4:5], s[6:7], v[4:5], v[20:21]
	s_cbranch_execnz .LBB93_55
.LBB93_54:                              ;   in Loop: Header=BB93_49 Depth=1
	s_wait_loadcnt 0x0
	v_fmac_f64_e32 v[20:21], v[24:25], v[28:29]
	s_wait_xcnt 0x2
	s_delay_alu instid0(VALU_DEP_1)
	v_mov_b64_e32 v[4:5], v[20:21]
.LBB93_55:                              ;   in Loop: Header=BB93_49 Depth=1
	s_and_not1_b32 vcc_lo, exec_lo, s4
	s_cbranch_vccnz .LBB93_62
; %bb.56:                               ;   in Loop: Header=BB93_49 Depth=1
	s_wait_loadcnt 0x1
	v_mul_f64_e32 v[18:19], v[10:11], v[14:15]
	s_delay_alu instid0(VALU_DEP_1)
	v_fma_f64 v[18:19], s[6:7], v[18:19], v[6:7]
	s_cbranch_execnz .LBB93_58
.LBB93_57:                              ;   in Loop: Header=BB93_49 Depth=1
	s_wait_loadcnt 0x1
	v_fmac_f64_e32 v[6:7], v[10:11], v[14:15]
	s_delay_alu instid0(VALU_DEP_1)
	v_mov_b64_e32 v[18:19], v[6:7]
.LBB93_58:                              ;   in Loop: Header=BB93_49 Depth=1
	s_and_not1_b32 vcc_lo, exec_lo, s4
	s_cbranch_vccnz .LBB93_63
; %bb.59:                               ;   in Loop: Header=BB93_49 Depth=1
	s_wait_loadcnt 0x1
	v_mul_f64_e32 v[6:7], v[12:13], v[16:17]
	s_delay_alu instid0(VALU_DEP_1)
	v_fma_f64 v[20:21], s[6:7], v[6:7], v[8:9]
	s_cbranch_execnz .LBB93_48
	s_branch .LBB93_64
.LBB93_60:                              ;   in Loop: Header=BB93_49 Depth=1
                                        ; implicit-def: $vgpr2_vgpr3
	s_branch .LBB93_51
.LBB93_61:                              ;   in Loop: Header=BB93_49 Depth=1
	s_branch .LBB93_54
.LBB93_62:                              ;   in Loop: Header=BB93_49 Depth=1
                                        ; implicit-def: $vgpr18_vgpr19
	s_branch .LBB93_57
.LBB93_63:                              ;   in Loop: Header=BB93_49 Depth=1
.LBB93_64:                              ;   in Loop: Header=BB93_49 Depth=1
	s_wait_loadcnt 0x1
	v_fmac_f64_e32 v[8:9], v[12:13], v[16:17]
	s_delay_alu instid0(VALU_DEP_1)
	v_mov_b64_e32 v[20:21], v[8:9]
	s_branch .LBB93_48
.LBB93_65:
	s_sendmsg sendmsg(MSG_DEALLOC_VGPRS)
	s_endpgm
	.section	.rodata,"a",@progbits
	.p2align	6, 0x0
	.amdhsa_kernel _ZN2at6native12_GLOBAL__N_125multi_tensor_apply_kernelINS1_28TensorListScalarListMetadataIdLi4EEENS1_28PointwiseOpScalarListFunctorIdLi4ELi3ELi3EEEJSt10multipliesIdEEEEvT_T0_DpT1_
		.amdhsa_group_segment_fixed_size 0
		.amdhsa_private_segment_fixed_size 0
		.amdhsa_kernarg_size 3592
		.amdhsa_user_sgpr_count 2
		.amdhsa_user_sgpr_dispatch_ptr 0
		.amdhsa_user_sgpr_queue_ptr 0
		.amdhsa_user_sgpr_kernarg_segment_ptr 1
		.amdhsa_user_sgpr_dispatch_id 0
		.amdhsa_user_sgpr_kernarg_preload_length 0
		.amdhsa_user_sgpr_kernarg_preload_offset 0
		.amdhsa_user_sgpr_private_segment_size 0
		.amdhsa_wavefront_size32 1
		.amdhsa_uses_dynamic_stack 0
		.amdhsa_enable_private_segment 0
		.amdhsa_system_sgpr_workgroup_id_x 1
		.amdhsa_system_sgpr_workgroup_id_y 0
		.amdhsa_system_sgpr_workgroup_id_z 0
		.amdhsa_system_sgpr_workgroup_info 0
		.amdhsa_system_vgpr_workitem_id 0
		.amdhsa_next_free_vgpr 72
		.amdhsa_next_free_sgpr 36
		.amdhsa_named_barrier_count 0
		.amdhsa_reserve_vcc 1
		.amdhsa_float_round_mode_32 0
		.amdhsa_float_round_mode_16_64 0
		.amdhsa_float_denorm_mode_32 3
		.amdhsa_float_denorm_mode_16_64 3
		.amdhsa_fp16_overflow 0
		.amdhsa_memory_ordered 1
		.amdhsa_forward_progress 1
		.amdhsa_inst_pref_size 16
		.amdhsa_round_robin_scheduling 0
		.amdhsa_exception_fp_ieee_invalid_op 0
		.amdhsa_exception_fp_denorm_src 0
		.amdhsa_exception_fp_ieee_div_zero 0
		.amdhsa_exception_fp_ieee_overflow 0
		.amdhsa_exception_fp_ieee_underflow 0
		.amdhsa_exception_fp_ieee_inexact 0
		.amdhsa_exception_int_div_zero 0
	.end_amdhsa_kernel
	.section	.text._ZN2at6native12_GLOBAL__N_125multi_tensor_apply_kernelINS1_28TensorListScalarListMetadataIdLi4EEENS1_28PointwiseOpScalarListFunctorIdLi4ELi3ELi3EEEJSt10multipliesIdEEEEvT_T0_DpT1_,"axG",@progbits,_ZN2at6native12_GLOBAL__N_125multi_tensor_apply_kernelINS1_28TensorListScalarListMetadataIdLi4EEENS1_28PointwiseOpScalarListFunctorIdLi4ELi3ELi3EEEJSt10multipliesIdEEEEvT_T0_DpT1_,comdat
.Lfunc_end93:
	.size	_ZN2at6native12_GLOBAL__N_125multi_tensor_apply_kernelINS1_28TensorListScalarListMetadataIdLi4EEENS1_28PointwiseOpScalarListFunctorIdLi4ELi3ELi3EEEJSt10multipliesIdEEEEvT_T0_DpT1_, .Lfunc_end93-_ZN2at6native12_GLOBAL__N_125multi_tensor_apply_kernelINS1_28TensorListScalarListMetadataIdLi4EEENS1_28PointwiseOpScalarListFunctorIdLi4ELi3ELi3EEEJSt10multipliesIdEEEEvT_T0_DpT1_
                                        ; -- End function
	.set _ZN2at6native12_GLOBAL__N_125multi_tensor_apply_kernelINS1_28TensorListScalarListMetadataIdLi4EEENS1_28PointwiseOpScalarListFunctorIdLi4ELi3ELi3EEEJSt10multipliesIdEEEEvT_T0_DpT1_.num_vgpr, 72
	.set _ZN2at6native12_GLOBAL__N_125multi_tensor_apply_kernelINS1_28TensorListScalarListMetadataIdLi4EEENS1_28PointwiseOpScalarListFunctorIdLi4ELi3ELi3EEEJSt10multipliesIdEEEEvT_T0_DpT1_.num_agpr, 0
	.set _ZN2at6native12_GLOBAL__N_125multi_tensor_apply_kernelINS1_28TensorListScalarListMetadataIdLi4EEENS1_28PointwiseOpScalarListFunctorIdLi4ELi3ELi3EEEJSt10multipliesIdEEEEvT_T0_DpT1_.numbered_sgpr, 36
	.set _ZN2at6native12_GLOBAL__N_125multi_tensor_apply_kernelINS1_28TensorListScalarListMetadataIdLi4EEENS1_28PointwiseOpScalarListFunctorIdLi4ELi3ELi3EEEJSt10multipliesIdEEEEvT_T0_DpT1_.num_named_barrier, 0
	.set _ZN2at6native12_GLOBAL__N_125multi_tensor_apply_kernelINS1_28TensorListScalarListMetadataIdLi4EEENS1_28PointwiseOpScalarListFunctorIdLi4ELi3ELi3EEEJSt10multipliesIdEEEEvT_T0_DpT1_.private_seg_size, 0
	.set _ZN2at6native12_GLOBAL__N_125multi_tensor_apply_kernelINS1_28TensorListScalarListMetadataIdLi4EEENS1_28PointwiseOpScalarListFunctorIdLi4ELi3ELi3EEEJSt10multipliesIdEEEEvT_T0_DpT1_.uses_vcc, 1
	.set _ZN2at6native12_GLOBAL__N_125multi_tensor_apply_kernelINS1_28TensorListScalarListMetadataIdLi4EEENS1_28PointwiseOpScalarListFunctorIdLi4ELi3ELi3EEEJSt10multipliesIdEEEEvT_T0_DpT1_.uses_flat_scratch, 0
	.set _ZN2at6native12_GLOBAL__N_125multi_tensor_apply_kernelINS1_28TensorListScalarListMetadataIdLi4EEENS1_28PointwiseOpScalarListFunctorIdLi4ELi3ELi3EEEJSt10multipliesIdEEEEvT_T0_DpT1_.has_dyn_sized_stack, 0
	.set _ZN2at6native12_GLOBAL__N_125multi_tensor_apply_kernelINS1_28TensorListScalarListMetadataIdLi4EEENS1_28PointwiseOpScalarListFunctorIdLi4ELi3ELi3EEEJSt10multipliesIdEEEEvT_T0_DpT1_.has_recursion, 0
	.set _ZN2at6native12_GLOBAL__N_125multi_tensor_apply_kernelINS1_28TensorListScalarListMetadataIdLi4EEENS1_28PointwiseOpScalarListFunctorIdLi4ELi3ELi3EEEJSt10multipliesIdEEEEvT_T0_DpT1_.has_indirect_call, 0
	.section	.AMDGPU.csdata,"",@progbits
; Kernel info:
; codeLenInByte = 1980
; TotalNumSgprs: 38
; NumVgprs: 72
; ScratchSize: 0
; MemoryBound: 1
; FloatMode: 240
; IeeeMode: 1
; LDSByteSize: 0 bytes/workgroup (compile time only)
; SGPRBlocks: 0
; VGPRBlocks: 4
; NumSGPRsForWavesPerEU: 38
; NumVGPRsForWavesPerEU: 72
; NamedBarCnt: 0
; Occupancy: 12
; WaveLimiterHint : 1
; COMPUTE_PGM_RSRC2:SCRATCH_EN: 0
; COMPUTE_PGM_RSRC2:USER_SGPR: 2
; COMPUTE_PGM_RSRC2:TRAP_HANDLER: 0
; COMPUTE_PGM_RSRC2:TGID_X_EN: 1
; COMPUTE_PGM_RSRC2:TGID_Y_EN: 0
; COMPUTE_PGM_RSRC2:TGID_Z_EN: 0
; COMPUTE_PGM_RSRC2:TIDIG_COMP_CNT: 0
	.section	.text._ZN2at6native12_GLOBAL__N_125multi_tensor_apply_kernelINS1_28TensorListScalarListMetadataIfLi4EEENS1_28PointwiseOpScalarListFunctorIfLi4ELi3ELi3EEEJSt10multipliesIfEEEEvT_T0_DpT1_,"axG",@progbits,_ZN2at6native12_GLOBAL__N_125multi_tensor_apply_kernelINS1_28TensorListScalarListMetadataIfLi4EEENS1_28PointwiseOpScalarListFunctorIfLi4ELi3ELi3EEEJSt10multipliesIfEEEEvT_T0_DpT1_,comdat
	.globl	_ZN2at6native12_GLOBAL__N_125multi_tensor_apply_kernelINS1_28TensorListScalarListMetadataIfLi4EEENS1_28PointwiseOpScalarListFunctorIfLi4ELi3ELi3EEEJSt10multipliesIfEEEEvT_T0_DpT1_ ; -- Begin function _ZN2at6native12_GLOBAL__N_125multi_tensor_apply_kernelINS1_28TensorListScalarListMetadataIfLi4EEENS1_28PointwiseOpScalarListFunctorIfLi4ELi3ELi3EEEJSt10multipliesIfEEEEvT_T0_DpT1_
	.p2align	8
	.type	_ZN2at6native12_GLOBAL__N_125multi_tensor_apply_kernelINS1_28TensorListScalarListMetadataIfLi4EEENS1_28PointwiseOpScalarListFunctorIfLi4ELi3ELi3EEEJSt10multipliesIfEEEEvT_T0_DpT1_,@function
_ZN2at6native12_GLOBAL__N_125multi_tensor_apply_kernelINS1_28TensorListScalarListMetadataIfLi4EEENS1_28PointwiseOpScalarListFunctorIfLi4ELi3ELi3EEEJSt10multipliesIfEEEEvT_T0_DpT1_: ; @_ZN2at6native12_GLOBAL__N_125multi_tensor_apply_kernelINS1_28TensorListScalarListMetadataIfLi4EEENS1_28PointwiseOpScalarListFunctorIfLi4ELi3ELi3EEEJSt10multipliesIfEEEEvT_T0_DpT1_
; %bb.0:
	s_bfe_u32 s2, ttmp6, 0x4000c
	s_and_b32 s3, ttmp6, 15
	s_add_co_i32 s2, s2, 1
	s_getreg_b32 s4, hwreg(HW_REG_IB_STS2, 6, 4)
	s_mul_i32 s2, ttmp9, s2
	s_delay_alu instid0(SALU_CYCLE_1)
	s_add_co_i32 s3, s3, s2
	s_cmp_eq_u32 s4, 0
	s_cselect_b32 s2, ttmp9, s3
	s_mov_b32 s3, 0
	s_load_u8 s24, s[0:1], s2 offset:0x630
	s_add_nc_u64 s[4:5], s[0:1], s[2:3]
	s_mul_u64 s[6:7], s[2:3], 3
	s_delay_alu instid0(SALU_CYCLE_1)
	s_add_nc_u64 s[4:5], s[4:5], s[6:7]
	s_load_b32 s18, s[4:5], 0x770
	s_wait_kmcnt 0x0
	s_clause 0x4
	s_load_b64 s[10:11], s[0:1], s24 offset:0x120 scale_offset
	s_load_b64 s[12:13], s[0:1], s24 offset:0x0 scale_offset
	;; [unrolled: 1-line block ×5, first 2 shown]
	s_lshl_b32 s2, s24, 3
	s_delay_alu instid0(SALU_CYCLE_1) | instskip(SKIP_1) | instid1(SALU_CYCLE_1)
	s_add_nc_u64 s[16:17], s[0:1], s[2:3]
	s_ashr_i32 s19, s18, 31
	s_lshl_b64 s[14:15], s[18:19], 18
	s_wait_kmcnt 0x0
	s_add_nc_u64 s[4:5], s[10:11], s[14:15]
	s_add_nc_u64 s[22:23], s[6:7], s[14:15]
	s_and_b32 s2, s4, 15
	s_and_b64 s[4:5], s[12:13], 15
	s_cmp_eq_u64 s[2:3], 0
	s_cselect_b32 s25, -1, 0
	s_or_b32 s2, s8, s22
	s_delay_alu instid0(SALU_CYCLE_1) | instskip(NEXT) | instid1(SALU_CYCLE_1)
	s_and_b32 s2, s2, 15
	s_cmp_eq_u32 s2, 0
	s_cselect_b32 s26, -1, 0
	s_lshl_b32 s2, s24, 2
	s_delay_alu instid0(SALU_CYCLE_1)
	s_sub_nc_u64 s[22:23], 0, s[2:3]
	s_and_b32 s2, s20, 3
	s_add_nc_u64 s[16:17], s[16:17], s[22:23]
	s_or_b64 s[2:3], s[4:5], s[2:3]
	s_load_b32 s16, s[16:17], 0x5a0
	s_wait_xcnt 0x0
	s_and_b32 s17, s26, s25
	s_lshl_b64 s[4:5], s[18:19], 16
	s_cmp_eq_u64 s[2:3], 0
	s_sub_nc_u64 s[18:19], s[20:21], s[4:5]
	s_cselect_b32 s2, -1, 0
	s_delay_alu instid0(SALU_CYCLE_1) | instskip(NEXT) | instid1(SALU_CYCLE_1)
	s_and_b32 s2, s17, s2
	s_and_b32 vcc_lo, exec_lo, s2
	s_mov_b32 s2, -1
	s_cbranch_vccnz .LBB94_29
; %bb.1:
	v_cmp_lt_i64_e64 s2, s[18:19], 1
	s_and_b32 vcc_lo, exec_lo, s2
	s_cbranch_vccnz .LBB94_28
; %bb.2:
	s_load_b32 s2, s[0:1], 0xc84
	v_min_i64 v[2:3], 0x10000, s[18:19]
	v_min_u64 v[4:5], 0x10000, s[18:19]
	v_dual_mov_b32 v1, 0 :: v_dual_lshlrev_b32 v20, 2, v0
	s_mov_b32 s23, 0
	s_mov_b64 s[24:25], 0
	s_mov_b32 s3, s23
	s_delay_alu instid0(VALU_DEP_1) | instskip(SKIP_2) | instid1(VALU_DEP_1)
	v_dual_mov_b32 v21, v1 :: v_dual_mov_b32 v43, v1
	s_mov_b32 s21, s23
	s_mov_b32 s5, s23
	v_add_nc_u64_e32 v[6:7], s[12:13], v[20:21]
	v_add_nc_u64_e32 v[8:9], s[10:11], v[20:21]
	;; [unrolled: 1-line block ×4, first 2 shown]
	s_wait_kmcnt 0x0
	s_and_b32 s22, s2, 0xffff
	s_delay_alu instid0(SALU_CYCLE_1)
	s_lshl_b32 s4, s22, 1
	s_cmp_eq_f32 s16, 1.0
	v_add_nc_u64_e32 v[12:13], s[22:23], v[0:1]
	v_mad_nc_u64_u32 v[26:27], s22, 12, v[20:21]
	s_mul_i32 s2, s22, 3
	v_add_nc_u64_e32 v[18:19], s[4:5], v[0:1]
	v_add_nc_u64_e32 v[16:17], s[2:3], v[0:1]
	s_cselect_b32 s2, -1, 0
	s_lshl_b32 s20, s22, 3
	v_lshlrev_b32_e32 v42, 2, v12
	v_add_nc_u64_e32 v[38:39], s[20:21], v[20:21]
	s_lshl_b32 s20, s22, 2
	s_lshl_b32 s22, s22, 4
	v_add_nc_u64_e32 v[20:21], s[12:13], v[26:27]
	v_add_nc_u64_e32 v[22:23], s[10:11], v[26:27]
	;; [unrolled: 1-line block ×12, first 2 shown]
	s_branch .LBB94_4
.LBB94_3:                               ;   in Loop: Header=BB94_4 Depth=1
	s_wait_xcnt 0x0
	s_or_b32 exec_lo, exec_lo, s3
	s_add_nc_u64 s[24:25], s[24:25], s[20:21]
	v_add_nc_u64_e32 v[6:7], s[22:23], v[6:7]
	v_cmp_lt_i64_e32 vcc_lo, s[24:25], v[2:3]
	v_add_nc_u64_e32 v[8:9], s[22:23], v[8:9]
	v_add_nc_u64_e32 v[10:11], s[22:23], v[10:11]
	;; [unrolled: 1-line block ×15, first 2 shown]
	s_cbranch_vccz .LBB94_28
.LBB94_4:                               ; =>This Inner Loop Header: Depth=1
	s_wait_loadcnt 0x0
	v_add_nc_u64_e32 v[44:45], s[24:25], v[0:1]
	s_delay_alu instid0(VALU_DEP_1)
	v_cmp_lt_u64_e32 vcc_lo, v[44:45], v[4:5]
	v_dual_mov_b32 v45, 0 :: v_dual_mov_b32 v44, 0
	s_and_saveexec_b32 s3, vcc_lo
	s_cbranch_execz .LBB94_6
; %bb.5:                                ;   in Loop: Header=BB94_4 Depth=1
	v_add_nc_u64_e32 v[46:47], s[14:15], v[6:7]
	v_add_nc_u64_e32 v[48:49], s[14:15], v[8:9]
	global_load_b32 v44, v[46:47], off
	global_load_b32 v45, v[48:49], off
.LBB94_6:                               ;   in Loop: Header=BB94_4 Depth=1
	s_wait_xcnt 0x0
	s_or_b32 exec_lo, exec_lo, s3
	v_dual_mov_b32 v46, 0 :: v_dual_mov_b32 v48, 0
	s_and_saveexec_b32 s3, vcc_lo
	s_cbranch_execz .LBB94_8
; %bb.7:                                ;   in Loop: Header=BB94_4 Depth=1
	v_add_nc_u64_e32 v[48:49], s[14:15], v[10:11]
	global_load_b32 v48, v[48:49], off
.LBB94_8:                               ;   in Loop: Header=BB94_4 Depth=1
	s_wait_xcnt 0x0
	s_or_b32 exec_lo, exec_lo, s3
	v_add_nc_u64_e32 v[50:51], s[24:25], v[12:13]
	v_mov_b32_e32 v47, 0
	s_delay_alu instid0(VALU_DEP_2)
	v_cmp_lt_u64_e64 s3, v[50:51], v[4:5]
	s_and_saveexec_b32 s4, s3
	s_cbranch_execz .LBB94_10
; %bb.9:                                ;   in Loop: Header=BB94_4 Depth=1
	v_add_nc_u64_e32 v[50:51], s[14:15], v[28:29]
	v_add_nc_u64_e32 v[52:53], s[14:15], v[30:31]
	global_load_b32 v47, v[50:51], off
	global_load_b32 v46, v[52:53], off
.LBB94_10:                              ;   in Loop: Header=BB94_4 Depth=1
	s_wait_xcnt 0x0
	s_or_b32 exec_lo, exec_lo, s4
	v_dual_mov_b32 v49, 0 :: v_dual_mov_b32 v51, 0
	s_and_saveexec_b32 s4, s3
	s_cbranch_execz .LBB94_12
; %bb.11:                               ;   in Loop: Header=BB94_4 Depth=1
	v_add_nc_u64_e32 v[50:51], s[14:15], v[40:41]
	global_load_b32 v51, v[50:51], off
.LBB94_12:                              ;   in Loop: Header=BB94_4 Depth=1
	s_wait_xcnt 0x0
	s_or_b32 exec_lo, exec_lo, s4
	v_add_nc_u64_e32 v[52:53], s[24:25], v[18:19]
	v_mov_b32_e32 v50, 0
	s_delay_alu instid0(VALU_DEP_2)
	v_cmp_lt_u64_e64 s4, v[52:53], v[4:5]
	s_and_saveexec_b32 s5, s4
	s_cbranch_execz .LBB94_14
; %bb.13:                               ;   in Loop: Header=BB94_4 Depth=1
	v_add_nc_u64_e32 v[52:53], s[14:15], v[32:33]
	v_add_nc_u64_e32 v[54:55], s[14:15], v[34:35]
	global_load_b32 v50, v[52:53], off
	global_load_b32 v49, v[54:55], off
.LBB94_14:                              ;   in Loop: Header=BB94_4 Depth=1
	s_wait_xcnt 0x0
	s_or_b32 exec_lo, exec_lo, s5
	v_dual_mov_b32 v52, 0 :: v_dual_mov_b32 v54, 0
	s_and_saveexec_b32 s5, s4
	s_cbranch_execz .LBB94_16
; %bb.15:                               ;   in Loop: Header=BB94_4 Depth=1
	v_add_nc_u64_e32 v[54:55], s[14:15], v[36:37]
	global_load_b32 v54, v[54:55], off
.LBB94_16:                              ;   in Loop: Header=BB94_4 Depth=1
	s_wait_xcnt 0x0
	s_or_b32 exec_lo, exec_lo, s5
	v_add_nc_u64_e32 v[56:57], s[24:25], v[16:17]
	v_mov_b32_e32 v53, 0
	s_delay_alu instid0(VALU_DEP_2)
	v_cmp_lt_u64_e64 s5, v[56:57], v[4:5]
	s_and_saveexec_b32 s17, s5
	s_cbranch_execnz .LBB94_22
; %bb.17:                               ;   in Loop: Header=BB94_4 Depth=1
	s_or_b32 exec_lo, exec_lo, s17
	v_mov_b32_e32 v55, 0
	s_and_saveexec_b32 s17, s5
	s_cbranch_execnz .LBB94_23
.LBB94_18:                              ;   in Loop: Header=BB94_4 Depth=1
	s_or_b32 exec_lo, exec_lo, s17
	s_and_saveexec_b32 s17, vcc_lo
	s_cbranch_execnz .LBB94_24
.LBB94_19:                              ;   in Loop: Header=BB94_4 Depth=1
	s_or_b32 exec_lo, exec_lo, s17
	s_and_saveexec_b32 s17, s3
	s_cbranch_execnz .LBB94_25
.LBB94_20:                              ;   in Loop: Header=BB94_4 Depth=1
	s_or_b32 exec_lo, exec_lo, s17
	s_and_saveexec_b32 s3, s4
	s_cbranch_execnz .LBB94_26
.LBB94_21:                              ;   in Loop: Header=BB94_4 Depth=1
	s_or_b32 exec_lo, exec_lo, s3
	s_and_saveexec_b32 s3, s5
	s_cbranch_execz .LBB94_3
	s_branch .LBB94_27
.LBB94_22:                              ;   in Loop: Header=BB94_4 Depth=1
	v_add_nc_u64_e32 v[56:57], s[14:15], v[20:21]
	v_add_nc_u64_e32 v[58:59], s[14:15], v[22:23]
	global_load_b32 v53, v[56:57], off
	global_load_b32 v52, v[58:59], off
	s_wait_xcnt 0x0
	s_or_b32 exec_lo, exec_lo, s17
	v_mov_b32_e32 v55, 0
	s_and_saveexec_b32 s17, s5
	s_cbranch_execz .LBB94_18
.LBB94_23:                              ;   in Loop: Header=BB94_4 Depth=1
	v_add_nc_u64_e32 v[56:57], s[14:15], v[24:25]
	global_load_b32 v55, v[56:57], off
	s_wait_xcnt 0x0
	s_or_b32 exec_lo, exec_lo, s17
	s_and_saveexec_b32 s17, vcc_lo
	s_cbranch_execz .LBB94_19
.LBB94_24:                              ;   in Loop: Header=BB94_4 Depth=1
	s_wait_loadcnt 0x0
	v_dual_mul_f32 v56, v45, v48 :: v_dual_fma_f32 v45, v45, v48, v44
	s_delay_alu instid0(VALU_DEP_1) | instskip(SKIP_1) | instid1(VALU_DEP_2)
	v_fmac_f32_e32 v44, s16, v56
	v_add_nc_u64_e32 v[56:57], s[14:15], v[14:15]
	v_cndmask_b32_e64 v44, v44, v45, s2
	global_store_b32 v[56:57], v44, off
	s_wait_xcnt 0x0
	s_or_b32 exec_lo, exec_lo, s17
	s_and_saveexec_b32 s17, s3
	s_cbranch_execz .LBB94_20
.LBB94_25:                              ;   in Loop: Header=BB94_4 Depth=1
	s_wait_loadcnt 0x0
	v_dual_mul_f32 v44, v46, v51 :: v_dual_fma_f32 v46, v46, v51, v47
	s_delay_alu instid0(VALU_DEP_1) | instskip(SKIP_1) | instid1(VALU_DEP_2)
	v_fmac_f32_e32 v47, s16, v44
	v_add_nc_u64_e32 v[44:45], s[14:15], v[42:43]
	v_cndmask_b32_e64 v46, v47, v46, s2
	global_store_b32 v[44:45], v46, off
	s_wait_xcnt 0x0
	s_or_b32 exec_lo, exec_lo, s17
	s_and_saveexec_b32 s3, s4
	s_cbranch_execz .LBB94_21
.LBB94_26:                              ;   in Loop: Header=BB94_4 Depth=1
	s_wait_loadcnt 0x0
	v_dual_mul_f32 v44, v49, v54 :: v_dual_fma_f32 v46, v49, v54, v50
	s_delay_alu instid0(VALU_DEP_1) | instskip(SKIP_1) | instid1(VALU_DEP_2)
	v_fmac_f32_e32 v50, s16, v44
	v_add_nc_u64_e32 v[44:45], s[14:15], v[38:39]
	v_cndmask_b32_e64 v46, v50, v46, s2
	global_store_b32 v[44:45], v46, off
	s_wait_xcnt 0x0
	s_or_b32 exec_lo, exec_lo, s3
	s_and_saveexec_b32 s3, s5
	s_cbranch_execz .LBB94_3
.LBB94_27:                              ;   in Loop: Header=BB94_4 Depth=1
	s_wait_loadcnt 0x0
	v_dual_mul_f32 v44, v52, v55 :: v_dual_fma_f32 v46, v52, v55, v53
	s_delay_alu instid0(VALU_DEP_1) | instskip(SKIP_1) | instid1(VALU_DEP_2)
	v_fmac_f32_e32 v53, s16, v44
	v_add_nc_u64_e32 v[44:45], s[14:15], v[26:27]
	v_cndmask_b32_e64 v46, v53, v46, s2
	global_store_b32 v[44:45], v46, off
	s_branch .LBB94_3
.LBB94_28:
	s_mov_b32 s2, 0
.LBB94_29:
	s_delay_alu instid0(SALU_CYCLE_1)
	s_and_not1_b32 vcc_lo, exec_lo, s2
	s_cbranch_vccnz .LBB94_33
; %bb.30:
	v_min_i64 v[2:3], 0x10000, s[18:19]
	v_dual_mov_b32 v7, 0 :: v_dual_lshlrev_b32 v6, 2, v0
	s_mov_b32 s2, exec_lo
	s_delay_alu instid0(VALU_DEP_1)
	v_cmpx_lt_i64_e64 v[6:7], v[2:3]
	s_cbranch_execz .LBB94_33
; %bb.31:
	s_load_b32 s0, s[0:1], 0xc84
	v_dual_mov_b32 v1, v7 :: v_dual_lshlrev_b32 v6, 4, v0
	s_wait_kmcnt 0x0
	s_mov_b32 s17, s16
	s_cmp_eq_f32 s16, 1.0
	v_mov_b64_e32 v[4:5], s[16:17]
	s_mov_b32 s3, 0
	v_add_nc_u64_e32 v[6:7], s[14:15], v[6:7]
	s_cselect_b32 vcc_lo, -1, 0
	s_add_nc_u64 s[4:5], s[12:13], 8
	s_add_nc_u64 s[10:11], s[10:11], 8
	s_mov_b32 s13, s3
	s_mov_b32 s1, s3
	s_and_b32 s2, s0, 0xffff
	s_delay_alu instid0(SALU_CYCLE_1)
	s_lshl_b32 s12, s2, 4
.LBB94_32:                              ; =>This Inner Loop Header: Depth=1
	v_add_nc_u64_e32 v[20:21], s[10:11], v[6:7]
	v_add_nc_u64_e32 v[22:23], s[6:7], v[6:7]
	v_add_nc_u64_e32 v[24:25], s[4:5], v[6:7]
	v_add_nc_u64_e32 v[0:1], s[2:3], v[0:1]
	global_load_b128 v[8:11], v[20:21], off offset:-8
	global_load_b128 v[12:15], v[22:23], off
	global_load_b128 v[16:19], v[24:25], off offset:-8
	s_wait_xcnt 0x2
	v_add_nc_u64_e32 v[20:21], s[8:9], v[6:7]
	v_add_nc_u64_e32 v[6:7], s[12:13], v[6:7]
	s_wait_xcnt 0x1
	v_lshlrev_b64_e32 v[22:23], 2, v[0:1]
	s_delay_alu instid0(VALU_DEP_1)
	v_cmp_ge_i64_e64 s0, v[22:23], v[2:3]
	s_or_b32 s1, s0, s1
	s_wait_loadcnt 0x1
	s_wait_xcnt 0x0
	v_pk_mul_f32 v[24:25], v[8:9], v[12:13]
	v_pk_mul_f32 v[26:27], v[10:11], v[14:15]
	s_wait_loadcnt 0x0
	v_pk_fma_f32 v[8:9], v[8:9], v[12:13], v[16:17]
	v_pk_fma_f32 v[10:11], v[10:11], v[14:15], v[18:19]
	;; [unrolled: 1-line block ×4, first 2 shown]
	s_delay_alu instid0(VALU_DEP_2) | instskip(NEXT) | instid1(VALU_DEP_2)
	v_dual_cndmask_b32 v9, v13, v9 :: v_dual_cndmask_b32 v8, v12, v8
	v_dual_cndmask_b32 v11, v15, v11 :: v_dual_cndmask_b32 v10, v14, v10
	global_store_b128 v[20:21], v[8:11], off
	s_wait_xcnt 0x0
	s_and_not1_b32 exec_lo, exec_lo, s1
	s_cbranch_execnz .LBB94_32
.LBB94_33:
	s_endpgm
	.section	.rodata,"a",@progbits
	.p2align	6, 0x0
	.amdhsa_kernel _ZN2at6native12_GLOBAL__N_125multi_tensor_apply_kernelINS1_28TensorListScalarListMetadataIfLi4EEENS1_28PointwiseOpScalarListFunctorIfLi4ELi3ELi3EEEJSt10multipliesIfEEEEvT_T0_DpT1_
		.amdhsa_group_segment_fixed_size 0
		.amdhsa_private_segment_fixed_size 0
		.amdhsa_kernarg_size 3448
		.amdhsa_user_sgpr_count 2
		.amdhsa_user_sgpr_dispatch_ptr 0
		.amdhsa_user_sgpr_queue_ptr 0
		.amdhsa_user_sgpr_kernarg_segment_ptr 1
		.amdhsa_user_sgpr_dispatch_id 0
		.amdhsa_user_sgpr_kernarg_preload_length 0
		.amdhsa_user_sgpr_kernarg_preload_offset 0
		.amdhsa_user_sgpr_private_segment_size 0
		.amdhsa_wavefront_size32 1
		.amdhsa_uses_dynamic_stack 0
		.amdhsa_enable_private_segment 0
		.amdhsa_system_sgpr_workgroup_id_x 1
		.amdhsa_system_sgpr_workgroup_id_y 0
		.amdhsa_system_sgpr_workgroup_id_z 0
		.amdhsa_system_sgpr_workgroup_info 0
		.amdhsa_system_vgpr_workitem_id 0
		.amdhsa_next_free_vgpr 60
		.amdhsa_next_free_sgpr 27
		.amdhsa_named_barrier_count 0
		.amdhsa_reserve_vcc 1
		.amdhsa_float_round_mode_32 0
		.amdhsa_float_round_mode_16_64 0
		.amdhsa_float_denorm_mode_32 3
		.amdhsa_float_denorm_mode_16_64 3
		.amdhsa_fp16_overflow 0
		.amdhsa_memory_ordered 1
		.amdhsa_forward_progress 1
		.amdhsa_inst_pref_size 14
		.amdhsa_round_robin_scheduling 0
		.amdhsa_exception_fp_ieee_invalid_op 0
		.amdhsa_exception_fp_denorm_src 0
		.amdhsa_exception_fp_ieee_div_zero 0
		.amdhsa_exception_fp_ieee_overflow 0
		.amdhsa_exception_fp_ieee_underflow 0
		.amdhsa_exception_fp_ieee_inexact 0
		.amdhsa_exception_int_div_zero 0
	.end_amdhsa_kernel
	.section	.text._ZN2at6native12_GLOBAL__N_125multi_tensor_apply_kernelINS1_28TensorListScalarListMetadataIfLi4EEENS1_28PointwiseOpScalarListFunctorIfLi4ELi3ELi3EEEJSt10multipliesIfEEEEvT_T0_DpT1_,"axG",@progbits,_ZN2at6native12_GLOBAL__N_125multi_tensor_apply_kernelINS1_28TensorListScalarListMetadataIfLi4EEENS1_28PointwiseOpScalarListFunctorIfLi4ELi3ELi3EEEJSt10multipliesIfEEEEvT_T0_DpT1_,comdat
.Lfunc_end94:
	.size	_ZN2at6native12_GLOBAL__N_125multi_tensor_apply_kernelINS1_28TensorListScalarListMetadataIfLi4EEENS1_28PointwiseOpScalarListFunctorIfLi4ELi3ELi3EEEJSt10multipliesIfEEEEvT_T0_DpT1_, .Lfunc_end94-_ZN2at6native12_GLOBAL__N_125multi_tensor_apply_kernelINS1_28TensorListScalarListMetadataIfLi4EEENS1_28PointwiseOpScalarListFunctorIfLi4ELi3ELi3EEEJSt10multipliesIfEEEEvT_T0_DpT1_
                                        ; -- End function
	.set _ZN2at6native12_GLOBAL__N_125multi_tensor_apply_kernelINS1_28TensorListScalarListMetadataIfLi4EEENS1_28PointwiseOpScalarListFunctorIfLi4ELi3ELi3EEEJSt10multipliesIfEEEEvT_T0_DpT1_.num_vgpr, 60
	.set _ZN2at6native12_GLOBAL__N_125multi_tensor_apply_kernelINS1_28TensorListScalarListMetadataIfLi4EEENS1_28PointwiseOpScalarListFunctorIfLi4ELi3ELi3EEEJSt10multipliesIfEEEEvT_T0_DpT1_.num_agpr, 0
	.set _ZN2at6native12_GLOBAL__N_125multi_tensor_apply_kernelINS1_28TensorListScalarListMetadataIfLi4EEENS1_28PointwiseOpScalarListFunctorIfLi4ELi3ELi3EEEJSt10multipliesIfEEEEvT_T0_DpT1_.numbered_sgpr, 27
	.set _ZN2at6native12_GLOBAL__N_125multi_tensor_apply_kernelINS1_28TensorListScalarListMetadataIfLi4EEENS1_28PointwiseOpScalarListFunctorIfLi4ELi3ELi3EEEJSt10multipliesIfEEEEvT_T0_DpT1_.num_named_barrier, 0
	.set _ZN2at6native12_GLOBAL__N_125multi_tensor_apply_kernelINS1_28TensorListScalarListMetadataIfLi4EEENS1_28PointwiseOpScalarListFunctorIfLi4ELi3ELi3EEEJSt10multipliesIfEEEEvT_T0_DpT1_.private_seg_size, 0
	.set _ZN2at6native12_GLOBAL__N_125multi_tensor_apply_kernelINS1_28TensorListScalarListMetadataIfLi4EEENS1_28PointwiseOpScalarListFunctorIfLi4ELi3ELi3EEEJSt10multipliesIfEEEEvT_T0_DpT1_.uses_vcc, 1
	.set _ZN2at6native12_GLOBAL__N_125multi_tensor_apply_kernelINS1_28TensorListScalarListMetadataIfLi4EEENS1_28PointwiseOpScalarListFunctorIfLi4ELi3ELi3EEEJSt10multipliesIfEEEEvT_T0_DpT1_.uses_flat_scratch, 0
	.set _ZN2at6native12_GLOBAL__N_125multi_tensor_apply_kernelINS1_28TensorListScalarListMetadataIfLi4EEENS1_28PointwiseOpScalarListFunctorIfLi4ELi3ELi3EEEJSt10multipliesIfEEEEvT_T0_DpT1_.has_dyn_sized_stack, 0
	.set _ZN2at6native12_GLOBAL__N_125multi_tensor_apply_kernelINS1_28TensorListScalarListMetadataIfLi4EEENS1_28PointwiseOpScalarListFunctorIfLi4ELi3ELi3EEEJSt10multipliesIfEEEEvT_T0_DpT1_.has_recursion, 0
	.set _ZN2at6native12_GLOBAL__N_125multi_tensor_apply_kernelINS1_28TensorListScalarListMetadataIfLi4EEENS1_28PointwiseOpScalarListFunctorIfLi4ELi3ELi3EEEJSt10multipliesIfEEEEvT_T0_DpT1_.has_indirect_call, 0
	.section	.AMDGPU.csdata,"",@progbits
; Kernel info:
; codeLenInByte = 1676
; TotalNumSgprs: 29
; NumVgprs: 60
; ScratchSize: 0
; MemoryBound: 0
; FloatMode: 240
; IeeeMode: 1
; LDSByteSize: 0 bytes/workgroup (compile time only)
; SGPRBlocks: 0
; VGPRBlocks: 3
; NumSGPRsForWavesPerEU: 29
; NumVGPRsForWavesPerEU: 60
; NamedBarCnt: 0
; Occupancy: 16
; WaveLimiterHint : 0
; COMPUTE_PGM_RSRC2:SCRATCH_EN: 0
; COMPUTE_PGM_RSRC2:USER_SGPR: 2
; COMPUTE_PGM_RSRC2:TRAP_HANDLER: 0
; COMPUTE_PGM_RSRC2:TGID_X_EN: 1
; COMPUTE_PGM_RSRC2:TGID_Y_EN: 0
; COMPUTE_PGM_RSRC2:TGID_Z_EN: 0
; COMPUTE_PGM_RSRC2:TIDIG_COMP_CNT: 0
	.section	.text._ZN2at6native12_GLOBAL__N_125multi_tensor_apply_kernelINS1_28TensorListScalarListMetadataIN3c107complexIdEELi4EEENS1_28PointwiseOpScalarListFunctorIS6_Li4ELi3ELi3EEEJSt10multipliesIS6_EEEEvT_T0_DpT1_,"axG",@progbits,_ZN2at6native12_GLOBAL__N_125multi_tensor_apply_kernelINS1_28TensorListScalarListMetadataIN3c107complexIdEELi4EEENS1_28PointwiseOpScalarListFunctorIS6_Li4ELi3ELi3EEEJSt10multipliesIS6_EEEEvT_T0_DpT1_,comdat
	.globl	_ZN2at6native12_GLOBAL__N_125multi_tensor_apply_kernelINS1_28TensorListScalarListMetadataIN3c107complexIdEELi4EEENS1_28PointwiseOpScalarListFunctorIS6_Li4ELi3ELi3EEEJSt10multipliesIS6_EEEEvT_T0_DpT1_ ; -- Begin function _ZN2at6native12_GLOBAL__N_125multi_tensor_apply_kernelINS1_28TensorListScalarListMetadataIN3c107complexIdEELi4EEENS1_28PointwiseOpScalarListFunctorIS6_Li4ELi3ELi3EEEJSt10multipliesIS6_EEEEvT_T0_DpT1_
	.p2align	8
	.type	_ZN2at6native12_GLOBAL__N_125multi_tensor_apply_kernelINS1_28TensorListScalarListMetadataIN3c107complexIdEELi4EEENS1_28PointwiseOpScalarListFunctorIS6_Li4ELi3ELi3EEEJSt10multipliesIS6_EEEEvT_T0_DpT1_,@function
_ZN2at6native12_GLOBAL__N_125multi_tensor_apply_kernelINS1_28TensorListScalarListMetadataIN3c107complexIdEELi4EEENS1_28PointwiseOpScalarListFunctorIS6_Li4ELi3ELi3EEEJSt10multipliesIS6_EEEEvT_T0_DpT1_: ; @_ZN2at6native12_GLOBAL__N_125multi_tensor_apply_kernelINS1_28TensorListScalarListMetadataIN3c107complexIdEELi4EEENS1_28PointwiseOpScalarListFunctorIS6_Li4ELi3ELi3EEEJSt10multipliesIS6_EEEEvT_T0_DpT1_
; %bb.0:
	s_bfe_u32 s2, ttmp6, 0x4000c
	s_and_b32 s3, ttmp6, 15
	s_add_co_i32 s2, s2, 1
	s_getreg_b32 s4, hwreg(HW_REG_IB_STS2, 6, 4)
	s_mul_i32 s2, ttmp9, s2
	s_delay_alu instid0(SALU_CYCLE_1)
	s_add_co_i32 s3, s3, s2
	s_cmp_eq_u32 s4, 0
	s_cselect_b32 s2, ttmp9, s3
	s_mov_b32 s3, 0
	s_load_u8 s10, s[0:1], s2 offset:0x7e0
	s_add_nc_u64 s[4:5], s[0:1], s[2:3]
	s_mul_u64 s[6:7], s[2:3], 3
	s_delay_alu instid0(SALU_CYCLE_1)
	s_add_nc_u64 s[4:5], s[4:5], s[6:7]
	s_load_b32 s18, s[4:5], 0x920
	s_wait_kmcnt 0x0
	s_clause 0x4
	s_load_b64 s[6:7], s[0:1], s10 offset:0x240 scale_offset
	s_load_b64 s[8:9], s[0:1], s10 offset:0x360 scale_offset
	;; [unrolled: 1-line block ×5, first 2 shown]
	s_lshl_b32 s2, s10, 3
	s_mov_b32 s5, s3
	s_wait_xcnt 0x0
	s_add_nc_u64 s[10:11], s[0:1], s[2:3]
	s_ashr_i32 s19, s18, 31
	s_delay_alu instid0(SALU_CYCLE_1)
	s_lshl_b64 s[22:23], s[18:19], 20
	s_wait_kmcnt 0x0
	s_add_nc_u64 s[6:7], s[6:7], s[22:23]
	s_add_nc_u64 s[12:13], s[8:9], s[22:23]
	s_load_b128 s[8:11], s[10:11], s2 offset:0x5a0
	s_wait_xcnt 0x0
	s_or_b32 s2, s12, s6
	s_add_nc_u64 s[14:15], s[14:15], s[22:23]
	s_and_b32 s2, s2, 63
	s_and_b32 s4, s14, 63
	s_cmp_eq_u32 s2, 0
	s_add_nc_u64 s[16:17], s[16:17], s[22:23]
	s_cselect_b32 s24, -1, 0
	s_and_b64 s[22:23], s[16:17], 63
	s_cmp_eq_u64 s[4:5], 0
	s_cselect_b32 s4, -1, 0
	s_and_b32 s2, s20, 3
	s_and_b32 s24, s24, s4
	s_or_b64 s[2:3], s[22:23], s[2:3]
	s_lshl_b64 s[4:5], s[18:19], 16
	s_cmp_eq_u64 s[2:3], 0
	s_sub_nc_u64 s[18:19], s[20:21], s[4:5]
	s_cselect_b32 s2, -1, 0
	s_delay_alu instid0(SALU_CYCLE_1) | instskip(NEXT) | instid1(SALU_CYCLE_1)
	s_and_b32 s2, s24, s2
	s_and_b32 vcc_lo, exec_lo, s2
	s_mov_b32 s2, -1
	s_cbranch_vccnz .LBB95_37
; %bb.1:
	v_cmp_lt_i64_e64 s2, s[18:19], 1
	s_and_b32 vcc_lo, exec_lo, s2
	s_cbranch_vccnz .LBB95_36
; %bb.2:
	s_wait_kmcnt 0x0
	v_cmp_neq_f64_e64 s2, s[8:9], 1.0
	v_cmp_neq_f64_e64 s3, s[10:11], 0
	v_min_u64 v[50:51], 0x10000, s[18:19]
	s_load_b32 s4, s[0:1], 0xe34
	v_mov_b32_e32 v1, 0
	s_mov_b32 s21, 0
	s_mov_b64 s[22:23], 0
	s_mov_b32 s25, s21
	s_mov_b32 s27, s21
	;; [unrolled: 1-line block ×3, first 2 shown]
	s_wait_kmcnt 0x0
	s_and_b32 s20, s4, 0xffff
	s_delay_alu instid0(SALU_CYCLE_1)
	s_lshl_b32 s24, s20, 1
	s_mul_i32 s26, s20, 3
	s_lshl_b32 s28, s20, 2
	s_or_b32 s30, s2, s3
	s_branch .LBB95_4
.LBB95_3:                               ;   in Loop: Header=BB95_4 Depth=1
	s_wait_xcnt 0x0
	s_or_b32 exec_lo, exec_lo, s2
	v_min_i64 v[2:3], 0x10000, s[18:19]
	s_add_nc_u64 s[22:23], s[22:23], s[28:29]
	s_delay_alu instid0(VALU_DEP_1) | instid1(SALU_CYCLE_1)
	v_cmp_ge_i64_e32 vcc_lo, s[22:23], v[2:3]
	s_cbranch_vccnz .LBB95_36
.LBB95_4:                               ; =>This Inner Loop Header: Depth=1
	v_add_nc_u64_e32 v[52:53], s[22:23], v[0:1]
	v_mov_b64_e32 v[12:13], 0
	v_mov_b64_e32 v[20:21], 0
	;; [unrolled: 1-line block ×5, first 2 shown]
	v_cmp_lt_u64_e64 s2, v[52:53], v[50:51]
	s_and_saveexec_b32 s3, s2
	s_cbranch_execz .LBB95_6
; %bb.5:                                ;   in Loop: Header=BB95_4 Depth=1
	v_lshlrev_b64_e32 v[2:3], 4, v[52:53]
	s_delay_alu instid0(VALU_DEP_1)
	v_add_nc_u64_e32 v[6:7], s[16:17], v[2:3]
	v_add_nc_u64_e32 v[8:9], s[14:15], v[2:3]
	global_load_b128 v[2:5], v[6:7], off
	global_load_b128 v[18:21], v[8:9], off
.LBB95_6:                               ;   in Loop: Header=BB95_4 Depth=1
	s_wait_xcnt 0x0
	s_or_b32 exec_lo, exec_lo, s3
	v_mov_b64_e32 v[10:11], 0
	s_and_saveexec_b32 s3, s2
	s_cbranch_execz .LBB95_8
; %bb.7:                                ;   in Loop: Header=BB95_4 Depth=1
	v_lshl_add_u64 v[6:7], v[52:53], 4, s[6:7]
	global_load_b128 v[10:13], v[6:7], off
.LBB95_8:                               ;   in Loop: Header=BB95_4 Depth=1
	s_wait_xcnt 0x0
	s_or_b32 exec_lo, exec_lo, s3
	v_add_nc_u64_e32 v[54:55], s[20:21], v[52:53]
	v_mov_b64_e32 v[24:25], 0
	v_mov_b64_e32 v[28:29], 0
	;; [unrolled: 1-line block ×5, first 2 shown]
	v_cmp_lt_u64_e64 s3, v[54:55], v[50:51]
	s_and_saveexec_b32 s4, s3
	s_cbranch_execz .LBB95_10
; %bb.9:                                ;   in Loop: Header=BB95_4 Depth=1
	v_lshlrev_b64_e32 v[6:7], 4, v[54:55]
	s_delay_alu instid0(VALU_DEP_1)
	v_add_nc_u64_e32 v[14:15], s[16:17], v[6:7]
	v_add_nc_u64_e32 v[16:17], s[14:15], v[6:7]
	global_load_b128 v[6:9], v[14:15], off
	global_load_b128 v[26:29], v[16:17], off
.LBB95_10:                              ;   in Loop: Header=BB95_4 Depth=1
	s_wait_xcnt 0x0
	s_or_b32 exec_lo, exec_lo, s4
	v_mov_b64_e32 v[22:23], 0
	s_and_saveexec_b32 s4, s3
	s_cbranch_execz .LBB95_12
; %bb.11:                               ;   in Loop: Header=BB95_4 Depth=1
	v_lshl_add_u64 v[14:15], v[54:55], 4, s[6:7]
	global_load_b128 v[22:25], v[14:15], off
.LBB95_12:                              ;   in Loop: Header=BB95_4 Depth=1
	s_wait_xcnt 0x0
	s_or_b32 exec_lo, exec_lo, s4
	v_add_nc_u64_e32 v[56:57], s[24:25], v[52:53]
	v_mov_b64_e32 v[36:37], 0
	v_mov_b64_e32 v[40:41], 0
	;; [unrolled: 1-line block ×5, first 2 shown]
	v_cmp_lt_u64_e64 s4, v[56:57], v[50:51]
	s_and_saveexec_b32 s5, s4
	s_cbranch_execz .LBB95_14
; %bb.13:                               ;   in Loop: Header=BB95_4 Depth=1
	v_lshlrev_b64_e32 v[14:15], 4, v[56:57]
	s_delay_alu instid0(VALU_DEP_1)
	v_add_nc_u64_e32 v[30:31], s[16:17], v[14:15]
	v_add_nc_u64_e32 v[32:33], s[14:15], v[14:15]
	global_load_b128 v[14:17], v[30:31], off
	global_load_b128 v[38:41], v[32:33], off
.LBB95_14:                              ;   in Loop: Header=BB95_4 Depth=1
	s_wait_xcnt 0x0
	s_or_b32 exec_lo, exec_lo, s5
	v_mov_b64_e32 v[34:35], 0
	s_and_saveexec_b32 s5, s4
	s_cbranch_execz .LBB95_16
; %bb.15:                               ;   in Loop: Header=BB95_4 Depth=1
	v_lshl_add_u64 v[30:31], v[56:57], 4, s[6:7]
	global_load_b128 v[34:37], v[30:31], off
.LBB95_16:                              ;   in Loop: Header=BB95_4 Depth=1
	s_wait_xcnt 0x0
	s_or_b32 exec_lo, exec_lo, s5
	v_add_nc_u64_e32 v[58:59], s[26:27], v[52:53]
	v_mov_b64_e32 v[44:45], 0
	v_mov_b64_e32 v[48:49], 0
	;; [unrolled: 1-line block ×5, first 2 shown]
	v_cmp_lt_u64_e64 s5, v[58:59], v[50:51]
	s_and_saveexec_b32 s31, s5
	s_cbranch_execz .LBB95_18
; %bb.17:                               ;   in Loop: Header=BB95_4 Depth=1
	v_lshlrev_b64_e32 v[30:31], 4, v[58:59]
	s_delay_alu instid0(VALU_DEP_1)
	v_add_nc_u64_e32 v[42:43], s[16:17], v[30:31]
	v_add_nc_u64_e32 v[60:61], s[14:15], v[30:31]
	global_load_b128 v[30:33], v[42:43], off
	global_load_b128 v[46:49], v[60:61], off
.LBB95_18:                              ;   in Loop: Header=BB95_4 Depth=1
	s_wait_xcnt 0x0
	s_or_b32 exec_lo, exec_lo, s31
	v_mov_b64_e32 v[42:43], 0
	s_and_saveexec_b32 s31, s5
	s_cbranch_execz .LBB95_20
; %bb.19:                               ;   in Loop: Header=BB95_4 Depth=1
	v_lshl_add_u64 v[42:43], v[58:59], 4, s[6:7]
	global_load_b128 v[42:45], v[42:43], off
.LBB95_20:                              ;   in Loop: Header=BB95_4 Depth=1
	s_wait_xcnt 0x0
	s_or_b32 exec_lo, exec_lo, s31
	s_wait_loadcnt 0x0
	v_mul_f64_e32 v[60:61], v[20:21], v[12:13]
	v_mul_f64_e32 v[20:21], v[20:21], v[10:11]
	s_and_b32 vcc_lo, exec_lo, s30
	s_delay_alu instid0(VALU_DEP_2) | instskip(NEXT) | instid1(VALU_DEP_2)
	v_fma_f64 v[10:11], v[18:19], v[10:11], -v[60:61]
	v_fmac_f64_e32 v[20:21], v[18:19], v[12:13]
	s_cbranch_vccz .LBB95_22
; %bb.21:                               ;   in Loop: Header=BB95_4 Depth=1
	s_delay_alu instid0(VALU_DEP_2) | instskip(NEXT) | instid1(VALU_DEP_2)
	v_mul_f64_e32 v[18:19], s[10:11], v[10:11]
	v_mul_f64_e32 v[12:13], s[10:11], v[20:21]
	s_delay_alu instid0(VALU_DEP_2) | instskip(NEXT) | instid1(VALU_DEP_2)
	v_fmac_f64_e32 v[18:19], s[8:9], v[20:21]
	v_fma_f64 v[10:11], s[8:9], v[10:11], -v[12:13]
	s_delay_alu instid0(VALU_DEP_2)
	v_mov_b64_e32 v[20:21], v[18:19]
.LBB95_22:                              ;   in Loop: Header=BB95_4 Depth=1
	v_mul_f64_e32 v[18:19], v[28:29], v[24:25]
	v_mul_f64_e32 v[12:13], v[28:29], v[22:23]
	s_and_not1_b32 vcc_lo, exec_lo, s30
	s_delay_alu instid0(VALU_DEP_2) | instskip(NEXT) | instid1(VALU_DEP_2)
	v_fma_f64 v[18:19], v[26:27], v[22:23], -v[18:19]
	v_fmac_f64_e32 v[12:13], v[26:27], v[24:25]
	s_cbranch_vccnz .LBB95_24
; %bb.23:                               ;   in Loop: Header=BB95_4 Depth=1
	s_delay_alu instid0(VALU_DEP_2) | instskip(NEXT) | instid1(VALU_DEP_2)
	v_mul_f64_e32 v[24:25], s[10:11], v[18:19]
	v_mul_f64_e32 v[22:23], s[10:11], v[12:13]
	s_delay_alu instid0(VALU_DEP_2) | instskip(NEXT) | instid1(VALU_DEP_2)
	v_fmac_f64_e32 v[24:25], s[8:9], v[12:13]
	v_fma_f64 v[18:19], s[8:9], v[18:19], -v[22:23]
	s_delay_alu instid0(VALU_DEP_2)
	v_mov_b64_e32 v[12:13], v[24:25]
.LBB95_24:                              ;   in Loop: Header=BB95_4 Depth=1
	v_mul_f64_e32 v[24:25], v[40:41], v[36:37]
	v_mul_f64_e32 v[22:23], v[40:41], v[34:35]
	s_and_not1_b32 vcc_lo, exec_lo, s30
	s_delay_alu instid0(VALU_DEP_2) | instskip(NEXT) | instid1(VALU_DEP_2)
	v_fma_f64 v[24:25], v[38:39], v[34:35], -v[24:25]
	v_fmac_f64_e32 v[22:23], v[38:39], v[36:37]
	s_cbranch_vccnz .LBB95_26
; %bb.25:                               ;   in Loop: Header=BB95_4 Depth=1
	s_delay_alu instid0(VALU_DEP_2) | instskip(NEXT) | instid1(VALU_DEP_2)
	v_mul_f64_e32 v[28:29], s[10:11], v[24:25]
	v_mul_f64_e32 v[26:27], s[10:11], v[22:23]
	s_delay_alu instid0(VALU_DEP_2) | instskip(NEXT) | instid1(VALU_DEP_2)
	v_fmac_f64_e32 v[28:29], s[8:9], v[22:23]
	v_fma_f64 v[24:25], s[8:9], v[24:25], -v[26:27]
	s_delay_alu instid0(VALU_DEP_2)
	v_mov_b64_e32 v[22:23], v[28:29]
.LBB95_26:                              ;   in Loop: Header=BB95_4 Depth=1
	v_mul_f64_e32 v[28:29], v[48:49], v[44:45]
	v_mul_f64_e32 v[26:27], v[48:49], v[42:43]
	s_and_not1_b32 vcc_lo, exec_lo, s30
	s_delay_alu instid0(VALU_DEP_2) | instskip(NEXT) | instid1(VALU_DEP_2)
	v_fma_f64 v[28:29], v[46:47], v[42:43], -v[28:29]
	v_fmac_f64_e32 v[26:27], v[46:47], v[44:45]
	s_cbranch_vccz .LBB95_31
; %bb.27:                               ;   in Loop: Header=BB95_4 Depth=1
	s_and_saveexec_b32 s31, s2
	s_delay_alu instid0(SALU_CYCLE_1)
	s_xor_b32 s2, exec_lo, s31
	s_cbranch_execnz .LBB95_32
.LBB95_28:                              ;   in Loop: Header=BB95_4 Depth=1
	s_or_b32 exec_lo, exec_lo, s2
	s_and_saveexec_b32 s2, s3
	s_cbranch_execnz .LBB95_33
.LBB95_29:                              ;   in Loop: Header=BB95_4 Depth=1
	s_or_b32 exec_lo, exec_lo, s2
	s_and_saveexec_b32 s2, s4
	s_cbranch_execnz .LBB95_34
.LBB95_30:                              ;   in Loop: Header=BB95_4 Depth=1
	s_or_b32 exec_lo, exec_lo, s2
	s_and_saveexec_b32 s2, s5
	s_cbranch_execz .LBB95_3
	s_branch .LBB95_35
.LBB95_31:                              ;   in Loop: Header=BB95_4 Depth=1
	s_delay_alu instid0(VALU_DEP_2) | instskip(NEXT) | instid1(VALU_DEP_2)
	v_mul_f64_e32 v[36:37], s[10:11], v[28:29]
	v_mul_f64_e32 v[34:35], s[10:11], v[26:27]
	s_delay_alu instid0(VALU_DEP_2) | instskip(NEXT) | instid1(VALU_DEP_2)
	v_fmac_f64_e32 v[36:37], s[8:9], v[26:27]
	v_fma_f64 v[28:29], s[8:9], v[28:29], -v[34:35]
	s_delay_alu instid0(VALU_DEP_2) | instskip(SKIP_1) | instid1(SALU_CYCLE_1)
	v_mov_b64_e32 v[26:27], v[36:37]
	s_and_saveexec_b32 s31, s2
	s_xor_b32 s2, exec_lo, s31
	s_cbranch_execz .LBB95_28
.LBB95_32:                              ;   in Loop: Header=BB95_4 Depth=1
	v_add_f64_e32 v[4:5], v[4:5], v[20:21]
	v_add_f64_e32 v[2:3], v[2:3], v[10:11]
	v_lshl_add_u64 v[10:11], v[52:53], 4, s[12:13]
	global_store_b128 v[10:11], v[2:5], off
	s_wait_xcnt 0x0
	s_or_b32 exec_lo, exec_lo, s2
	s_and_saveexec_b32 s2, s3
	s_cbranch_execz .LBB95_29
.LBB95_33:                              ;   in Loop: Header=BB95_4 Depth=1
	v_add_f64_e32 v[4:5], v[8:9], v[12:13]
	v_add_f64_e32 v[2:3], v[6:7], v[18:19]
	v_lshl_add_u64 v[6:7], v[54:55], 4, s[12:13]
	global_store_b128 v[6:7], v[2:5], off
	s_wait_xcnt 0x0
	s_or_b32 exec_lo, exec_lo, s2
	s_and_saveexec_b32 s2, s4
	s_cbranch_execz .LBB95_30
.LBB95_34:                              ;   in Loop: Header=BB95_4 Depth=1
	v_add_f64_e32 v[4:5], v[16:17], v[22:23]
	v_add_f64_e32 v[2:3], v[14:15], v[24:25]
	v_lshl_add_u64 v[6:7], v[56:57], 4, s[12:13]
	global_store_b128 v[6:7], v[2:5], off
	s_wait_xcnt 0x0
	s_or_b32 exec_lo, exec_lo, s2
	s_and_saveexec_b32 s2, s5
	s_cbranch_execz .LBB95_3
.LBB95_35:                              ;   in Loop: Header=BB95_4 Depth=1
	s_delay_alu instid0(VALU_DEP_1) | instskip(NEXT) | instid1(VALU_DEP_3)
	v_add_f64_e32 v[4:5], v[32:33], v[26:27]
	v_add_f64_e32 v[2:3], v[30:31], v[28:29]
	v_lshl_add_u64 v[6:7], v[58:59], 4, s[12:13]
	global_store_b128 v[6:7], v[2:5], off
	s_branch .LBB95_3
.LBB95_36:
	s_mov_b32 s2, 0
.LBB95_37:
	s_delay_alu instid0(SALU_CYCLE_1)
	s_and_not1_b32 vcc_lo, exec_lo, s2
	s_cbranch_vccnz .LBB95_49
; %bb.38:
	v_min_i64 v[42:43], 0x10000, s[18:19]
	v_dual_mov_b32 v45, 0 :: v_dual_lshlrev_b32 v44, 2, v0
	s_mov_b32 s2, exec_lo
	s_delay_alu instid0(VALU_DEP_1)
	v_cmpx_lt_i64_e64 v[44:45], v[42:43]
	s_cbranch_execz .LBB95_49
; %bb.39:
	s_wait_kmcnt 0x0
	v_cmp_neq_f64_e64 s2, s[8:9], 1.0
	v_cmp_neq_f64_e64 s3, s[10:11], 0
	s_load_b32 s0, s[0:1], 0xe34
	v_dual_mov_b32 v1, v45 :: v_dual_lshlrev_b32 v44, 6, v0
	s_wait_xcnt 0x0
	s_mov_b32 s1, 0
	s_delay_alu instid0(SALU_CYCLE_1)
	s_mov_b32 s5, s1
	s_wait_kmcnt 0x0
	s_and_b32 s0, s0, 0xffff
	s_or_b32 s4, s2, s3
	s_lshl_b32 s2, s0, 6
	s_mov_b32 s3, s1
	s_branch .LBB95_41
.LBB95_40:                              ;   in Loop: Header=BB95_41 Depth=1
	v_add_f64_e32 v[12:13], v[12:13], v[46:47]
	v_add_f64_e32 v[10:11], v[10:11], v[48:49]
	;; [unrolled: 1-line block ×8, first 2 shown]
	v_add_nc_u64_e32 v[0:1], s[0:1], v[0:1]
	s_add_nc_u64 s[16:17], s[16:17], s[2:3]
	s_add_nc_u64 s[6:7], s[6:7], s[2:3]
	;; [unrolled: 1-line block ×3, first 2 shown]
	s_delay_alu instid0(VALU_DEP_1) | instskip(NEXT) | instid1(VALU_DEP_1)
	v_lshlrev_b64_e32 v[18:19], 2, v[0:1]
	v_cmp_ge_i64_e32 vcc_lo, v[18:19], v[42:43]
	v_add_nc_u64_e32 v[18:19], s[12:13], v[44:45]
	s_add_nc_u64 s[12:13], s[12:13], s[2:3]
	s_clause 0x3
	global_store_b128 v[18:19], v[10:13], off
	global_store_b128 v[18:19], v[6:9], off offset:16
	global_store_b128 v[18:19], v[14:17], off offset:32
	;; [unrolled: 1-line block ×3, first 2 shown]
	s_or_b32 s5, vcc_lo, s5
	s_wait_xcnt 0x0
	s_and_not1_b32 exec_lo, exec_lo, s5
	s_cbranch_execz .LBB95_49
.LBB95_41:                              ; =>This Inner Loop Header: Depth=1
	v_add_nc_u64_e32 v[46:47], s[14:15], v[44:45]
	v_add_nc_u64_e32 v[56:57], s[6:7], v[44:45]
	;; [unrolled: 1-line block ×3, first 2 shown]
	s_and_not1_b32 vcc_lo, exec_lo, s4
	global_load_b128 v[48:51], v[46:47], off
	global_load_b128 v[52:55], v[56:57], off
	global_load_b128 v[34:37], v[46:47], off offset:16
	global_load_b128 v[38:41], v[56:57], off offset:16
	s_clause 0x3
	global_load_b128 v[2:5], v[58:59], off offset:48
	global_load_b128 v[14:17], v[58:59], off offset:32
	;; [unrolled: 1-line block ×3, first 2 shown]
	global_load_b128 v[10:13], v[58:59], off
	s_clause 0x1
	global_load_b128 v[18:21], v[46:47], off offset:48
	global_load_b128 v[26:29], v[46:47], off offset:32
	s_clause 0x1
	global_load_b128 v[22:25], v[56:57], off offset:48
	global_load_b128 v[30:33], v[56:57], off offset:32
	s_wait_loadcnt 0xa
	s_wait_xcnt 0x0
	v_mul_f64_e32 v[56:57], v[50:51], v[54:55]
	v_mul_f64_e32 v[46:47], v[48:49], v[54:55]
	s_delay_alu instid0(VALU_DEP_2) | instskip(NEXT) | instid1(VALU_DEP_2)
	v_fma_f64 v[48:49], v[48:49], v[52:53], -v[56:57]
	v_fmac_f64_e32 v[46:47], v[50:51], v[52:53]
	s_cbranch_vccnz .LBB95_43
; %bb.42:                               ;   in Loop: Header=BB95_41 Depth=1
	s_delay_alu instid0(VALU_DEP_2) | instskip(NEXT) | instid1(VALU_DEP_2)
	v_mul_f64_e32 v[52:53], s[10:11], v[48:49]
	v_mul_f64_e32 v[50:51], s[10:11], v[46:47]
	s_delay_alu instid0(VALU_DEP_2) | instskip(NEXT) | instid1(VALU_DEP_2)
	v_fmac_f64_e32 v[52:53], s[8:9], v[46:47]
	v_fma_f64 v[48:49], s[8:9], v[48:49], -v[50:51]
	s_delay_alu instid0(VALU_DEP_2)
	v_mov_b64_e32 v[46:47], v[52:53]
.LBB95_43:                              ;   in Loop: Header=BB95_41 Depth=1
	s_wait_loadcnt 0x8
	v_mul_f64_e32 v[50:51], v[36:37], v[40:41]
	v_mul_f64_e32 v[40:41], v[34:35], v[40:41]
	s_and_not1_b32 vcc_lo, exec_lo, s4
	s_delay_alu instid0(VALU_DEP_2) | instskip(NEXT) | instid1(VALU_DEP_2)
	v_fma_f64 v[34:35], v[34:35], v[38:39], -v[50:51]
	v_fmac_f64_e32 v[40:41], v[36:37], v[38:39]
	s_cbranch_vccnz .LBB95_45
; %bb.44:                               ;   in Loop: Header=BB95_41 Depth=1
	s_delay_alu instid0(VALU_DEP_2) | instskip(NEXT) | instid1(VALU_DEP_2)
	v_mul_f64_e32 v[38:39], s[10:11], v[34:35]
	v_mul_f64_e32 v[36:37], s[10:11], v[40:41]
	s_delay_alu instid0(VALU_DEP_2) | instskip(NEXT) | instid1(VALU_DEP_2)
	v_fmac_f64_e32 v[38:39], s[8:9], v[40:41]
	v_fma_f64 v[34:35], s[8:9], v[34:35], -v[36:37]
	s_delay_alu instid0(VALU_DEP_2)
	v_mov_b64_e32 v[40:41], v[38:39]
.LBB95_45:                              ;   in Loop: Header=BB95_41 Depth=1
	s_wait_loadcnt 0x0
	v_mul_f64_e32 v[36:37], v[28:29], v[32:33]
	v_mul_f64_e32 v[32:33], v[26:27], v[32:33]
	s_and_not1_b32 vcc_lo, exec_lo, s4
	s_delay_alu instid0(VALU_DEP_2) | instskip(NEXT) | instid1(VALU_DEP_2)
	v_fma_f64 v[26:27], v[26:27], v[30:31], -v[36:37]
	v_fmac_f64_e32 v[32:33], v[28:29], v[30:31]
	s_cbranch_vccnz .LBB95_47
; %bb.46:                               ;   in Loop: Header=BB95_41 Depth=1
	s_delay_alu instid0(VALU_DEP_2) | instskip(NEXT) | instid1(VALU_DEP_2)
	v_mul_f64_e32 v[30:31], s[10:11], v[26:27]
	v_mul_f64_e32 v[28:29], s[10:11], v[32:33]
	s_delay_alu instid0(VALU_DEP_2) | instskip(NEXT) | instid1(VALU_DEP_2)
	v_fmac_f64_e32 v[30:31], s[8:9], v[32:33]
	v_fma_f64 v[26:27], s[8:9], v[26:27], -v[28:29]
	s_delay_alu instid0(VALU_DEP_2)
	v_mov_b64_e32 v[32:33], v[30:31]
.LBB95_47:                              ;   in Loop: Header=BB95_41 Depth=1
	v_mul_f64_e32 v[28:29], v[20:21], v[24:25]
	v_mul_f64_e32 v[24:25], v[18:19], v[24:25]
	s_and_not1_b32 vcc_lo, exec_lo, s4
	s_delay_alu instid0(VALU_DEP_2) | instskip(NEXT) | instid1(VALU_DEP_2)
	v_fma_f64 v[18:19], v[18:19], v[22:23], -v[28:29]
	v_fmac_f64_e32 v[24:25], v[20:21], v[22:23]
	s_cbranch_vccnz .LBB95_40
; %bb.48:                               ;   in Loop: Header=BB95_41 Depth=1
	s_delay_alu instid0(VALU_DEP_2) | instskip(NEXT) | instid1(VALU_DEP_2)
	v_mul_f64_e32 v[22:23], s[10:11], v[18:19]
	v_mul_f64_e32 v[20:21], s[10:11], v[24:25]
	s_delay_alu instid0(VALU_DEP_2) | instskip(NEXT) | instid1(VALU_DEP_2)
	v_fmac_f64_e32 v[22:23], s[8:9], v[24:25]
	v_fma_f64 v[18:19], s[8:9], v[18:19], -v[20:21]
	s_delay_alu instid0(VALU_DEP_2)
	v_mov_b64_e32 v[24:25], v[22:23]
	s_branch .LBB95_40
.LBB95_49:
	s_endpgm
	.section	.rodata,"a",@progbits
	.p2align	6, 0x0
	.amdhsa_kernel _ZN2at6native12_GLOBAL__N_125multi_tensor_apply_kernelINS1_28TensorListScalarListMetadataIN3c107complexIdEELi4EEENS1_28PointwiseOpScalarListFunctorIS6_Li4ELi3ELi3EEEJSt10multipliesIS6_EEEEvT_T0_DpT1_
		.amdhsa_group_segment_fixed_size 0
		.amdhsa_private_segment_fixed_size 0
		.amdhsa_kernarg_size 3880
		.amdhsa_user_sgpr_count 2
		.amdhsa_user_sgpr_dispatch_ptr 0
		.amdhsa_user_sgpr_queue_ptr 0
		.amdhsa_user_sgpr_kernarg_segment_ptr 1
		.amdhsa_user_sgpr_dispatch_id 0
		.amdhsa_user_sgpr_kernarg_preload_length 0
		.amdhsa_user_sgpr_kernarg_preload_offset 0
		.amdhsa_user_sgpr_private_segment_size 0
		.amdhsa_wavefront_size32 1
		.amdhsa_uses_dynamic_stack 0
		.amdhsa_enable_private_segment 0
		.amdhsa_system_sgpr_workgroup_id_x 1
		.amdhsa_system_sgpr_workgroup_id_y 0
		.amdhsa_system_sgpr_workgroup_id_z 0
		.amdhsa_system_sgpr_workgroup_info 0
		.amdhsa_system_vgpr_workitem_id 0
		.amdhsa_next_free_vgpr 62
		.amdhsa_next_free_sgpr 32
		.amdhsa_named_barrier_count 0
		.amdhsa_reserve_vcc 1
		.amdhsa_float_round_mode_32 0
		.amdhsa_float_round_mode_16_64 0
		.amdhsa_float_denorm_mode_32 3
		.amdhsa_float_denorm_mode_16_64 3
		.amdhsa_fp16_overflow 0
		.amdhsa_memory_ordered 1
		.amdhsa_forward_progress 1
		.amdhsa_inst_pref_size 17
		.amdhsa_round_robin_scheduling 0
		.amdhsa_exception_fp_ieee_invalid_op 0
		.amdhsa_exception_fp_denorm_src 0
		.amdhsa_exception_fp_ieee_div_zero 0
		.amdhsa_exception_fp_ieee_overflow 0
		.amdhsa_exception_fp_ieee_underflow 0
		.amdhsa_exception_fp_ieee_inexact 0
		.amdhsa_exception_int_div_zero 0
	.end_amdhsa_kernel
	.section	.text._ZN2at6native12_GLOBAL__N_125multi_tensor_apply_kernelINS1_28TensorListScalarListMetadataIN3c107complexIdEELi4EEENS1_28PointwiseOpScalarListFunctorIS6_Li4ELi3ELi3EEEJSt10multipliesIS6_EEEEvT_T0_DpT1_,"axG",@progbits,_ZN2at6native12_GLOBAL__N_125multi_tensor_apply_kernelINS1_28TensorListScalarListMetadataIN3c107complexIdEELi4EEENS1_28PointwiseOpScalarListFunctorIS6_Li4ELi3ELi3EEEJSt10multipliesIS6_EEEEvT_T0_DpT1_,comdat
.Lfunc_end95:
	.size	_ZN2at6native12_GLOBAL__N_125multi_tensor_apply_kernelINS1_28TensorListScalarListMetadataIN3c107complexIdEELi4EEENS1_28PointwiseOpScalarListFunctorIS6_Li4ELi3ELi3EEEJSt10multipliesIS6_EEEEvT_T0_DpT1_, .Lfunc_end95-_ZN2at6native12_GLOBAL__N_125multi_tensor_apply_kernelINS1_28TensorListScalarListMetadataIN3c107complexIdEELi4EEENS1_28PointwiseOpScalarListFunctorIS6_Li4ELi3ELi3EEEJSt10multipliesIS6_EEEEvT_T0_DpT1_
                                        ; -- End function
	.set _ZN2at6native12_GLOBAL__N_125multi_tensor_apply_kernelINS1_28TensorListScalarListMetadataIN3c107complexIdEELi4EEENS1_28PointwiseOpScalarListFunctorIS6_Li4ELi3ELi3EEEJSt10multipliesIS6_EEEEvT_T0_DpT1_.num_vgpr, 62
	.set _ZN2at6native12_GLOBAL__N_125multi_tensor_apply_kernelINS1_28TensorListScalarListMetadataIN3c107complexIdEELi4EEENS1_28PointwiseOpScalarListFunctorIS6_Li4ELi3ELi3EEEJSt10multipliesIS6_EEEEvT_T0_DpT1_.num_agpr, 0
	.set _ZN2at6native12_GLOBAL__N_125multi_tensor_apply_kernelINS1_28TensorListScalarListMetadataIN3c107complexIdEELi4EEENS1_28PointwiseOpScalarListFunctorIS6_Li4ELi3ELi3EEEJSt10multipliesIS6_EEEEvT_T0_DpT1_.numbered_sgpr, 32
	.set _ZN2at6native12_GLOBAL__N_125multi_tensor_apply_kernelINS1_28TensorListScalarListMetadataIN3c107complexIdEELi4EEENS1_28PointwiseOpScalarListFunctorIS6_Li4ELi3ELi3EEEJSt10multipliesIS6_EEEEvT_T0_DpT1_.num_named_barrier, 0
	.set _ZN2at6native12_GLOBAL__N_125multi_tensor_apply_kernelINS1_28TensorListScalarListMetadataIN3c107complexIdEELi4EEENS1_28PointwiseOpScalarListFunctorIS6_Li4ELi3ELi3EEEJSt10multipliesIS6_EEEEvT_T0_DpT1_.private_seg_size, 0
	.set _ZN2at6native12_GLOBAL__N_125multi_tensor_apply_kernelINS1_28TensorListScalarListMetadataIN3c107complexIdEELi4EEENS1_28PointwiseOpScalarListFunctorIS6_Li4ELi3ELi3EEEJSt10multipliesIS6_EEEEvT_T0_DpT1_.uses_vcc, 1
	.set _ZN2at6native12_GLOBAL__N_125multi_tensor_apply_kernelINS1_28TensorListScalarListMetadataIN3c107complexIdEELi4EEENS1_28PointwiseOpScalarListFunctorIS6_Li4ELi3ELi3EEEJSt10multipliesIS6_EEEEvT_T0_DpT1_.uses_flat_scratch, 0
	.set _ZN2at6native12_GLOBAL__N_125multi_tensor_apply_kernelINS1_28TensorListScalarListMetadataIN3c107complexIdEELi4EEENS1_28PointwiseOpScalarListFunctorIS6_Li4ELi3ELi3EEEJSt10multipliesIS6_EEEEvT_T0_DpT1_.has_dyn_sized_stack, 0
	.set _ZN2at6native12_GLOBAL__N_125multi_tensor_apply_kernelINS1_28TensorListScalarListMetadataIN3c107complexIdEELi4EEENS1_28PointwiseOpScalarListFunctorIS6_Li4ELi3ELi3EEEJSt10multipliesIS6_EEEEvT_T0_DpT1_.has_recursion, 0
	.set _ZN2at6native12_GLOBAL__N_125multi_tensor_apply_kernelINS1_28TensorListScalarListMetadataIN3c107complexIdEELi4EEENS1_28PointwiseOpScalarListFunctorIS6_Li4ELi3ELi3EEEJSt10multipliesIS6_EEEEvT_T0_DpT1_.has_indirect_call, 0
	.section	.AMDGPU.csdata,"",@progbits
; Kernel info:
; codeLenInByte = 2176
; TotalNumSgprs: 34
; NumVgprs: 62
; ScratchSize: 0
; MemoryBound: 1
; FloatMode: 240
; IeeeMode: 1
; LDSByteSize: 0 bytes/workgroup (compile time only)
; SGPRBlocks: 0
; VGPRBlocks: 3
; NumSGPRsForWavesPerEU: 34
; NumVGPRsForWavesPerEU: 62
; NamedBarCnt: 0
; Occupancy: 16
; WaveLimiterHint : 0
; COMPUTE_PGM_RSRC2:SCRATCH_EN: 0
; COMPUTE_PGM_RSRC2:USER_SGPR: 2
; COMPUTE_PGM_RSRC2:TRAP_HANDLER: 0
; COMPUTE_PGM_RSRC2:TGID_X_EN: 1
; COMPUTE_PGM_RSRC2:TGID_Y_EN: 0
; COMPUTE_PGM_RSRC2:TGID_Z_EN: 0
; COMPUTE_PGM_RSRC2:TIDIG_COMP_CNT: 0
	.section	.text._ZN2at6native12_GLOBAL__N_125multi_tensor_apply_kernelINS1_28TensorListScalarListMetadataIN3c107complexIfEELi4EEENS1_28PointwiseOpScalarListFunctorIS6_Li4ELi3ELi3EEEJSt10multipliesIS6_EEEEvT_T0_DpT1_,"axG",@progbits,_ZN2at6native12_GLOBAL__N_125multi_tensor_apply_kernelINS1_28TensorListScalarListMetadataIN3c107complexIfEELi4EEENS1_28PointwiseOpScalarListFunctorIS6_Li4ELi3ELi3EEEJSt10multipliesIS6_EEEEvT_T0_DpT1_,comdat
	.globl	_ZN2at6native12_GLOBAL__N_125multi_tensor_apply_kernelINS1_28TensorListScalarListMetadataIN3c107complexIfEELi4EEENS1_28PointwiseOpScalarListFunctorIS6_Li4ELi3ELi3EEEJSt10multipliesIS6_EEEEvT_T0_DpT1_ ; -- Begin function _ZN2at6native12_GLOBAL__N_125multi_tensor_apply_kernelINS1_28TensorListScalarListMetadataIN3c107complexIfEELi4EEENS1_28PointwiseOpScalarListFunctorIS6_Li4ELi3ELi3EEEJSt10multipliesIS6_EEEEvT_T0_DpT1_
	.p2align	8
	.type	_ZN2at6native12_GLOBAL__N_125multi_tensor_apply_kernelINS1_28TensorListScalarListMetadataIN3c107complexIfEELi4EEENS1_28PointwiseOpScalarListFunctorIS6_Li4ELi3ELi3EEEJSt10multipliesIS6_EEEEvT_T0_DpT1_,@function
_ZN2at6native12_GLOBAL__N_125multi_tensor_apply_kernelINS1_28TensorListScalarListMetadataIN3c107complexIfEELi4EEENS1_28PointwiseOpScalarListFunctorIS6_Li4ELi3ELi3EEEJSt10multipliesIS6_EEEEvT_T0_DpT1_: ; @_ZN2at6native12_GLOBAL__N_125multi_tensor_apply_kernelINS1_28TensorListScalarListMetadataIN3c107complexIfEELi4EEENS1_28PointwiseOpScalarListFunctorIS6_Li4ELi3ELi3EEEJSt10multipliesIS6_EEEEvT_T0_DpT1_
; %bb.0:
	s_bfe_u32 s2, ttmp6, 0x4000c
	s_and_b32 s3, ttmp6, 15
	s_add_co_i32 s2, s2, 1
	s_getreg_b32 s4, hwreg(HW_REG_IB_STS2, 6, 4)
	s_mul_i32 s2, ttmp9, s2
	s_delay_alu instid0(SALU_CYCLE_1)
	s_add_co_i32 s3, s3, s2
	s_cmp_eq_u32 s4, 0
	s_cselect_b32 s2, ttmp9, s3
	s_mov_b32 s3, 0
	s_load_u8 s8, s[0:1], s2 offset:0x6c0
	s_add_nc_u64 s[4:5], s[0:1], s[2:3]
	s_mul_u64 s[6:7], s[2:3], 3
	s_delay_alu instid0(SALU_CYCLE_1)
	s_add_nc_u64 s[6:7], s[4:5], s[6:7]
	s_load_b32 s18, s[6:7], 0x800
	s_wait_kmcnt 0x0
	s_clause 0x5
	s_load_b64 s[4:5], s[0:1], s8 offset:0x240 scale_offset
	s_load_b64 s[22:23], s[0:1], s8 offset:0x360 scale_offset
	s_load_b64 s[24:25], s[0:1], s8 offset:0x120 scale_offset
	s_load_b64 s[26:27], s[0:1], s8 offset:0x0 scale_offset
	s_load_b64 s[20:21], s[0:1], s8 offset:0x480 scale_offset
	s_load_b64 s[14:15], s[0:1], s8 offset:0x5a0 scale_offset
	s_ashr_i32 s19, s18, 31
	s_delay_alu instid0(SALU_CYCLE_1)
	s_lshl_b64 s[16:17], s[18:19], 19
	s_wait_kmcnt 0x0
	s_add_nc_u64 s[6:7], s[4:5], s[16:17]
	s_add_nc_u64 s[8:9], s[22:23], s[16:17]
	;; [unrolled: 1-line block ×3, first 2 shown]
	s_or_b32 s2, s8, s6
	s_delay_alu instid0(SALU_CYCLE_1)
	s_and_b32 s12, s2, 31
	s_and_b32 s2, s10, 31
	s_cmp_eq_u32 s12, 0
	s_add_nc_u64 s[12:13], s[26:27], s[16:17]
	s_cselect_b32 s30, -1, 0
	s_and_b64 s[28:29], s[12:13], 31
	s_cmp_eq_u64 s[2:3], 0
	s_cselect_b32 s31, -1, 0
	s_and_b32 s2, s20, 3
	s_and_b32 s30, s30, s31
	s_or_b64 s[2:3], s[28:29], s[2:3]
	s_lshl_b64 s[18:19], s[18:19], 16
	s_cmp_eq_u64 s[2:3], 0
	s_sub_nc_u64 s[18:19], s[20:21], s[18:19]
	s_cselect_b32 s2, -1, 0
	s_delay_alu instid0(SALU_CYCLE_1) | instskip(NEXT) | instid1(SALU_CYCLE_1)
	s_and_b32 s2, s30, s2
	s_and_b32 vcc_lo, exec_lo, s2
	s_mov_b32 s2, -1
	s_cbranch_vccnz .LBB96_29
; %bb.1:
	v_cmp_lt_i64_e64 s2, s[18:19], 1
	s_and_b32 vcc_lo, exec_lo, s2
	s_cbranch_vccnz .LBB96_28
; %bb.2:
	s_load_b32 s2, s[0:1], 0xd14
	v_min_i64 v[2:3], 0x10000, s[18:19]
	v_min_u64 v[4:5], 0x10000, s[18:19]
	v_dual_mov_b32 v1, 0 :: v_dual_lshlrev_b32 v18, 3, v0
	s_and_b32 s20, s15, 0x7fffffff
	s_mov_b32 s29, 0
	s_delay_alu instid0(VALU_DEP_1) | instskip(SKIP_3) | instid1(VALU_DEP_1)
	v_dual_mov_b32 v19, v1 :: v_dual_mov_b32 v43, v1
	s_mov_b32 s3, s29
	s_mov_b32 s35, s29
	;; [unrolled: 1-line block ×3, first 2 shown]
	v_add_nc_u64_e32 v[6:7], s[26:27], v[18:19]
	v_add_nc_u64_e32 v[8:9], s[24:25], v[18:19]
	;; [unrolled: 1-line block ×4, first 2 shown]
	s_mov_b32 s21, s29
	s_wait_kmcnt 0x0
	s_and_b32 s28, s2, 0xffff
	s_delay_alu instid0(SALU_CYCLE_1)
	s_lshl_b32 s30, s28, 1
	s_cmp_eq_u32 s20, 0
	v_add_nc_u64_e32 v[12:13], s[28:29], v[0:1]
	s_cselect_b32 s33, -1, 0
	s_cmp_eq_f32 s14, 1.0
	s_mul_i32 s2, s28, 3
	v_mad_nc_u64_u32 v[24:25], s28, 24, v[18:19]
	v_add_nc_u64_e32 v[16:17], s[2:3], v[0:1]
	s_cselect_b32 s2, -1, 0
	s_lshl_b32 s34, s28, 4
	v_lshlrev_b32_e32 v42, 3, v12
	v_add_nc_u64_e32 v[32:33], s[34:35], v[18:19]
	v_add_nc_u64_e32 v[34:35], s[30:31], v[0:1]
	s_lshl_b32 s20, s28, 2
	s_and_b32 s2, s2, s33
	v_add_nc_u64_e32 v[36:37], s[26:27], v[42:43]
	v_add_nc_u64_e32 v[38:39], s[24:25], v[42:43]
	;; [unrolled: 1-line block ×12, first 2 shown]
	s_mov_b32 s22, s15
	s_mov_b32 s23, s14
	s_lshl_b32 s24, s28, 5
	s_mov_b32 s25, s29
	s_mov_b64 s[26:27], 0
	s_branch .LBB96_4
.LBB96_3:                               ;   in Loop: Header=BB96_4 Depth=1
	s_wait_xcnt 0x0
	s_or_b32 exec_lo, exec_lo, s3
	s_add_nc_u64 s[26:27], s[26:27], s[20:21]
	v_add_nc_u64_e32 v[6:7], s[24:25], v[6:7]
	v_cmp_lt_i64_e32 vcc_lo, s[26:27], v[2:3]
	v_add_nc_u64_e32 v[8:9], s[24:25], v[8:9]
	v_add_nc_u64_e32 v[10:11], s[24:25], v[10:11]
	;; [unrolled: 1-line block ×15, first 2 shown]
	s_cbranch_vccz .LBB96_28
.LBB96_4:                               ; =>This Inner Loop Header: Depth=1
	s_wait_loadcnt 0x1
	v_add_nc_u64_e32 v[44:45], s[26:27], v[0:1]
	s_wait_loadcnt 0x0
	v_dual_mov_b32 v49, 0 :: v_dual_mov_b32 v48, 0
	s_delay_alu instid0(VALU_DEP_2)
	v_cmp_lt_u64_e32 vcc_lo, v[44:45], v[4:5]
	v_dual_mov_b32 v44, 0 :: v_dual_mov_b32 v45, 0
	s_and_saveexec_b32 s3, vcc_lo
	s_cbranch_execz .LBB96_6
; %bb.5:                                ;   in Loop: Header=BB96_4 Depth=1
	v_add_nc_u64_e32 v[46:47], s[16:17], v[6:7]
	v_add_nc_u64_e32 v[50:51], s[16:17], v[8:9]
	global_load_b64 v[44:45], v[46:47], off
	global_load_b64 v[48:49], v[50:51], off
.LBB96_6:                               ;   in Loop: Header=BB96_4 Depth=1
	s_wait_xcnt 0x0
	s_or_b32 exec_lo, exec_lo, s3
	v_dual_mov_b32 v47, 0 :: v_dual_mov_b32 v58, 0
	v_mov_b32_e32 v59, 0
	s_and_saveexec_b32 s3, vcc_lo
	s_cbranch_execz .LBB96_8
; %bb.7:                                ;   in Loop: Header=BB96_4 Depth=1
	v_add_nc_u64_e32 v[50:51], s[16:17], v[10:11]
	global_load_b64 v[58:59], v[50:51], off
.LBB96_8:                               ;   in Loop: Header=BB96_4 Depth=1
	s_wait_xcnt 0x0
	s_or_b32 exec_lo, exec_lo, s3
	v_add_nc_u64_e32 v[50:51], s[26:27], v[12:13]
	v_mov_b32_e32 v46, 0
	s_delay_alu instid0(VALU_DEP_2)
	v_cmp_lt_u64_e64 s3, v[50:51], v[4:5]
	v_dual_mov_b32 v50, 0 :: v_dual_mov_b32 v51, 0
	s_and_saveexec_b32 s4, s3
	s_cbranch_execz .LBB96_10
; %bb.9:                                ;   in Loop: Header=BB96_4 Depth=1
	v_add_nc_u64_e32 v[52:53], s[16:17], v[36:37]
	v_add_nc_u64_e32 v[54:55], s[16:17], v[38:39]
	global_load_b64 v[50:51], v[52:53], off
	global_load_b64 v[46:47], v[54:55], off
.LBB96_10:                              ;   in Loop: Header=BB96_4 Depth=1
	s_wait_xcnt 0x0
	s_or_b32 exec_lo, exec_lo, s4
	v_dual_mov_b32 v53, 0 :: v_dual_mov_b32 v62, 0
	v_mov_b32_e32 v63, 0
	s_and_saveexec_b32 s4, s3
	s_cbranch_execz .LBB96_12
; %bb.11:                               ;   in Loop: Header=BB96_4 Depth=1
	v_add_nc_u64_e32 v[54:55], s[16:17], v[40:41]
	global_load_b64 v[62:63], v[54:55], off
.LBB96_12:                              ;   in Loop: Header=BB96_4 Depth=1
	s_wait_xcnt 0x0
	s_or_b32 exec_lo, exec_lo, s4
	v_add_nc_u64_e32 v[54:55], s[26:27], v[34:35]
	v_mov_b32_e32 v52, 0
	s_delay_alu instid0(VALU_DEP_2)
	v_cmp_lt_u64_e64 s4, v[54:55], v[4:5]
	v_dual_mov_b32 v54, 0 :: v_dual_mov_b32 v55, 0
	s_and_saveexec_b32 s5, s4
	s_cbranch_execz .LBB96_14
; %bb.13:                               ;   in Loop: Header=BB96_4 Depth=1
	v_add_nc_u64_e32 v[56:57], s[16:17], v[26:27]
	v_add_nc_u64_e32 v[60:61], s[16:17], v[28:29]
	global_load_b64 v[54:55], v[56:57], off
	global_load_b64 v[52:53], v[60:61], off
.LBB96_14:                              ;   in Loop: Header=BB96_4 Depth=1
	s_wait_xcnt 0x0
	s_or_b32 exec_lo, exec_lo, s5
	v_dual_mov_b32 v57, 0 :: v_dual_mov_b32 v64, 0
	v_mov_b32_e32 v65, 0
	s_and_saveexec_b32 s5, s4
	s_cbranch_execz .LBB96_16
; %bb.15:                               ;   in Loop: Header=BB96_4 Depth=1
	v_add_nc_u64_e32 v[60:61], s[16:17], v[30:31]
	global_load_b64 v[64:65], v[60:61], off
.LBB96_16:                              ;   in Loop: Header=BB96_4 Depth=1
	s_wait_xcnt 0x0
	s_or_b32 exec_lo, exec_lo, s5
	v_add_nc_u64_e32 v[60:61], s[26:27], v[16:17]
	v_mov_b32_e32 v56, 0
	s_delay_alu instid0(VALU_DEP_2)
	v_cmp_lt_u64_e64 s5, v[60:61], v[4:5]
	v_dual_mov_b32 v60, 0 :: v_dual_mov_b32 v61, 0
	s_and_saveexec_b32 s28, s5
	s_cbranch_execz .LBB96_18
; %bb.17:                               ;   in Loop: Header=BB96_4 Depth=1
	v_add_nc_u64_e32 v[66:67], s[16:17], v[18:19]
	v_add_nc_u64_e32 v[68:69], s[16:17], v[20:21]
	global_load_b64 v[60:61], v[66:67], off
	global_load_b64 v[56:57], v[68:69], off
.LBB96_18:                              ;   in Loop: Header=BB96_4 Depth=1
	s_wait_xcnt 0x0
	s_or_b32 exec_lo, exec_lo, s28
	v_dual_mov_b32 v66, 0 :: v_dual_mov_b32 v67, 0
	s_and_saveexec_b32 s28, s5
	s_cbranch_execnz .LBB96_23
; %bb.19:                               ;   in Loop: Header=BB96_4 Depth=1
	s_or_b32 exec_lo, exec_lo, s28
	s_and_saveexec_b32 s28, vcc_lo
	s_cbranch_execnz .LBB96_24
.LBB96_20:                              ;   in Loop: Header=BB96_4 Depth=1
	s_or_b32 exec_lo, exec_lo, s28
	s_and_saveexec_b32 s28, s3
	s_cbranch_execnz .LBB96_25
.LBB96_21:                              ;   in Loop: Header=BB96_4 Depth=1
	s_or_b32 exec_lo, exec_lo, s28
	s_and_saveexec_b32 s3, s4
	s_cbranch_execnz .LBB96_26
.LBB96_22:                              ;   in Loop: Header=BB96_4 Depth=1
	s_or_b32 exec_lo, exec_lo, s3
	s_and_saveexec_b32 s3, s5
	s_cbranch_execz .LBB96_3
	s_branch .LBB96_27
.LBB96_23:                              ;   in Loop: Header=BB96_4 Depth=1
	v_add_nc_u64_e32 v[66:67], s[16:17], v[22:23]
	global_load_b64 v[66:67], v[66:67], off
	s_wait_xcnt 0x0
	s_or_b32 exec_lo, exec_lo, s28
	s_and_saveexec_b32 s28, vcc_lo
	s_cbranch_execz .LBB96_20
.LBB96_24:                              ;   in Loop: Header=BB96_4 Depth=1
	s_wait_loadcnt 0x0
	v_dual_mov_b32 v68, v49 :: v_dual_mov_b32 v70, v59
	v_mov_b32_e32 v71, v58
	v_mov_b64_e32 v[74:75], s[14:15]
	s_delay_alu instid0(VALU_DEP_2) | instskip(SKIP_1) | instid1(VALU_DEP_2)
	v_pk_mul_f32 v[68:69], v[68:69], v[70:71] op_sel_hi:[0,1]
	v_mov_b64_e32 v[70:71], s[22:23]
	v_pk_fma_f32 v[72:73], v[48:49], v[58:59], v[68:69] op_sel_hi:[0,1,1]
	v_pk_fma_f32 v[48:49], v[48:49], v[58:59], v[68:69] op_sel_hi:[0,1,1] neg_lo:[0,0,1] neg_hi:[0,0,1]
	s_delay_alu instid0(VALU_DEP_2) | instskip(NEXT) | instid1(VALU_DEP_1)
	v_pk_mul_f32 v[58:59], v[72:73], v[70:71] op_sel:[1,0]
	v_pk_fma_f32 v[68:69], v[48:49], v[74:75], v[58:59] op_sel_hi:[0,1,1]
	v_pk_fma_f32 v[58:59], v[48:49], v[74:75], v[58:59] neg_lo:[0,0,1] neg_hi:[0,0,1]
	s_delay_alu instid0(VALU_DEP_1) | instskip(SKIP_1) | instid1(VALU_DEP_2)
	v_dual_cndmask_b32 v49, v69, v73, s2 :: v_dual_cndmask_b32 v48, v58, v48, s2
	v_add_nc_u64_e32 v[58:59], s[16:17], v[14:15]
	v_pk_add_f32 v[44:45], v[44:45], v[48:49]
	global_store_b64 v[58:59], v[44:45], off
	s_wait_xcnt 0x0
	s_or_b32 exec_lo, exec_lo, s28
	s_and_saveexec_b32 s28, s3
	s_cbranch_execz .LBB96_21
.LBB96_25:                              ;   in Loop: Header=BB96_4 Depth=1
	s_wait_loadcnt 0x0
	v_dual_mov_b32 v44, v47 :: v_dual_mov_b32 v48, v63
	v_mov_b32_e32 v49, v62
	v_mov_b64_e32 v[68:69], s[14:15]
	s_delay_alu instid0(VALU_DEP_2) | instskip(SKIP_1) | instid1(VALU_DEP_2)
	v_pk_mul_f32 v[44:45], v[44:45], v[48:49] op_sel_hi:[0,1]
	v_mov_b64_e32 v[48:49], s[22:23]
	v_pk_fma_f32 v[58:59], v[46:47], v[62:63], v[44:45] op_sel_hi:[0,1,1]
	v_pk_fma_f32 v[44:45], v[46:47], v[62:63], v[44:45] op_sel_hi:[0,1,1] neg_lo:[0,0,1] neg_hi:[0,0,1]
	s_delay_alu instid0(VALU_DEP_2) | instskip(NEXT) | instid1(VALU_DEP_1)
	v_pk_mul_f32 v[46:47], v[58:59], v[48:49] op_sel:[1,0]
	v_pk_fma_f32 v[48:49], v[44:45], v[68:69], v[46:47] op_sel_hi:[0,1,1]
	v_pk_fma_f32 v[46:47], v[44:45], v[68:69], v[46:47] neg_lo:[0,0,1] neg_hi:[0,0,1]
	s_delay_alu instid0(VALU_DEP_1) | instskip(SKIP_1) | instid1(VALU_DEP_2)
	v_dual_cndmask_b32 v45, v49, v59, s2 :: v_dual_cndmask_b32 v44, v46, v44, s2
	v_add_nc_u64_e32 v[46:47], s[16:17], v[42:43]
	v_pk_add_f32 v[44:45], v[50:51], v[44:45]
	global_store_b64 v[46:47], v[44:45], off
	s_wait_xcnt 0x0
	s_or_b32 exec_lo, exec_lo, s28
	s_and_saveexec_b32 s3, s4
	s_cbranch_execz .LBB96_22
.LBB96_26:                              ;   in Loop: Header=BB96_4 Depth=1
	s_wait_loadcnt 0x0
	v_dual_mov_b32 v44, v53 :: v_dual_mov_b32 v46, v65
	v_mov_b32_e32 v47, v64
	v_mov_b64_e32 v[50:51], s[14:15]
	s_delay_alu instid0(VALU_DEP_2) | instskip(SKIP_1) | instid1(VALU_DEP_2)
	v_pk_mul_f32 v[44:45], v[44:45], v[46:47] op_sel_hi:[0,1]
	v_mov_b64_e32 v[46:47], s[22:23]
	v_pk_fma_f32 v[48:49], v[52:53], v[64:65], v[44:45] op_sel_hi:[0,1,1]
	v_pk_fma_f32 v[44:45], v[52:53], v[64:65], v[44:45] op_sel_hi:[0,1,1] neg_lo:[0,0,1] neg_hi:[0,0,1]
	s_delay_alu instid0(VALU_DEP_2) | instskip(NEXT) | instid1(VALU_DEP_1)
	v_pk_mul_f32 v[46:47], v[48:49], v[46:47] op_sel:[1,0]
	v_pk_fma_f32 v[52:53], v[44:45], v[50:51], v[46:47] op_sel_hi:[0,1,1]
	v_pk_fma_f32 v[46:47], v[44:45], v[50:51], v[46:47] neg_lo:[0,0,1] neg_hi:[0,0,1]
	s_delay_alu instid0(VALU_DEP_1) | instskip(SKIP_1) | instid1(VALU_DEP_2)
	v_dual_cndmask_b32 v45, v53, v49, s2 :: v_dual_cndmask_b32 v44, v46, v44, s2
	v_add_nc_u64_e32 v[46:47], s[16:17], v[32:33]
	v_pk_add_f32 v[44:45], v[54:55], v[44:45]
	global_store_b64 v[46:47], v[44:45], off
	s_wait_xcnt 0x0
	s_or_b32 exec_lo, exec_lo, s3
	s_and_saveexec_b32 s3, s5
	s_cbranch_execz .LBB96_3
.LBB96_27:                              ;   in Loop: Header=BB96_4 Depth=1
	s_wait_loadcnt 0x0
	v_dual_mov_b32 v44, v57 :: v_dual_mov_b32 v46, v67
	v_mov_b32_e32 v47, v66
	v_mov_b64_e32 v[50:51], s[14:15]
	s_delay_alu instid0(VALU_DEP_2) | instskip(SKIP_1) | instid1(VALU_DEP_2)
	v_pk_mul_f32 v[44:45], v[44:45], v[46:47] op_sel_hi:[0,1]
	v_mov_b64_e32 v[46:47], s[22:23]
	v_pk_fma_f32 v[48:49], v[56:57], v[66:67], v[44:45] op_sel_hi:[0,1,1]
	v_pk_fma_f32 v[44:45], v[56:57], v[66:67], v[44:45] op_sel_hi:[0,1,1] neg_lo:[0,0,1] neg_hi:[0,0,1]
	s_delay_alu instid0(VALU_DEP_2) | instskip(NEXT) | instid1(VALU_DEP_1)
	v_pk_mul_f32 v[46:47], v[48:49], v[46:47] op_sel:[1,0]
	v_pk_fma_f32 v[52:53], v[44:45], v[50:51], v[46:47] op_sel_hi:[0,1,1]
	v_pk_fma_f32 v[46:47], v[44:45], v[50:51], v[46:47] neg_lo:[0,0,1] neg_hi:[0,0,1]
	s_delay_alu instid0(VALU_DEP_1) | instskip(SKIP_1) | instid1(VALU_DEP_2)
	v_dual_cndmask_b32 v45, v53, v49, s2 :: v_dual_cndmask_b32 v44, v46, v44, s2
	v_add_nc_u64_e32 v[46:47], s[16:17], v[24:25]
	v_pk_add_f32 v[44:45], v[60:61], v[44:45]
	global_store_b64 v[46:47], v[44:45], off
	s_branch .LBB96_3
.LBB96_28:
	s_mov_b32 s2, 0
.LBB96_29:
	s_delay_alu instid0(SALU_CYCLE_1)
	s_and_not1_b32 vcc_lo, exec_lo, s2
	s_cbranch_vccnz .LBB96_33
; %bb.30:
	v_min_i64 v[2:3], 0x10000, s[18:19]
	v_dual_mov_b32 v5, 0 :: v_dual_lshlrev_b32 v4, 2, v0
	s_mov_b32 s2, exec_lo
	s_delay_alu instid0(VALU_DEP_1)
	v_cmpx_lt_i64_e64 v[4:5], v[2:3]
	s_cbranch_execz .LBB96_33
; %bb.31:
	s_load_b32 s2, s[0:1], 0xd14
	s_cmp_eq_f32 s14, 1.0
	s_wait_xcnt 0x0
	s_mov_b32 s0, s15
	s_mov_b32 s1, s14
	v_mov_b64_e32 v[6:7], s[14:15]
	s_cselect_b32 s4, -1, 0
	s_and_b32 s14, s15, 0x7fffffff
	v_mov_b64_e32 v[8:9], s[0:1]
	s_cmp_eq_u32 s14, 0
	v_dual_mov_b32 v1, v5 :: v_dual_lshlrev_b32 v4, 5, v0
	s_mov_b32 s3, 0
	s_cselect_b32 s0, -1, 0
	s_mov_b32 s5, s3
	s_and_b32 vcc_lo, s4, s0
	s_mov_b32 s1, s3
	s_wait_kmcnt 0x0
	s_and_b32 s2, s2, 0xffff
	s_delay_alu instid0(SALU_CYCLE_1)
	s_lshl_b32 s4, s2, 5
.LBB96_32:                              ; =>This Inner Loop Header: Depth=1
	v_add_nc_u64_e32 v[26:27], s[10:11], v[4:5]
	v_add_nc_u64_e32 v[28:29], s[6:7], v[4:5]
	;; [unrolled: 1-line block ×4, first 2 shown]
	s_add_nc_u64 s[12:13], s[12:13], s[4:5]
	s_add_nc_u64 s[6:7], s[6:7], s[4:5]
	;; [unrolled: 1-line block ×3, first 2 shown]
	global_load_b128 v[10:13], v[26:27], off
	s_clause 0x1
	global_load_b128 v[14:17], v[28:29], off
	global_load_b128 v[18:21], v[28:29], off offset:16
	global_load_b128 v[22:25], v[26:27], off offset:16
	s_clause 0x1
	global_load_b128 v[26:29], v[34:35], off
	global_load_b128 v[30:33], v[34:35], off offset:16
	v_lshlrev_b64_e32 v[36:37], 2, v[0:1]
	s_wait_xcnt 0x0
	v_add_nc_u64_e32 v[34:35], s[8:9], v[4:5]
	s_add_nc_u64 s[8:9], s[8:9], s[4:5]
	s_delay_alu instid0(VALU_DEP_2)
	v_cmp_ge_i64_e64 s0, v[36:37], v[2:3]
	s_or_b32 s1, s0, s1
	s_wait_loadcnt 0x5
	v_dual_mov_b32 v40, v13 :: v_dual_mov_b32 v41, v12
	s_wait_loadcnt 0x4
	v_pk_mul_f32 v[38:39], v[10:11], v[14:15] op_sel:[1,1] op_sel_hi:[0,1]
	s_wait_loadcnt 0x2
	v_dual_mov_b32 v42, v17 :: v_dual_mov_b32 v46, v25
	v_pk_mul_f32 v[44:45], v[22:23], v[18:19] op_sel:[1,1] op_sel_hi:[0,1]
	v_dual_mov_b32 v47, v24 :: v_dual_mov_b32 v48, v21
	v_pk_fma_f32 v[50:51], v[10:11], v[14:15], v[38:39] op_sel_hi:[1,0,1] neg_lo:[0,0,1] neg_hi:[0,0,1]
	v_pk_fma_f32 v[10:11], v[10:11], v[14:15], v[38:39] op_sel_hi:[1,0,1]
	v_pk_mul_f32 v[14:15], v[40:41], v[42:43] op_sel_hi:[1,0]
	v_pk_fma_f32 v[38:39], v[22:23], v[18:19], v[44:45] op_sel_hi:[1,0,1] neg_lo:[0,0,1] neg_hi:[0,0,1]
	v_pk_fma_f32 v[18:19], v[22:23], v[18:19], v[44:45] op_sel_hi:[1,0,1]
	v_pk_mul_f32 v[22:23], v[46:47], v[48:49] op_sel_hi:[1,0]
	v_pk_mul_f32 v[40:41], v[10:11], v[8:9] op_sel:[1,0]
	v_pk_fma_f32 v[42:43], v[12:13], v[16:17], v[14:15] op_sel_hi:[1,0,1] neg_lo:[0,0,1] neg_hi:[0,0,1]
	v_pk_fma_f32 v[12:13], v[12:13], v[16:17], v[14:15] op_sel_hi:[1,0,1]
	v_pk_mul_f32 v[14:15], v[18:19], v[8:9] op_sel:[1,0]
	v_pk_fma_f32 v[16:17], v[24:25], v[20:21], v[22:23] op_sel_hi:[1,0,1] neg_lo:[0,0,1] neg_hi:[0,0,1]
	v_pk_fma_f32 v[20:21], v[24:25], v[20:21], v[22:23] op_sel_hi:[1,0,1]
	v_pk_fma_f32 v[22:23], v[50:51], v[6:7], v[40:41] neg_lo:[0,0,1] neg_hi:[0,0,1]
	v_pk_fma_f32 v[24:25], v[50:51], v[6:7], v[40:41] op_sel_hi:[0,1,1]
	v_pk_mul_f32 v[40:41], v[12:13], v[8:9] op_sel:[1,0]
	v_pk_fma_f32 v[44:45], v[38:39], v[6:7], v[14:15] neg_lo:[0,0,1] neg_hi:[0,0,1]
	v_pk_fma_f32 v[14:15], v[38:39], v[6:7], v[14:15] op_sel_hi:[0,1,1]
	v_pk_mul_f32 v[46:47], v[20:21], v[8:9] op_sel:[1,0]
	v_dual_cndmask_b32 v11, v25, v11 :: v_dual_cndmask_b32 v10, v22, v50
	v_pk_fma_f32 v[22:23], v[42:43], v[6:7], v[40:41] neg_lo:[0,0,1] neg_hi:[0,0,1]
	v_pk_fma_f32 v[24:25], v[42:43], v[6:7], v[40:41] op_sel_hi:[0,1,1]
	v_dual_cndmask_b32 v15, v15, v19 :: v_dual_cndmask_b32 v14, v44, v38
	v_pk_fma_f32 v[18:19], v[16:17], v[6:7], v[46:47] op_sel_hi:[0,1,1]
	v_pk_fma_f32 v[40:41], v[16:17], v[6:7], v[46:47] neg_lo:[0,0,1] neg_hi:[0,0,1]
	s_delay_alu instid0(VALU_DEP_4) | instskip(SKIP_2) | instid1(VALU_DEP_3)
	v_dual_cndmask_b32 v13, v25, v13 :: v_dual_cndmask_b32 v12, v22, v42
	s_wait_loadcnt 0x1
	v_pk_add_f32 v[10:11], v[26:27], v[10:11]
	v_dual_cndmask_b32 v17, v19, v21 :: v_dual_cndmask_b32 v16, v40, v16
	s_wait_loadcnt 0x0
	v_pk_add_f32 v[14:15], v[30:31], v[14:15]
	v_pk_add_f32 v[12:13], v[28:29], v[12:13]
	s_delay_alu instid0(VALU_DEP_3)
	v_pk_add_f32 v[16:17], v[32:33], v[16:17]
	s_clause 0x1
	global_store_b128 v[34:35], v[10:13], off
	global_store_b128 v[34:35], v[14:17], off offset:16
	s_wait_xcnt 0x0
	s_and_not1_b32 exec_lo, exec_lo, s1
	s_cbranch_execnz .LBB96_32
.LBB96_33:
	s_sendmsg sendmsg(MSG_DEALLOC_VGPRS)
	s_endpgm
	.section	.rodata,"a",@progbits
	.p2align	6, 0x0
	.amdhsa_kernel _ZN2at6native12_GLOBAL__N_125multi_tensor_apply_kernelINS1_28TensorListScalarListMetadataIN3c107complexIfEELi4EEENS1_28PointwiseOpScalarListFunctorIS6_Li4ELi3ELi3EEEJSt10multipliesIS6_EEEEvT_T0_DpT1_
		.amdhsa_group_segment_fixed_size 0
		.amdhsa_private_segment_fixed_size 0
		.amdhsa_kernarg_size 3592
		.amdhsa_user_sgpr_count 2
		.amdhsa_user_sgpr_dispatch_ptr 0
		.amdhsa_user_sgpr_queue_ptr 0
		.amdhsa_user_sgpr_kernarg_segment_ptr 1
		.amdhsa_user_sgpr_dispatch_id 0
		.amdhsa_user_sgpr_kernarg_preload_length 0
		.amdhsa_user_sgpr_kernarg_preload_offset 0
		.amdhsa_user_sgpr_private_segment_size 0
		.amdhsa_wavefront_size32 1
		.amdhsa_uses_dynamic_stack 0
		.amdhsa_enable_private_segment 0
		.amdhsa_system_sgpr_workgroup_id_x 1
		.amdhsa_system_sgpr_workgroup_id_y 0
		.amdhsa_system_sgpr_workgroup_id_z 0
		.amdhsa_system_sgpr_workgroup_info 0
		.amdhsa_system_vgpr_workitem_id 0
		.amdhsa_next_free_vgpr 76
		.amdhsa_next_free_sgpr 36
		.amdhsa_named_barrier_count 0
		.amdhsa_reserve_vcc 1
		.amdhsa_float_round_mode_32 0
		.amdhsa_float_round_mode_16_64 0
		.amdhsa_float_denorm_mode_32 3
		.amdhsa_float_denorm_mode_16_64 3
		.amdhsa_fp16_overflow 0
		.amdhsa_memory_ordered 1
		.amdhsa_forward_progress 1
		.amdhsa_inst_pref_size 19
		.amdhsa_round_robin_scheduling 0
		.amdhsa_exception_fp_ieee_invalid_op 0
		.amdhsa_exception_fp_denorm_src 0
		.amdhsa_exception_fp_ieee_div_zero 0
		.amdhsa_exception_fp_ieee_overflow 0
		.amdhsa_exception_fp_ieee_underflow 0
		.amdhsa_exception_fp_ieee_inexact 0
		.amdhsa_exception_int_div_zero 0
	.end_amdhsa_kernel
	.section	.text._ZN2at6native12_GLOBAL__N_125multi_tensor_apply_kernelINS1_28TensorListScalarListMetadataIN3c107complexIfEELi4EEENS1_28PointwiseOpScalarListFunctorIS6_Li4ELi3ELi3EEEJSt10multipliesIS6_EEEEvT_T0_DpT1_,"axG",@progbits,_ZN2at6native12_GLOBAL__N_125multi_tensor_apply_kernelINS1_28TensorListScalarListMetadataIN3c107complexIfEELi4EEENS1_28PointwiseOpScalarListFunctorIS6_Li4ELi3ELi3EEEJSt10multipliesIS6_EEEEvT_T0_DpT1_,comdat
.Lfunc_end96:
	.size	_ZN2at6native12_GLOBAL__N_125multi_tensor_apply_kernelINS1_28TensorListScalarListMetadataIN3c107complexIfEELi4EEENS1_28PointwiseOpScalarListFunctorIS6_Li4ELi3ELi3EEEJSt10multipliesIS6_EEEEvT_T0_DpT1_, .Lfunc_end96-_ZN2at6native12_GLOBAL__N_125multi_tensor_apply_kernelINS1_28TensorListScalarListMetadataIN3c107complexIfEELi4EEENS1_28PointwiseOpScalarListFunctorIS6_Li4ELi3ELi3EEEJSt10multipliesIS6_EEEEvT_T0_DpT1_
                                        ; -- End function
	.set _ZN2at6native12_GLOBAL__N_125multi_tensor_apply_kernelINS1_28TensorListScalarListMetadataIN3c107complexIfEELi4EEENS1_28PointwiseOpScalarListFunctorIS6_Li4ELi3ELi3EEEJSt10multipliesIS6_EEEEvT_T0_DpT1_.num_vgpr, 76
	.set _ZN2at6native12_GLOBAL__N_125multi_tensor_apply_kernelINS1_28TensorListScalarListMetadataIN3c107complexIfEELi4EEENS1_28PointwiseOpScalarListFunctorIS6_Li4ELi3ELi3EEEJSt10multipliesIS6_EEEEvT_T0_DpT1_.num_agpr, 0
	.set _ZN2at6native12_GLOBAL__N_125multi_tensor_apply_kernelINS1_28TensorListScalarListMetadataIN3c107complexIfEELi4EEENS1_28PointwiseOpScalarListFunctorIS6_Li4ELi3ELi3EEEJSt10multipliesIS6_EEEEvT_T0_DpT1_.numbered_sgpr, 36
	.set _ZN2at6native12_GLOBAL__N_125multi_tensor_apply_kernelINS1_28TensorListScalarListMetadataIN3c107complexIfEELi4EEENS1_28PointwiseOpScalarListFunctorIS6_Li4ELi3ELi3EEEJSt10multipliesIS6_EEEEvT_T0_DpT1_.num_named_barrier, 0
	.set _ZN2at6native12_GLOBAL__N_125multi_tensor_apply_kernelINS1_28TensorListScalarListMetadataIN3c107complexIfEELi4EEENS1_28PointwiseOpScalarListFunctorIS6_Li4ELi3ELi3EEEJSt10multipliesIS6_EEEEvT_T0_DpT1_.private_seg_size, 0
	.set _ZN2at6native12_GLOBAL__N_125multi_tensor_apply_kernelINS1_28TensorListScalarListMetadataIN3c107complexIfEELi4EEENS1_28PointwiseOpScalarListFunctorIS6_Li4ELi3ELi3EEEJSt10multipliesIS6_EEEEvT_T0_DpT1_.uses_vcc, 1
	.set _ZN2at6native12_GLOBAL__N_125multi_tensor_apply_kernelINS1_28TensorListScalarListMetadataIN3c107complexIfEELi4EEENS1_28PointwiseOpScalarListFunctorIS6_Li4ELi3ELi3EEEJSt10multipliesIS6_EEEEvT_T0_DpT1_.uses_flat_scratch, 0
	.set _ZN2at6native12_GLOBAL__N_125multi_tensor_apply_kernelINS1_28TensorListScalarListMetadataIN3c107complexIfEELi4EEENS1_28PointwiseOpScalarListFunctorIS6_Li4ELi3ELi3EEEJSt10multipliesIS6_EEEEvT_T0_DpT1_.has_dyn_sized_stack, 0
	.set _ZN2at6native12_GLOBAL__N_125multi_tensor_apply_kernelINS1_28TensorListScalarListMetadataIN3c107complexIfEELi4EEENS1_28PointwiseOpScalarListFunctorIS6_Li4ELi3ELi3EEEJSt10multipliesIS6_EEEEvT_T0_DpT1_.has_recursion, 0
	.set _ZN2at6native12_GLOBAL__N_125multi_tensor_apply_kernelINS1_28TensorListScalarListMetadataIN3c107complexIfEELi4EEENS1_28PointwiseOpScalarListFunctorIS6_Li4ELi3ELi3EEEJSt10multipliesIS6_EEEEvT_T0_DpT1_.has_indirect_call, 0
	.section	.AMDGPU.csdata,"",@progbits
; Kernel info:
; codeLenInByte = 2344
; TotalNumSgprs: 38
; NumVgprs: 76
; ScratchSize: 0
; MemoryBound: 0
; FloatMode: 240
; IeeeMode: 1
; LDSByteSize: 0 bytes/workgroup (compile time only)
; SGPRBlocks: 0
; VGPRBlocks: 4
; NumSGPRsForWavesPerEU: 38
; NumVGPRsForWavesPerEU: 76
; NamedBarCnt: 0
; Occupancy: 12
; WaveLimiterHint : 1
; COMPUTE_PGM_RSRC2:SCRATCH_EN: 0
; COMPUTE_PGM_RSRC2:USER_SGPR: 2
; COMPUTE_PGM_RSRC2:TRAP_HANDLER: 0
; COMPUTE_PGM_RSRC2:TGID_X_EN: 1
; COMPUTE_PGM_RSRC2:TGID_Y_EN: 0
; COMPUTE_PGM_RSRC2:TGID_Z_EN: 0
; COMPUTE_PGM_RSRC2:TIDIG_COMP_CNT: 0
	.section	.text._ZN2at6native12_GLOBAL__N_125multi_tensor_apply_kernelINS1_28TensorListScalarListMetadataIfLi4EEENS1_28PointwiseOpScalarListFunctorIN3c104HalfELi4ELi3ELi3EEEJSt10multipliesIfEEEEvT_T0_DpT1_,"axG",@progbits,_ZN2at6native12_GLOBAL__N_125multi_tensor_apply_kernelINS1_28TensorListScalarListMetadataIfLi4EEENS1_28PointwiseOpScalarListFunctorIN3c104HalfELi4ELi3ELi3EEEJSt10multipliesIfEEEEvT_T0_DpT1_,comdat
	.globl	_ZN2at6native12_GLOBAL__N_125multi_tensor_apply_kernelINS1_28TensorListScalarListMetadataIfLi4EEENS1_28PointwiseOpScalarListFunctorIN3c104HalfELi4ELi3ELi3EEEJSt10multipliesIfEEEEvT_T0_DpT1_ ; -- Begin function _ZN2at6native12_GLOBAL__N_125multi_tensor_apply_kernelINS1_28TensorListScalarListMetadataIfLi4EEENS1_28PointwiseOpScalarListFunctorIN3c104HalfELi4ELi3ELi3EEEJSt10multipliesIfEEEEvT_T0_DpT1_
	.p2align	8
	.type	_ZN2at6native12_GLOBAL__N_125multi_tensor_apply_kernelINS1_28TensorListScalarListMetadataIfLi4EEENS1_28PointwiseOpScalarListFunctorIN3c104HalfELi4ELi3ELi3EEEJSt10multipliesIfEEEEvT_T0_DpT1_,@function
_ZN2at6native12_GLOBAL__N_125multi_tensor_apply_kernelINS1_28TensorListScalarListMetadataIfLi4EEENS1_28PointwiseOpScalarListFunctorIN3c104HalfELi4ELi3ELi3EEEJSt10multipliesIfEEEEvT_T0_DpT1_: ; @_ZN2at6native12_GLOBAL__N_125multi_tensor_apply_kernelINS1_28TensorListScalarListMetadataIfLi4EEENS1_28PointwiseOpScalarListFunctorIN3c104HalfELi4ELi3ELi3EEEJSt10multipliesIfEEEEvT_T0_DpT1_
; %bb.0:
	s_bfe_u32 s2, ttmp6, 0x4000c
	s_and_b32 s3, ttmp6, 15
	s_add_co_i32 s2, s2, 1
	s_getreg_b32 s4, hwreg(HW_REG_IB_STS2, 6, 4)
	s_mul_i32 s2, ttmp9, s2
	s_delay_alu instid0(SALU_CYCLE_1)
	s_add_co_i32 s3, s3, s2
	s_cmp_eq_u32 s4, 0
	s_cselect_b32 s2, ttmp9, s3
	s_mov_b32 s3, 0
	s_load_u8 s24, s[0:1], s2 offset:0x630
	s_add_nc_u64 s[4:5], s[0:1], s[2:3]
	s_mul_u64 s[6:7], s[2:3], 3
	s_delay_alu instid0(SALU_CYCLE_1)
	s_add_nc_u64 s[4:5], s[4:5], s[6:7]
	s_load_b32 s18, s[4:5], 0x770
	s_wait_kmcnt 0x0
	s_clause 0x4
	s_load_b64 s[6:7], s[0:1], s24 offset:0x120 scale_offset
	s_load_b64 s[8:9], s[0:1], s24 offset:0x0 scale_offset
	;; [unrolled: 1-line block ×5, first 2 shown]
	s_lshl_b32 s2, s24, 3
	s_delay_alu instid0(SALU_CYCLE_1) | instskip(SKIP_1) | instid1(SALU_CYCLE_1)
	s_add_nc_u64 s[16:17], s[0:1], s[2:3]
	s_ashr_i32 s19, s18, 31
	s_lshl_b64 s[14:15], s[18:19], 17
	s_wait_kmcnt 0x0
	s_add_nc_u64 s[4:5], s[6:7], s[14:15]
	s_add_nc_u64 s[22:23], s[10:11], s[14:15]
	s_and_b32 s2, s4, 7
	s_and_b64 s[4:5], s[8:9], 7
	s_cmp_eq_u64 s[2:3], 0
	s_cselect_b32 s25, -1, 0
	s_or_b32 s2, s12, s22
	s_delay_alu instid0(SALU_CYCLE_1) | instskip(NEXT) | instid1(SALU_CYCLE_1)
	s_and_b32 s2, s2, 7
	s_cmp_eq_u32 s2, 0
	s_cselect_b32 s26, -1, 0
	s_lshl_b32 s2, s24, 2
	s_delay_alu instid0(SALU_CYCLE_1)
	s_sub_nc_u64 s[22:23], 0, s[2:3]
	s_and_b32 s2, s20, 3
	s_add_nc_u64 s[16:17], s[16:17], s[22:23]
	s_or_b64 s[2:3], s[4:5], s[2:3]
	s_load_b32 s16, s[16:17], 0x5a0
	s_wait_xcnt 0x0
	s_and_b32 s17, s26, s25
	s_lshl_b64 s[4:5], s[18:19], 16
	s_cmp_eq_u64 s[2:3], 0
	s_sub_nc_u64 s[18:19], s[20:21], s[4:5]
	s_cselect_b32 s2, -1, 0
	s_delay_alu instid0(SALU_CYCLE_1) | instskip(NEXT) | instid1(SALU_CYCLE_1)
	s_and_b32 s2, s17, s2
	s_and_b32 vcc_lo, exec_lo, s2
	s_mov_b32 s2, -1
	s_cbranch_vccnz .LBB97_29
; %bb.1:
	v_cmp_lt_i64_e64 s2, s[18:19], 1
	s_and_b32 vcc_lo, exec_lo, s2
	s_cbranch_vccnz .LBB97_28
; %bb.2:
	s_load_b32 s2, s[0:1], 0xc84
	v_min_i64 v[2:3], 0x10000, s[18:19]
	v_min_u64 v[4:5], 0x10000, s[18:19]
	v_dual_mov_b32 v1, 0 :: v_dual_lshlrev_b32 v20, 1, v0
	s_mov_b32 s23, 0
	s_mov_b64 s[24:25], 0
	s_mov_b32 s3, s23
	s_delay_alu instid0(VALU_DEP_1) | instskip(SKIP_2) | instid1(VALU_DEP_1)
	v_dual_mov_b32 v21, v1 :: v_dual_mov_b32 v43, v1
	s_mov_b32 s21, s23
	s_mov_b32 s5, s23
	v_add_nc_u64_e32 v[6:7], s[8:9], v[20:21]
	v_add_nc_u64_e32 v[8:9], s[6:7], v[20:21]
	;; [unrolled: 1-line block ×4, first 2 shown]
	s_wait_kmcnt 0x0
	s_and_b32 s22, s2, 0xffff
	s_delay_alu instid0(SALU_CYCLE_1)
	s_lshl_b32 s4, s22, 1
	s_cmp_eq_f32 s16, 1.0
	v_add_nc_u64_e32 v[12:13], s[22:23], v[0:1]
	v_mad_nc_u64_u32 v[26:27], s22, 6, v[20:21]
	s_mul_i32 s2, s22, 3
	v_add_nc_u64_e32 v[18:19], s[4:5], v[0:1]
	v_add_nc_u64_e32 v[16:17], s[2:3], v[0:1]
	s_cselect_b32 s2, -1, 0
	s_lshl_b32 s20, s22, 2
	v_lshlrev_b32_e32 v42, 1, v12
	v_add_nc_u64_e32 v[38:39], s[20:21], v[20:21]
	s_lshl_b32 s22, s22, 3
	v_add_nc_u64_e32 v[20:21], s[8:9], v[26:27]
	v_add_nc_u64_e32 v[22:23], s[6:7], v[26:27]
	;; [unrolled: 1-line block ×12, first 2 shown]
	s_branch .LBB97_4
.LBB97_3:                               ;   in Loop: Header=BB97_4 Depth=1
	s_wait_xcnt 0x0
	s_or_b32 exec_lo, exec_lo, s3
	s_add_nc_u64 s[24:25], s[24:25], s[20:21]
	v_add_nc_u64_e32 v[6:7], s[22:23], v[6:7]
	v_cmp_lt_i64_e32 vcc_lo, s[24:25], v[2:3]
	v_add_nc_u64_e32 v[8:9], s[22:23], v[8:9]
	v_add_nc_u64_e32 v[10:11], s[22:23], v[10:11]
	;; [unrolled: 1-line block ×15, first 2 shown]
	s_cbranch_vccz .LBB97_28
.LBB97_4:                               ; =>This Inner Loop Header: Depth=1
	v_add_nc_u64_e32 v[44:45], s[24:25], v[0:1]
	s_delay_alu instid0(VALU_DEP_1)
	v_cmp_lt_u64_e32 vcc_lo, v[44:45], v[4:5]
	v_dual_mov_b32 v45, 0 :: v_dual_mov_b32 v44, 0
	s_and_saveexec_b32 s3, vcc_lo
	s_cbranch_execz .LBB97_6
; %bb.5:                                ;   in Loop: Header=BB97_4 Depth=1
	v_add_nc_u64_e32 v[44:45], s[14:15], v[6:7]
	v_add_nc_u64_e32 v[46:47], s[14:15], v[8:9]
	global_load_u16 v48, v[44:45], off
	global_load_u16 v49, v[46:47], off
	s_wait_loadcnt 0x1
	s_wait_xcnt 0x1
	v_cvt_f32_f16_e32 v44, v48
	s_wait_loadcnt 0x0
	v_cvt_f32_f16_e32 v45, v49
.LBB97_6:                               ;   in Loop: Header=BB97_4 Depth=1
	s_wait_xcnt 0x0
	s_or_b32 exec_lo, exec_lo, s3
	v_dual_mov_b32 v46, 0 :: v_dual_mov_b32 v47, 0
	s_and_saveexec_b32 s3, vcc_lo
	s_cbranch_execz .LBB97_8
; %bb.7:                                ;   in Loop: Header=BB97_4 Depth=1
	v_add_nc_u64_e32 v[48:49], s[14:15], v[10:11]
	global_load_u16 v47, v[48:49], off
	s_wait_loadcnt 0x0
	v_cvt_f32_f16_e32 v47, v47
.LBB97_8:                               ;   in Loop: Header=BB97_4 Depth=1
	s_wait_xcnt 0x0
	s_or_b32 exec_lo, exec_lo, s3
	v_add_nc_u64_e32 v[48:49], s[24:25], v[12:13]
	s_delay_alu instid0(VALU_DEP_1)
	v_cmp_lt_u64_e64 s3, v[48:49], v[4:5]
	v_mov_b32_e32 v48, 0
	s_and_saveexec_b32 s4, s3
	s_cbranch_execz .LBB97_10
; %bb.9:                                ;   in Loop: Header=BB97_4 Depth=1
	v_add_nc_u64_e32 v[48:49], s[14:15], v[28:29]
	v_add_nc_u64_e32 v[50:51], s[14:15], v[30:31]
	global_load_u16 v46, v[48:49], off
	global_load_u16 v52, v[50:51], off
	s_wait_loadcnt 0x1
	s_wait_xcnt 0x1
	v_cvt_f32_f16_e32 v48, v46
	s_wait_loadcnt 0x0
	v_cvt_f32_f16_e32 v46, v52
.LBB97_10:                              ;   in Loop: Header=BB97_4 Depth=1
	s_wait_xcnt 0x0
	s_or_b32 exec_lo, exec_lo, s4
	v_dual_mov_b32 v49, 0 :: v_dual_mov_b32 v50, 0
	s_and_saveexec_b32 s4, s3
	s_cbranch_execz .LBB97_12
; %bb.11:                               ;   in Loop: Header=BB97_4 Depth=1
	v_add_nc_u64_e32 v[50:51], s[14:15], v[40:41]
	global_load_u16 v50, v[50:51], off
	s_wait_loadcnt 0x0
	s_wait_xcnt 0x0
	v_cvt_f32_f16_e32 v50, v50
.LBB97_12:                              ;   in Loop: Header=BB97_4 Depth=1
	s_or_b32 exec_lo, exec_lo, s4
	v_add_nc_u64_e32 v[52:53], s[24:25], v[18:19]
	v_mov_b32_e32 v51, 0
	s_delay_alu instid0(VALU_DEP_2)
	v_cmp_lt_u64_e64 s4, v[52:53], v[4:5]
	s_and_saveexec_b32 s5, s4
	s_cbranch_execz .LBB97_14
; %bb.13:                               ;   in Loop: Header=BB97_4 Depth=1
	v_add_nc_u64_e32 v[52:53], s[14:15], v[32:33]
	v_add_nc_u64_e32 v[54:55], s[14:15], v[34:35]
	global_load_u16 v49, v[52:53], off
	global_load_u16 v56, v[54:55], off
	s_wait_loadcnt 0x1
	v_cvt_f32_f16_e32 v51, v49
	s_wait_loadcnt 0x0
	v_cvt_f32_f16_e32 v49, v56
.LBB97_14:                              ;   in Loop: Header=BB97_4 Depth=1
	s_wait_xcnt 0x0
	s_or_b32 exec_lo, exec_lo, s5
	v_dual_mov_b32 v52, 0 :: v_dual_mov_b32 v53, 0
	s_and_saveexec_b32 s5, s4
	s_cbranch_execz .LBB97_16
; %bb.15:                               ;   in Loop: Header=BB97_4 Depth=1
	v_add_nc_u64_e32 v[54:55], s[14:15], v[36:37]
	global_load_u16 v53, v[54:55], off
	s_wait_loadcnt 0x0
	v_cvt_f32_f16_e32 v53, v53
.LBB97_16:                              ;   in Loop: Header=BB97_4 Depth=1
	s_wait_xcnt 0x0
	s_or_b32 exec_lo, exec_lo, s5
	v_add_nc_u64_e32 v[54:55], s[24:25], v[16:17]
	s_delay_alu instid0(VALU_DEP_1)
	v_cmp_lt_u64_e64 s5, v[54:55], v[4:5]
	v_mov_b32_e32 v54, 0
	s_and_saveexec_b32 s17, s5
	s_cbranch_execnz .LBB97_22
; %bb.17:                               ;   in Loop: Header=BB97_4 Depth=1
	s_or_b32 exec_lo, exec_lo, s17
	v_mov_b32_e32 v55, 0
	s_and_saveexec_b32 s17, s5
	s_cbranch_execnz .LBB97_23
.LBB97_18:                              ;   in Loop: Header=BB97_4 Depth=1
	s_or_b32 exec_lo, exec_lo, s17
	s_and_saveexec_b32 s17, vcc_lo
	s_cbranch_execnz .LBB97_24
.LBB97_19:                              ;   in Loop: Header=BB97_4 Depth=1
	s_or_b32 exec_lo, exec_lo, s17
	s_and_saveexec_b32 s17, s3
	s_cbranch_execnz .LBB97_25
.LBB97_20:                              ;   in Loop: Header=BB97_4 Depth=1
	s_or_b32 exec_lo, exec_lo, s17
	s_and_saveexec_b32 s3, s4
	s_cbranch_execnz .LBB97_26
.LBB97_21:                              ;   in Loop: Header=BB97_4 Depth=1
	s_or_b32 exec_lo, exec_lo, s3
	s_and_saveexec_b32 s3, s5
	s_cbranch_execz .LBB97_3
	s_branch .LBB97_27
.LBB97_22:                              ;   in Loop: Header=BB97_4 Depth=1
	v_add_nc_u64_e32 v[54:55], s[14:15], v[20:21]
	v_add_nc_u64_e32 v[56:57], s[14:15], v[22:23]
	global_load_u16 v52, v[54:55], off
	global_load_u16 v58, v[56:57], off
	s_wait_loadcnt 0x1
	s_wait_xcnt 0x1
	v_cvt_f32_f16_e32 v54, v52
	s_wait_loadcnt 0x0
	v_cvt_f32_f16_e32 v52, v58
	s_wait_xcnt 0x0
	s_or_b32 exec_lo, exec_lo, s17
	v_mov_b32_e32 v55, 0
	s_and_saveexec_b32 s17, s5
	s_cbranch_execz .LBB97_18
.LBB97_23:                              ;   in Loop: Header=BB97_4 Depth=1
	v_add_nc_u64_e32 v[56:57], s[14:15], v[24:25]
	global_load_u16 v55, v[56:57], off
	s_wait_loadcnt 0x0
	v_cvt_f32_f16_e32 v55, v55
	s_wait_xcnt 0x0
	s_or_b32 exec_lo, exec_lo, s17
	s_and_saveexec_b32 s17, vcc_lo
	s_cbranch_execz .LBB97_19
.LBB97_24:                              ;   in Loop: Header=BB97_4 Depth=1
	v_dual_mul_f32 v56, v45, v47 :: v_dual_fma_f32 v45, v45, v47, v44
	s_delay_alu instid0(VALU_DEP_1) | instskip(NEXT) | instid1(VALU_DEP_1)
	v_fmac_f32_e32 v44, s16, v56
	v_cndmask_b32_e64 v47, v44, v45, s2
	v_add_nc_u64_e32 v[44:45], s[14:15], v[14:15]
	s_delay_alu instid0(VALU_DEP_2)
	v_cvt_f16_f32_e32 v47, v47
	global_store_b16 v[44:45], v47, off
	s_wait_xcnt 0x0
	s_or_b32 exec_lo, exec_lo, s17
	s_and_saveexec_b32 s17, s3
	s_cbranch_execz .LBB97_20
.LBB97_25:                              ;   in Loop: Header=BB97_4 Depth=1
	v_dual_mul_f32 v44, v46, v50 :: v_dual_fma_f32 v45, v46, v50, v48
	s_delay_alu instid0(VALU_DEP_1) | instskip(NEXT) | instid1(VALU_DEP_1)
	v_fmac_f32_e32 v48, s16, v44
	v_cndmask_b32_e64 v46, v48, v45, s2
	v_add_nc_u64_e32 v[44:45], s[14:15], v[42:43]
	s_delay_alu instid0(VALU_DEP_2)
	v_cvt_f16_f32_e32 v46, v46
	global_store_b16 v[44:45], v46, off
	s_wait_xcnt 0x0
	s_or_b32 exec_lo, exec_lo, s17
	s_and_saveexec_b32 s3, s4
	s_cbranch_execz .LBB97_21
.LBB97_26:                              ;   in Loop: Header=BB97_4 Depth=1
	v_dual_mul_f32 v44, v49, v53 :: v_dual_fma_f32 v45, v49, v53, v51
	s_delay_alu instid0(VALU_DEP_1) | instskip(NEXT) | instid1(VALU_DEP_1)
	v_fmac_f32_e32 v51, s16, v44
	v_cndmask_b32_e64 v46, v51, v45, s2
	v_add_nc_u64_e32 v[44:45], s[14:15], v[38:39]
	s_delay_alu instid0(VALU_DEP_2)
	v_cvt_f16_f32_e32 v46, v46
	global_store_b16 v[44:45], v46, off
	s_wait_xcnt 0x0
	s_or_b32 exec_lo, exec_lo, s3
	s_and_saveexec_b32 s3, s5
	s_cbranch_execz .LBB97_3
.LBB97_27:                              ;   in Loop: Header=BB97_4 Depth=1
	v_dual_mul_f32 v44, v52, v55 :: v_dual_fma_f32 v45, v52, v55, v54
	s_delay_alu instid0(VALU_DEP_1) | instskip(NEXT) | instid1(VALU_DEP_1)
	v_fmac_f32_e32 v54, s16, v44
	v_cndmask_b32_e64 v46, v54, v45, s2
	v_add_nc_u64_e32 v[44:45], s[14:15], v[26:27]
	s_delay_alu instid0(VALU_DEP_2)
	v_cvt_f16_f32_e32 v46, v46
	global_store_b16 v[44:45], v46, off
	s_branch .LBB97_3
.LBB97_28:
	s_mov_b32 s2, 0
.LBB97_29:
	s_delay_alu instid0(SALU_CYCLE_1)
	s_and_not1_b32 vcc_lo, exec_lo, s2
	s_cbranch_vccnz .LBB97_33
; %bb.30:
	v_min_i64 v[2:3], 0x10000, s[18:19]
	v_dual_mov_b32 v9, 0 :: v_dual_lshlrev_b32 v8, 2, v0
	s_mov_b32 s2, exec_lo
	s_delay_alu instid0(VALU_DEP_1)
	v_cmpx_lt_i64_e64 v[8:9], v[2:3]
	s_cbranch_execz .LBB97_33
; %bb.31:
	s_load_b32 s0, s[0:1], 0xc84
	v_dual_mov_b32 v1, v9 :: v_dual_lshlrev_b32 v8, 3, v0
	s_wait_kmcnt 0x0
	s_mov_b32 s17, s16
	s_cmp_eq_f32 s16, 1.0
	v_mov_b64_e32 v[6:7], s[16:17]
	v_dual_mov_b32 v4, s16 :: v_dual_mov_b32 v5, s16
	v_add_nc_u64_e32 v[8:9], s[14:15], v[8:9]
	s_mov_b32 s3, 0
	s_cselect_b32 vcc_lo, -1, 0
	s_mov_b32 s5, s3
	s_mov_b32 s1, s3
	s_and_b32 s2, s0, 0xffff
	s_delay_alu instid0(SALU_CYCLE_1)
	s_lshl_b32 s4, s2, 3
.LBB97_32:                              ; =>This Inner Loop Header: Depth=1
	v_add_nc_u64_e32 v[10:11], s[6:7], v[8:9]
	v_add_nc_u64_e32 v[12:13], s[10:11], v[8:9]
	v_add_nc_u64_e32 v[14:15], s[8:9], v[8:9]
	v_add_nc_u64_e32 v[0:1], s[2:3], v[0:1]
	global_load_b64 v[16:17], v[10:11], off
	global_load_b64 v[18:19], v[12:13], off
	;; [unrolled: 1-line block ×3, first 2 shown]
	s_wait_xcnt 0x2
	v_lshlrev_b64_e32 v[10:11], 2, v[0:1]
	s_delay_alu instid0(VALU_DEP_1)
	v_cmp_ge_i64_e64 s0, v[10:11], v[2:3]
	v_add_nc_u64_e32 v[10:11], s[12:13], v[8:9]
	v_add_nc_u64_e32 v[8:9], s[4:5], v[8:9]
	s_or_b32 s1, s0, s1
	s_wait_loadcnt 0x1
	v_dual_lshrrev_b32 v23, 16, v18 :: v_dual_lshrrev_b32 v24, 16, v19
	s_wait_loadcnt 0x0
	s_wait_xcnt 0x1
	v_cvt_f32_f16_e32 v12, v20
	s_wait_xcnt 0x0
	v_dual_lshrrev_b32 v13, 16, v20 :: v_dual_lshrrev_b32 v15, 16, v21
	v_cvt_f32_f16_e32 v14, v21
	v_cvt_f32_f16_e32 v20, v16
	v_lshrrev_b32_e32 v21, 16, v16
	v_cvt_f32_f16_e32 v16, v17
	v_lshrrev_b32_e32 v17, 16, v17
	v_cvt_f32_f16_e32 v22, v18
	v_cvt_f32_f16_e32 v18, v19
	;; [unrolled: 1-line block ×8, first 2 shown]
	v_pk_mul_f32 v[24:25], v[20:21], v[22:23]
	s_delay_alu instid0(VALU_DEP_4) | instskip(NEXT) | instid1(VALU_DEP_4)
	v_pk_mul_f32 v[26:27], v[16:17], v[18:19]
	v_pk_fma_f32 v[16:17], v[16:17], v[18:19], v[14:15]
	s_delay_alu instid0(VALU_DEP_4) | instskip(NEXT) | instid1(VALU_DEP_4)
	v_pk_fma_f32 v[18:19], v[20:21], v[22:23], v[12:13]
	v_pk_fma_f32 v[12:13], v[6:7], v[24:25], v[12:13]
	s_delay_alu instid0(VALU_DEP_4) | instskip(NEXT) | instid1(VALU_DEP_2)
	v_pk_fma_f32 v[14:15], v[4:5], v[26:27], v[14:15]
	v_dual_cndmask_b32 v19, v13, v19 :: v_dual_cndmask_b32 v12, v12, v18
	s_delay_alu instid0(VALU_DEP_2) | instskip(NEXT) | instid1(VALU_DEP_2)
	v_dual_cndmask_b32 v14, v14, v16 :: v_dual_cndmask_b32 v13, v15, v17
	v_cvt_pk_f16_f32 v12, v12, v19
	s_delay_alu instid0(VALU_DEP_2)
	v_cvt_pk_f16_f32 v13, v14, v13
	global_store_b64 v[10:11], v[12:13], off
	s_wait_xcnt 0x0
	s_and_not1_b32 exec_lo, exec_lo, s1
	s_cbranch_execnz .LBB97_32
.LBB97_33:
	s_endpgm
	.section	.rodata,"a",@progbits
	.p2align	6, 0x0
	.amdhsa_kernel _ZN2at6native12_GLOBAL__N_125multi_tensor_apply_kernelINS1_28TensorListScalarListMetadataIfLi4EEENS1_28PointwiseOpScalarListFunctorIN3c104HalfELi4ELi3ELi3EEEJSt10multipliesIfEEEEvT_T0_DpT1_
		.amdhsa_group_segment_fixed_size 0
		.amdhsa_private_segment_fixed_size 0
		.amdhsa_kernarg_size 3448
		.amdhsa_user_sgpr_count 2
		.amdhsa_user_sgpr_dispatch_ptr 0
		.amdhsa_user_sgpr_queue_ptr 0
		.amdhsa_user_sgpr_kernarg_segment_ptr 1
		.amdhsa_user_sgpr_dispatch_id 0
		.amdhsa_user_sgpr_kernarg_preload_length 0
		.amdhsa_user_sgpr_kernarg_preload_offset 0
		.amdhsa_user_sgpr_private_segment_size 0
		.amdhsa_wavefront_size32 1
		.amdhsa_uses_dynamic_stack 0
		.amdhsa_enable_private_segment 0
		.amdhsa_system_sgpr_workgroup_id_x 1
		.amdhsa_system_sgpr_workgroup_id_y 0
		.amdhsa_system_sgpr_workgroup_id_z 0
		.amdhsa_system_sgpr_workgroup_info 0
		.amdhsa_system_vgpr_workitem_id 0
		.amdhsa_next_free_vgpr 59
		.amdhsa_next_free_sgpr 27
		.amdhsa_named_barrier_count 0
		.amdhsa_reserve_vcc 1
		.amdhsa_float_round_mode_32 0
		.amdhsa_float_round_mode_16_64 0
		.amdhsa_float_denorm_mode_32 3
		.amdhsa_float_denorm_mode_16_64 3
		.amdhsa_fp16_overflow 0
		.amdhsa_memory_ordered 1
		.amdhsa_forward_progress 1
		.amdhsa_inst_pref_size 15
		.amdhsa_round_robin_scheduling 0
		.amdhsa_exception_fp_ieee_invalid_op 0
		.amdhsa_exception_fp_denorm_src 0
		.amdhsa_exception_fp_ieee_div_zero 0
		.amdhsa_exception_fp_ieee_overflow 0
		.amdhsa_exception_fp_ieee_underflow 0
		.amdhsa_exception_fp_ieee_inexact 0
		.amdhsa_exception_int_div_zero 0
	.end_amdhsa_kernel
	.section	.text._ZN2at6native12_GLOBAL__N_125multi_tensor_apply_kernelINS1_28TensorListScalarListMetadataIfLi4EEENS1_28PointwiseOpScalarListFunctorIN3c104HalfELi4ELi3ELi3EEEJSt10multipliesIfEEEEvT_T0_DpT1_,"axG",@progbits,_ZN2at6native12_GLOBAL__N_125multi_tensor_apply_kernelINS1_28TensorListScalarListMetadataIfLi4EEENS1_28PointwiseOpScalarListFunctorIN3c104HalfELi4ELi3ELi3EEEJSt10multipliesIfEEEEvT_T0_DpT1_,comdat
.Lfunc_end97:
	.size	_ZN2at6native12_GLOBAL__N_125multi_tensor_apply_kernelINS1_28TensorListScalarListMetadataIfLi4EEENS1_28PointwiseOpScalarListFunctorIN3c104HalfELi4ELi3ELi3EEEJSt10multipliesIfEEEEvT_T0_DpT1_, .Lfunc_end97-_ZN2at6native12_GLOBAL__N_125multi_tensor_apply_kernelINS1_28TensorListScalarListMetadataIfLi4EEENS1_28PointwiseOpScalarListFunctorIN3c104HalfELi4ELi3ELi3EEEJSt10multipliesIfEEEEvT_T0_DpT1_
                                        ; -- End function
	.set _ZN2at6native12_GLOBAL__N_125multi_tensor_apply_kernelINS1_28TensorListScalarListMetadataIfLi4EEENS1_28PointwiseOpScalarListFunctorIN3c104HalfELi4ELi3ELi3EEEJSt10multipliesIfEEEEvT_T0_DpT1_.num_vgpr, 59
	.set _ZN2at6native12_GLOBAL__N_125multi_tensor_apply_kernelINS1_28TensorListScalarListMetadataIfLi4EEENS1_28PointwiseOpScalarListFunctorIN3c104HalfELi4ELi3ELi3EEEJSt10multipliesIfEEEEvT_T0_DpT1_.num_agpr, 0
	.set _ZN2at6native12_GLOBAL__N_125multi_tensor_apply_kernelINS1_28TensorListScalarListMetadataIfLi4EEENS1_28PointwiseOpScalarListFunctorIN3c104HalfELi4ELi3ELi3EEEJSt10multipliesIfEEEEvT_T0_DpT1_.numbered_sgpr, 27
	.set _ZN2at6native12_GLOBAL__N_125multi_tensor_apply_kernelINS1_28TensorListScalarListMetadataIfLi4EEENS1_28PointwiseOpScalarListFunctorIN3c104HalfELi4ELi3ELi3EEEJSt10multipliesIfEEEEvT_T0_DpT1_.num_named_barrier, 0
	.set _ZN2at6native12_GLOBAL__N_125multi_tensor_apply_kernelINS1_28TensorListScalarListMetadataIfLi4EEENS1_28PointwiseOpScalarListFunctorIN3c104HalfELi4ELi3ELi3EEEJSt10multipliesIfEEEEvT_T0_DpT1_.private_seg_size, 0
	.set _ZN2at6native12_GLOBAL__N_125multi_tensor_apply_kernelINS1_28TensorListScalarListMetadataIfLi4EEENS1_28PointwiseOpScalarListFunctorIN3c104HalfELi4ELi3ELi3EEEJSt10multipliesIfEEEEvT_T0_DpT1_.uses_vcc, 1
	.set _ZN2at6native12_GLOBAL__N_125multi_tensor_apply_kernelINS1_28TensorListScalarListMetadataIfLi4EEENS1_28PointwiseOpScalarListFunctorIN3c104HalfELi4ELi3ELi3EEEJSt10multipliesIfEEEEvT_T0_DpT1_.uses_flat_scratch, 0
	.set _ZN2at6native12_GLOBAL__N_125multi_tensor_apply_kernelINS1_28TensorListScalarListMetadataIfLi4EEENS1_28PointwiseOpScalarListFunctorIN3c104HalfELi4ELi3ELi3EEEJSt10multipliesIfEEEEvT_T0_DpT1_.has_dyn_sized_stack, 0
	.set _ZN2at6native12_GLOBAL__N_125multi_tensor_apply_kernelINS1_28TensorListScalarListMetadataIfLi4EEENS1_28PointwiseOpScalarListFunctorIN3c104HalfELi4ELi3ELi3EEEJSt10multipliesIfEEEEvT_T0_DpT1_.has_recursion, 0
	.set _ZN2at6native12_GLOBAL__N_125multi_tensor_apply_kernelINS1_28TensorListScalarListMetadataIfLi4EEENS1_28PointwiseOpScalarListFunctorIN3c104HalfELi4ELi3ELi3EEEJSt10multipliesIfEEEEvT_T0_DpT1_.has_indirect_call, 0
	.section	.AMDGPU.csdata,"",@progbits
; Kernel info:
; codeLenInByte = 1892
; TotalNumSgprs: 29
; NumVgprs: 59
; ScratchSize: 0
; MemoryBound: 0
; FloatMode: 240
; IeeeMode: 1
; LDSByteSize: 0 bytes/workgroup (compile time only)
; SGPRBlocks: 0
; VGPRBlocks: 3
; NumSGPRsForWavesPerEU: 29
; NumVGPRsForWavesPerEU: 59
; NamedBarCnt: 0
; Occupancy: 16
; WaveLimiterHint : 0
; COMPUTE_PGM_RSRC2:SCRATCH_EN: 0
; COMPUTE_PGM_RSRC2:USER_SGPR: 2
; COMPUTE_PGM_RSRC2:TRAP_HANDLER: 0
; COMPUTE_PGM_RSRC2:TGID_X_EN: 1
; COMPUTE_PGM_RSRC2:TGID_Y_EN: 0
; COMPUTE_PGM_RSRC2:TGID_Z_EN: 0
; COMPUTE_PGM_RSRC2:TIDIG_COMP_CNT: 0
	.section	.text._ZN2at6native12_GLOBAL__N_125multi_tensor_apply_kernelINS1_28TensorListScalarListMetadataIfLi4EEENS1_28PointwiseOpScalarListFunctorIN3c108BFloat16ELi4ELi3ELi3EEEJSt10multipliesIfEEEEvT_T0_DpT1_,"axG",@progbits,_ZN2at6native12_GLOBAL__N_125multi_tensor_apply_kernelINS1_28TensorListScalarListMetadataIfLi4EEENS1_28PointwiseOpScalarListFunctorIN3c108BFloat16ELi4ELi3ELi3EEEJSt10multipliesIfEEEEvT_T0_DpT1_,comdat
	.globl	_ZN2at6native12_GLOBAL__N_125multi_tensor_apply_kernelINS1_28TensorListScalarListMetadataIfLi4EEENS1_28PointwiseOpScalarListFunctorIN3c108BFloat16ELi4ELi3ELi3EEEJSt10multipliesIfEEEEvT_T0_DpT1_ ; -- Begin function _ZN2at6native12_GLOBAL__N_125multi_tensor_apply_kernelINS1_28TensorListScalarListMetadataIfLi4EEENS1_28PointwiseOpScalarListFunctorIN3c108BFloat16ELi4ELi3ELi3EEEJSt10multipliesIfEEEEvT_T0_DpT1_
	.p2align	8
	.type	_ZN2at6native12_GLOBAL__N_125multi_tensor_apply_kernelINS1_28TensorListScalarListMetadataIfLi4EEENS1_28PointwiseOpScalarListFunctorIN3c108BFloat16ELi4ELi3ELi3EEEJSt10multipliesIfEEEEvT_T0_DpT1_,@function
_ZN2at6native12_GLOBAL__N_125multi_tensor_apply_kernelINS1_28TensorListScalarListMetadataIfLi4EEENS1_28PointwiseOpScalarListFunctorIN3c108BFloat16ELi4ELi3ELi3EEEJSt10multipliesIfEEEEvT_T0_DpT1_: ; @_ZN2at6native12_GLOBAL__N_125multi_tensor_apply_kernelINS1_28TensorListScalarListMetadataIfLi4EEENS1_28PointwiseOpScalarListFunctorIN3c108BFloat16ELi4ELi3ELi3EEEJSt10multipliesIfEEEEvT_T0_DpT1_
; %bb.0:
	s_bfe_u32 s2, ttmp6, 0x4000c
	s_and_b32 s3, ttmp6, 15
	s_add_co_i32 s2, s2, 1
	s_getreg_b32 s4, hwreg(HW_REG_IB_STS2, 6, 4)
	s_mul_i32 s2, ttmp9, s2
	s_delay_alu instid0(SALU_CYCLE_1)
	s_add_co_i32 s3, s3, s2
	s_cmp_eq_u32 s4, 0
	s_cselect_b32 s2, ttmp9, s3
	s_mov_b32 s3, 0
	s_load_u8 s24, s[0:1], s2 offset:0x630
	s_add_nc_u64 s[4:5], s[0:1], s[2:3]
	s_mul_u64 s[6:7], s[2:3], 3
	s_delay_alu instid0(SALU_CYCLE_1)
	s_add_nc_u64 s[4:5], s[4:5], s[6:7]
	s_load_b32 s18, s[4:5], 0x770
	s_wait_kmcnt 0x0
	s_clause 0x4
	s_load_b64 s[6:7], s[0:1], s24 offset:0x120 scale_offset
	s_load_b64 s[8:9], s[0:1], s24 offset:0x0 scale_offset
	;; [unrolled: 1-line block ×5, first 2 shown]
	s_lshl_b32 s2, s24, 3
	s_delay_alu instid0(SALU_CYCLE_1) | instskip(SKIP_1) | instid1(SALU_CYCLE_1)
	s_add_nc_u64 s[16:17], s[0:1], s[2:3]
	s_ashr_i32 s19, s18, 31
	s_lshl_b64 s[14:15], s[18:19], 17
	s_wait_kmcnt 0x0
	s_add_nc_u64 s[4:5], s[6:7], s[14:15]
	s_add_nc_u64 s[22:23], s[10:11], s[14:15]
	s_and_b32 s2, s4, 7
	s_and_b64 s[4:5], s[8:9], 7
	s_cmp_eq_u64 s[2:3], 0
	s_cselect_b32 s25, -1, 0
	s_or_b32 s2, s12, s22
	s_delay_alu instid0(SALU_CYCLE_1) | instskip(NEXT) | instid1(SALU_CYCLE_1)
	s_and_b32 s2, s2, 7
	s_cmp_eq_u32 s2, 0
	s_cselect_b32 s26, -1, 0
	s_lshl_b32 s2, s24, 2
	s_delay_alu instid0(SALU_CYCLE_1)
	s_sub_nc_u64 s[22:23], 0, s[2:3]
	s_and_b32 s2, s20, 3
	s_add_nc_u64 s[16:17], s[16:17], s[22:23]
	s_or_b64 s[2:3], s[4:5], s[2:3]
	s_load_b32 s16, s[16:17], 0x5a0
	s_wait_xcnt 0x0
	s_and_b32 s17, s26, s25
	s_lshl_b64 s[4:5], s[18:19], 16
	s_cmp_eq_u64 s[2:3], 0
	s_sub_nc_u64 s[18:19], s[20:21], s[4:5]
	s_cselect_b32 s2, -1, 0
	s_delay_alu instid0(SALU_CYCLE_1) | instskip(NEXT) | instid1(SALU_CYCLE_1)
	s_and_b32 s2, s17, s2
	s_and_b32 vcc_lo, exec_lo, s2
	s_mov_b32 s2, -1
	s_cbranch_vccnz .LBB98_29
; %bb.1:
	v_cmp_lt_i64_e64 s2, s[18:19], 1
	s_and_b32 vcc_lo, exec_lo, s2
	s_cbranch_vccnz .LBB98_28
; %bb.2:
	s_load_b32 s2, s[0:1], 0xc84
	v_min_i64 v[2:3], 0x10000, s[18:19]
	v_min_u64 v[4:5], 0x10000, s[18:19]
	v_dual_mov_b32 v1, 0 :: v_dual_lshlrev_b32 v20, 1, v0
	s_mov_b32 s23, 0
	s_mov_b64 s[24:25], 0
	s_mov_b32 s3, s23
	s_delay_alu instid0(VALU_DEP_1) | instskip(SKIP_2) | instid1(VALU_DEP_1)
	v_dual_mov_b32 v21, v1 :: v_dual_mov_b32 v43, v1
	s_mov_b32 s21, s23
	s_mov_b32 s5, s23
	v_add_nc_u64_e32 v[6:7], s[8:9], v[20:21]
	v_add_nc_u64_e32 v[8:9], s[6:7], v[20:21]
	;; [unrolled: 1-line block ×4, first 2 shown]
	s_wait_kmcnt 0x0
	s_and_b32 s22, s2, 0xffff
	s_delay_alu instid0(SALU_CYCLE_1)
	s_lshl_b32 s4, s22, 1
	s_cmp_eq_f32 s16, 1.0
	v_add_nc_u64_e32 v[12:13], s[22:23], v[0:1]
	v_mad_nc_u64_u32 v[26:27], s22, 6, v[20:21]
	s_mul_i32 s2, s22, 3
	v_add_nc_u64_e32 v[18:19], s[4:5], v[0:1]
	v_add_nc_u64_e32 v[16:17], s[2:3], v[0:1]
	s_cselect_b32 s2, -1, 0
	s_lshl_b32 s20, s22, 2
	v_lshlrev_b32_e32 v42, 1, v12
	v_add_nc_u64_e32 v[38:39], s[20:21], v[20:21]
	s_lshl_b32 s22, s22, 3
	v_add_nc_u64_e32 v[20:21], s[8:9], v[26:27]
	v_add_nc_u64_e32 v[22:23], s[6:7], v[26:27]
	;; [unrolled: 1-line block ×12, first 2 shown]
	s_branch .LBB98_4
.LBB98_3:                               ;   in Loop: Header=BB98_4 Depth=1
	s_wait_xcnt 0x0
	s_or_b32 exec_lo, exec_lo, s3
	s_add_nc_u64 s[24:25], s[24:25], s[20:21]
	v_add_nc_u64_e32 v[6:7], s[22:23], v[6:7]
	v_cmp_lt_i64_e32 vcc_lo, s[24:25], v[2:3]
	v_add_nc_u64_e32 v[8:9], s[22:23], v[8:9]
	v_add_nc_u64_e32 v[10:11], s[22:23], v[10:11]
	;; [unrolled: 1-line block ×15, first 2 shown]
	s_cbranch_vccz .LBB98_28
.LBB98_4:                               ; =>This Inner Loop Header: Depth=1
	v_add_nc_u64_e32 v[44:45], s[24:25], v[0:1]
	s_delay_alu instid0(VALU_DEP_1)
	v_cmp_lt_u64_e32 vcc_lo, v[44:45], v[4:5]
	v_dual_mov_b32 v45, 0 :: v_dual_mov_b32 v44, 0
	s_and_saveexec_b32 s3, vcc_lo
	s_cbranch_execz .LBB98_6
; %bb.5:                                ;   in Loop: Header=BB98_4 Depth=1
	v_add_nc_u64_e32 v[44:45], s[14:15], v[8:9]
	v_add_nc_u64_e32 v[46:47], s[14:15], v[6:7]
	global_load_u16 v48, v[44:45], off
	global_load_u16 v49, v[46:47], off
	s_wait_loadcnt 0x0
	s_wait_xcnt 0x1
	v_dual_lshlrev_b32 v45, 16, v48 :: v_dual_lshlrev_b32 v44, 16, v49
.LBB98_6:                               ;   in Loop: Header=BB98_4 Depth=1
	s_wait_xcnt 0x0
	s_or_b32 exec_lo, exec_lo, s3
	v_dual_mov_b32 v46, 0 :: v_dual_mov_b32 v48, 0
	s_and_saveexec_b32 s3, vcc_lo
	s_cbranch_execz .LBB98_8
; %bb.7:                                ;   in Loop: Header=BB98_4 Depth=1
	v_add_nc_u64_e32 v[48:49], s[14:15], v[10:11]
	global_load_u16 v47, v[48:49], off
	s_wait_loadcnt 0x0
	s_wait_xcnt 0x0
	v_lshlrev_b32_e32 v48, 16, v47
.LBB98_8:                               ;   in Loop: Header=BB98_4 Depth=1
	s_or_b32 exec_lo, exec_lo, s3
	v_add_nc_u64_e32 v[50:51], s[24:25], v[12:13]
	v_mov_b32_e32 v47, 0
	s_delay_alu instid0(VALU_DEP_2)
	v_cmp_lt_u64_e64 s3, v[50:51], v[4:5]
	s_and_saveexec_b32 s4, s3
	s_cbranch_execz .LBB98_10
; %bb.9:                                ;   in Loop: Header=BB98_4 Depth=1
	v_add_nc_u64_e32 v[46:47], s[14:15], v[30:31]
	v_add_nc_u64_e32 v[50:51], s[14:15], v[28:29]
	global_load_u16 v49, v[46:47], off
	global_load_u16 v52, v[50:51], off
	s_wait_loadcnt 0x0
	s_wait_xcnt 0x1
	v_dual_lshlrev_b32 v46, 16, v49 :: v_dual_lshlrev_b32 v47, 16, v52
.LBB98_10:                              ;   in Loop: Header=BB98_4 Depth=1
	s_wait_xcnt 0x0
	s_or_b32 exec_lo, exec_lo, s4
	v_dual_mov_b32 v49, 0 :: v_dual_mov_b32 v51, 0
	s_and_saveexec_b32 s4, s3
	s_cbranch_execz .LBB98_12
; %bb.11:                               ;   in Loop: Header=BB98_4 Depth=1
	v_add_nc_u64_e32 v[50:51], s[14:15], v[40:41]
	global_load_u16 v50, v[50:51], off
	s_wait_loadcnt 0x0
	s_wait_xcnt 0x0
	v_lshlrev_b32_e32 v51, 16, v50
.LBB98_12:                              ;   in Loop: Header=BB98_4 Depth=1
	s_or_b32 exec_lo, exec_lo, s4
	v_add_nc_u64_e32 v[52:53], s[24:25], v[18:19]
	v_mov_b32_e32 v50, 0
	s_delay_alu instid0(VALU_DEP_2)
	v_cmp_lt_u64_e64 s4, v[52:53], v[4:5]
	s_and_saveexec_b32 s5, s4
	s_cbranch_execz .LBB98_14
; %bb.13:                               ;   in Loop: Header=BB98_4 Depth=1
	v_add_nc_u64_e32 v[52:53], s[14:15], v[34:35]
	v_add_nc_u64_e32 v[54:55], s[14:15], v[32:33]
	global_load_u16 v49, v[52:53], off
	global_load_u16 v50, v[54:55], off
	s_wait_loadcnt 0x0
	v_dual_lshlrev_b32 v49, 16, v49 :: v_dual_lshlrev_b32 v50, 16, v50
.LBB98_14:                              ;   in Loop: Header=BB98_4 Depth=1
	s_wait_xcnt 0x0
	s_or_b32 exec_lo, exec_lo, s5
	v_dual_mov_b32 v52, 0 :: v_dual_mov_b32 v53, 0
	s_and_saveexec_b32 s5, s4
	s_cbranch_execz .LBB98_16
; %bb.15:                               ;   in Loop: Header=BB98_4 Depth=1
	v_add_nc_u64_e32 v[54:55], s[14:15], v[36:37]
	global_load_u16 v53, v[54:55], off
	s_wait_loadcnt 0x0
	v_lshlrev_b32_e32 v53, 16, v53
.LBB98_16:                              ;   in Loop: Header=BB98_4 Depth=1
	s_wait_xcnt 0x0
	s_or_b32 exec_lo, exec_lo, s5
	v_add_nc_u64_e32 v[54:55], s[24:25], v[16:17]
	s_delay_alu instid0(VALU_DEP_1)
	v_cmp_lt_u64_e64 s5, v[54:55], v[4:5]
	v_mov_b32_e32 v54, 0
	s_and_saveexec_b32 s17, s5
	s_cbranch_execnz .LBB98_22
; %bb.17:                               ;   in Loop: Header=BB98_4 Depth=1
	s_or_b32 exec_lo, exec_lo, s17
	v_mov_b32_e32 v55, 0
	s_and_saveexec_b32 s17, s5
	s_cbranch_execnz .LBB98_23
.LBB98_18:                              ;   in Loop: Header=BB98_4 Depth=1
	s_or_b32 exec_lo, exec_lo, s17
	s_and_saveexec_b32 s17, vcc_lo
	s_cbranch_execnz .LBB98_24
.LBB98_19:                              ;   in Loop: Header=BB98_4 Depth=1
	s_or_b32 exec_lo, exec_lo, s17
	s_and_saveexec_b32 s17, s3
	s_cbranch_execnz .LBB98_25
.LBB98_20:                              ;   in Loop: Header=BB98_4 Depth=1
	s_or_b32 exec_lo, exec_lo, s17
	s_and_saveexec_b32 s3, s4
	s_cbranch_execnz .LBB98_26
.LBB98_21:                              ;   in Loop: Header=BB98_4 Depth=1
	s_or_b32 exec_lo, exec_lo, s3
	s_and_saveexec_b32 s3, s5
	s_cbranch_execz .LBB98_3
	s_branch .LBB98_27
.LBB98_22:                              ;   in Loop: Header=BB98_4 Depth=1
	v_add_nc_u64_e32 v[54:55], s[14:15], v[22:23]
	v_add_nc_u64_e32 v[56:57], s[14:15], v[20:21]
	global_load_u16 v52, v[54:55], off
	global_load_u16 v58, v[56:57], off
	s_wait_loadcnt 0x0
	s_wait_xcnt 0x1
	v_dual_lshlrev_b32 v52, 16, v52 :: v_dual_lshlrev_b32 v54, 16, v58
	s_wait_xcnt 0x0
	s_or_b32 exec_lo, exec_lo, s17
	v_mov_b32_e32 v55, 0
	s_and_saveexec_b32 s17, s5
	s_cbranch_execz .LBB98_18
.LBB98_23:                              ;   in Loop: Header=BB98_4 Depth=1
	v_add_nc_u64_e32 v[56:57], s[14:15], v[24:25]
	global_load_u16 v55, v[56:57], off
	s_wait_loadcnt 0x0
	v_lshlrev_b32_e32 v55, 16, v55
	s_wait_xcnt 0x0
	s_or_b32 exec_lo, exec_lo, s17
	s_and_saveexec_b32 s17, vcc_lo
	s_cbranch_execz .LBB98_19
.LBB98_24:                              ;   in Loop: Header=BB98_4 Depth=1
	v_dual_mul_f32 v56, v45, v48 :: v_dual_fma_f32 v45, v45, v48, v44
	s_delay_alu instid0(VALU_DEP_1) | instskip(NEXT) | instid1(VALU_DEP_1)
	v_fmac_f32_e32 v44, s16, v56
	v_cndmask_b32_e64 v48, v44, v45, s2
	s_delay_alu instid0(VALU_DEP_1) | instskip(NEXT) | instid1(VALU_DEP_1)
	v_bfe_u32 v44, v48, 16, 1
	v_add3_u32 v44, v48, v44, 0x7fff
	s_delay_alu instid0(VALU_DEP_1) | instskip(SKIP_2) | instid1(VALU_DEP_3)
	v_lshrrev_b32_e32 v56, 16, v44
	v_cmp_o_f32_e32 vcc_lo, v48, v48
	v_add_nc_u64_e32 v[44:45], s[14:15], v[14:15]
	v_cndmask_b32_e32 v48, 0x7fc0, v56, vcc_lo
	global_store_b16 v[44:45], v48, off
	s_wait_xcnt 0x0
	s_or_b32 exec_lo, exec_lo, s17
	s_and_saveexec_b32 s17, s3
	s_cbranch_execz .LBB98_20
.LBB98_25:                              ;   in Loop: Header=BB98_4 Depth=1
	v_dual_mul_f32 v44, v46, v51 :: v_dual_fma_f32 v45, v46, v51, v47
	s_delay_alu instid0(VALU_DEP_1) | instskip(NEXT) | instid1(VALU_DEP_1)
	v_fmac_f32_e32 v47, s16, v44
	v_cndmask_b32_e64 v46, v47, v45, s2
	s_delay_alu instid0(VALU_DEP_1) | instskip(NEXT) | instid1(VALU_DEP_1)
	v_bfe_u32 v44, v46, 16, 1
	v_add3_u32 v44, v46, v44, 0x7fff
	s_delay_alu instid0(VALU_DEP_1) | instskip(SKIP_2) | instid1(VALU_DEP_3)
	v_lshrrev_b32_e32 v47, 16, v44
	v_cmp_o_f32_e32 vcc_lo, v46, v46
	v_add_nc_u64_e32 v[44:45], s[14:15], v[42:43]
	v_cndmask_b32_e32 v46, 0x7fc0, v47, vcc_lo
	global_store_b16 v[44:45], v46, off
	s_wait_xcnt 0x0
	s_or_b32 exec_lo, exec_lo, s17
	s_and_saveexec_b32 s3, s4
	s_cbranch_execz .LBB98_21
.LBB98_26:                              ;   in Loop: Header=BB98_4 Depth=1
	v_dual_mul_f32 v44, v49, v53 :: v_dual_fma_f32 v45, v49, v53, v50
	s_delay_alu instid0(VALU_DEP_1) | instskip(NEXT) | instid1(VALU_DEP_1)
	v_fmac_f32_e32 v50, s16, v44
	v_cndmask_b32_e64 v46, v50, v45, s2
	s_delay_alu instid0(VALU_DEP_1) | instskip(SKIP_1) | instid1(VALU_DEP_2)
	v_bfe_u32 v44, v46, 16, 1
	v_cmp_o_f32_e32 vcc_lo, v46, v46
	v_add3_u32 v44, v46, v44, 0x7fff
	s_delay_alu instid0(VALU_DEP_1) | instskip(SKIP_1) | instid1(VALU_DEP_2)
	v_lshrrev_b32_e32 v47, 16, v44
	v_add_nc_u64_e32 v[44:45], s[14:15], v[38:39]
	v_cndmask_b32_e32 v46, 0x7fc0, v47, vcc_lo
	global_store_b16 v[44:45], v46, off
	s_wait_xcnt 0x0
	s_or_b32 exec_lo, exec_lo, s3
	s_and_saveexec_b32 s3, s5
	s_cbranch_execz .LBB98_3
.LBB98_27:                              ;   in Loop: Header=BB98_4 Depth=1
	v_dual_mul_f32 v44, v52, v55 :: v_dual_fma_f32 v45, v52, v55, v54
	s_delay_alu instid0(VALU_DEP_1) | instskip(NEXT) | instid1(VALU_DEP_1)
	v_fmac_f32_e32 v54, s16, v44
	v_cndmask_b32_e64 v46, v54, v45, s2
	s_delay_alu instid0(VALU_DEP_1) | instskip(SKIP_1) | instid1(VALU_DEP_2)
	v_bfe_u32 v44, v46, 16, 1
	v_cmp_o_f32_e32 vcc_lo, v46, v46
	v_add3_u32 v44, v46, v44, 0x7fff
	s_delay_alu instid0(VALU_DEP_1) | instskip(SKIP_1) | instid1(VALU_DEP_2)
	v_lshrrev_b32_e32 v47, 16, v44
	v_add_nc_u64_e32 v[44:45], s[14:15], v[26:27]
	v_cndmask_b32_e32 v46, 0x7fc0, v47, vcc_lo
	global_store_b16 v[44:45], v46, off
	s_branch .LBB98_3
.LBB98_28:
	s_mov_b32 s2, 0
.LBB98_29:
	s_delay_alu instid0(SALU_CYCLE_1)
	s_and_not1_b32 vcc_lo, exec_lo, s2
	s_cbranch_vccnz .LBB98_33
; %bb.30:
	v_min_i64 v[2:3], 0x10000, s[18:19]
	v_dual_mov_b32 v7, 0 :: v_dual_lshlrev_b32 v6, 2, v0
	s_mov_b32 s2, exec_lo
	s_delay_alu instid0(VALU_DEP_1)
	v_cmpx_lt_i64_e64 v[6:7], v[2:3]
	s_cbranch_execz .LBB98_33
; %bb.31:
	s_load_b32 s0, s[0:1], 0xc84
	v_dual_mov_b32 v1, v7 :: v_dual_lshlrev_b32 v6, 3, v0
	s_wait_kmcnt 0x0
	s_mov_b32 s17, s16
	s_cmp_eq_f32 s16, 1.0
	v_mov_b64_e32 v[4:5], s[16:17]
	s_mov_b32 s3, 0
	v_add_nc_u64_e32 v[6:7], s[14:15], v[6:7]
	s_cselect_b32 vcc_lo, -1, 0
	s_mov_b32 s5, s3
	s_mov_b32 s14, s3
	s_and_b32 s2, s0, 0xffff
	s_delay_alu instid0(SALU_CYCLE_1)
	s_lshl_b32 s4, s2, 3
.LBB98_32:                              ; =>This Inner Loop Header: Depth=1
	s_delay_alu instid0(VALU_DEP_1)
	v_add_nc_u64_e32 v[8:9], s[6:7], v[6:7]
	v_add_nc_u64_e32 v[10:11], s[10:11], v[6:7]
	v_add_nc_u64_e32 v[12:13], s[8:9], v[6:7]
	v_add_nc_u64_e32 v[0:1], s[2:3], v[0:1]
	global_load_b64 v[14:15], v[8:9], off
	global_load_b64 v[16:17], v[10:11], off
	;; [unrolled: 1-line block ×3, first 2 shown]
	s_wait_xcnt 0x2
	v_lshlrev_b64_e32 v[8:9], 2, v[0:1]
	s_wait_loadcnt 0x2
	s_wait_xcnt 0x0
	v_lshlrev_b32_e32 v13, 16, v14
	v_and_b32_e32 v12, 0xffff0000, v14
	s_wait_loadcnt 0x0
	v_dual_lshlrev_b32 v11, 16, v18 :: v_dual_lshlrev_b32 v21, 16, v16
	v_and_b32_e32 v10, 0xffff0000, v18
	v_and_b32_e32 v20, 0xffff0000, v16
	v_alignbit_b32 v24, v19, v18, 16
	v_and_b32_e32 v18, 0xffff0000, v19
	v_alignbit_b32 v19, v15, v14, 16
	v_alignbit_b32 v25, v17, v16, 16
	v_and_b32_e32 v14, 0xffff0000, v15
	v_and_b32_e32 v16, 0xffff0000, v17
	v_pk_mul_f32 v[22:23], v[12:13], v[20:21]
	v_and_b32_e32 v15, 0xffff0000, v19
	v_and_b32_e32 v17, 0xffff0000, v25
	v_pk_fma_f32 v[12:13], v[12:13], v[20:21], v[10:11]
	v_and_b32_e32 v19, 0xffff0000, v24
	v_pk_fma_f32 v[10:11], v[4:5], v[22:23], v[10:11]
	s_delay_alu instid0(VALU_DEP_4) | instskip(NEXT) | instid1(VALU_DEP_3)
	v_pk_mul_f32 v[20:21], v[14:15], v[16:17]
	v_pk_fma_f32 v[14:15], v[14:15], v[16:17], v[18:19]
	s_delay_alu instid0(VALU_DEP_3) | instskip(NEXT) | instid1(VALU_DEP_3)
	v_dual_cndmask_b32 v13, v11, v13 :: v_dual_cndmask_b32 v12, v10, v12
	v_pk_fma_f32 v[10:11], v[4:5], v[20:21], v[18:19]
	s_delay_alu instid0(VALU_DEP_2) | instskip(NEXT) | instid1(VALU_DEP_2)
	v_bfe_u32 v17, v12, 16, 1
	v_cndmask_b32_e32 v11, v11, v15, vcc_lo
	s_delay_alu instid0(VALU_DEP_4) | instskip(NEXT) | instid1(VALU_DEP_4)
	v_bfe_u32 v16, v13, 16, 1
	v_cndmask_b32_e32 v10, v10, v14, vcc_lo
	v_cmp_o_f32_e64 s0, v12, v12
	v_add3_u32 v15, v12, v17, 0x7fff
	v_cmp_o_f32_e64 s1, v13, v13
	v_add3_u32 v14, v13, v16, 0x7fff
	v_bfe_u32 v16, v11, 16, 1
	s_delay_alu instid0(VALU_DEP_4) | instskip(NEXT) | instid1(VALU_DEP_3)
	v_and_b32_e32 v15, 0xffff0000, v15
	v_lshrrev_b32_e32 v14, 16, v14
	v_bfe_u32 v17, v10, 16, 1
	s_delay_alu instid0(VALU_DEP_4) | instskip(NEXT) | instid1(VALU_DEP_4)
	v_add3_u32 v16, v11, v16, 0x7fff
	v_cndmask_b32_e64 v15, 0x7fc00000, v15, s0
	v_cmp_o_f32_e64 s0, v10, v10
	v_cndmask_b32_e64 v12, 0x7fc0, v14, s1
	v_add3_u32 v17, v10, v17, 0x7fff
	v_lshrrev_b32_e32 v13, 16, v16
	v_cmp_o_f32_e64 s1, v11, v11
	s_delay_alu instid0(VALU_DEP_4) | instskip(NEXT) | instid1(VALU_DEP_4)
	v_or_b32_e32 v12, v12, v15
	v_and_b32_e32 v14, 0xffff0000, v17
	s_delay_alu instid0(VALU_DEP_3) | instskip(NEXT) | instid1(VALU_DEP_2)
	v_cndmask_b32_e64 v10, 0x7fc0, v13, s1
	v_cndmask_b32_e64 v11, 0x7fc00000, v14, s0
	v_cmp_ge_i64_e64 s0, v[8:9], v[2:3]
	v_add_nc_u64_e32 v[8:9], s[12:13], v[6:7]
	v_add_nc_u64_e32 v[6:7], s[4:5], v[6:7]
	s_delay_alu instid0(VALU_DEP_4)
	v_or3_b32 v11, 0, v10, v11
	v_or3_b32 v10, v12, 0, 0
	s_or_b32 s14, s0, s14
	global_store_b64 v[8:9], v[10:11], off
	s_wait_xcnt 0x0
	s_and_not1_b32 exec_lo, exec_lo, s14
	s_cbranch_execnz .LBB98_32
.LBB98_33:
	s_endpgm
	.section	.rodata,"a",@progbits
	.p2align	6, 0x0
	.amdhsa_kernel _ZN2at6native12_GLOBAL__N_125multi_tensor_apply_kernelINS1_28TensorListScalarListMetadataIfLi4EEENS1_28PointwiseOpScalarListFunctorIN3c108BFloat16ELi4ELi3ELi3EEEJSt10multipliesIfEEEEvT_T0_DpT1_
		.amdhsa_group_segment_fixed_size 0
		.amdhsa_private_segment_fixed_size 0
		.amdhsa_kernarg_size 3448
		.amdhsa_user_sgpr_count 2
		.amdhsa_user_sgpr_dispatch_ptr 0
		.amdhsa_user_sgpr_queue_ptr 0
		.amdhsa_user_sgpr_kernarg_segment_ptr 1
		.amdhsa_user_sgpr_dispatch_id 0
		.amdhsa_user_sgpr_kernarg_preload_length 0
		.amdhsa_user_sgpr_kernarg_preload_offset 0
		.amdhsa_user_sgpr_private_segment_size 0
		.amdhsa_wavefront_size32 1
		.amdhsa_uses_dynamic_stack 0
		.amdhsa_enable_private_segment 0
		.amdhsa_system_sgpr_workgroup_id_x 1
		.amdhsa_system_sgpr_workgroup_id_y 0
		.amdhsa_system_sgpr_workgroup_id_z 0
		.amdhsa_system_sgpr_workgroup_info 0
		.amdhsa_system_vgpr_workitem_id 0
		.amdhsa_next_free_vgpr 59
		.amdhsa_next_free_sgpr 27
		.amdhsa_named_barrier_count 0
		.amdhsa_reserve_vcc 1
		.amdhsa_float_round_mode_32 0
		.amdhsa_float_round_mode_16_64 0
		.amdhsa_float_denorm_mode_32 3
		.amdhsa_float_denorm_mode_16_64 3
		.amdhsa_fp16_overflow 0
		.amdhsa_memory_ordered 1
		.amdhsa_forward_progress 1
		.amdhsa_inst_pref_size 18
		.amdhsa_round_robin_scheduling 0
		.amdhsa_exception_fp_ieee_invalid_op 0
		.amdhsa_exception_fp_denorm_src 0
		.amdhsa_exception_fp_ieee_div_zero 0
		.amdhsa_exception_fp_ieee_overflow 0
		.amdhsa_exception_fp_ieee_underflow 0
		.amdhsa_exception_fp_ieee_inexact 0
		.amdhsa_exception_int_div_zero 0
	.end_amdhsa_kernel
	.section	.text._ZN2at6native12_GLOBAL__N_125multi_tensor_apply_kernelINS1_28TensorListScalarListMetadataIfLi4EEENS1_28PointwiseOpScalarListFunctorIN3c108BFloat16ELi4ELi3ELi3EEEJSt10multipliesIfEEEEvT_T0_DpT1_,"axG",@progbits,_ZN2at6native12_GLOBAL__N_125multi_tensor_apply_kernelINS1_28TensorListScalarListMetadataIfLi4EEENS1_28PointwiseOpScalarListFunctorIN3c108BFloat16ELi4ELi3ELi3EEEJSt10multipliesIfEEEEvT_T0_DpT1_,comdat
.Lfunc_end98:
	.size	_ZN2at6native12_GLOBAL__N_125multi_tensor_apply_kernelINS1_28TensorListScalarListMetadataIfLi4EEENS1_28PointwiseOpScalarListFunctorIN3c108BFloat16ELi4ELi3ELi3EEEJSt10multipliesIfEEEEvT_T0_DpT1_, .Lfunc_end98-_ZN2at6native12_GLOBAL__N_125multi_tensor_apply_kernelINS1_28TensorListScalarListMetadataIfLi4EEENS1_28PointwiseOpScalarListFunctorIN3c108BFloat16ELi4ELi3ELi3EEEJSt10multipliesIfEEEEvT_T0_DpT1_
                                        ; -- End function
	.set _ZN2at6native12_GLOBAL__N_125multi_tensor_apply_kernelINS1_28TensorListScalarListMetadataIfLi4EEENS1_28PointwiseOpScalarListFunctorIN3c108BFloat16ELi4ELi3ELi3EEEJSt10multipliesIfEEEEvT_T0_DpT1_.num_vgpr, 59
	.set _ZN2at6native12_GLOBAL__N_125multi_tensor_apply_kernelINS1_28TensorListScalarListMetadataIfLi4EEENS1_28PointwiseOpScalarListFunctorIN3c108BFloat16ELi4ELi3ELi3EEEJSt10multipliesIfEEEEvT_T0_DpT1_.num_agpr, 0
	.set _ZN2at6native12_GLOBAL__N_125multi_tensor_apply_kernelINS1_28TensorListScalarListMetadataIfLi4EEENS1_28PointwiseOpScalarListFunctorIN3c108BFloat16ELi4ELi3ELi3EEEJSt10multipliesIfEEEEvT_T0_DpT1_.numbered_sgpr, 27
	.set _ZN2at6native12_GLOBAL__N_125multi_tensor_apply_kernelINS1_28TensorListScalarListMetadataIfLi4EEENS1_28PointwiseOpScalarListFunctorIN3c108BFloat16ELi4ELi3ELi3EEEJSt10multipliesIfEEEEvT_T0_DpT1_.num_named_barrier, 0
	.set _ZN2at6native12_GLOBAL__N_125multi_tensor_apply_kernelINS1_28TensorListScalarListMetadataIfLi4EEENS1_28PointwiseOpScalarListFunctorIN3c108BFloat16ELi4ELi3ELi3EEEJSt10multipliesIfEEEEvT_T0_DpT1_.private_seg_size, 0
	.set _ZN2at6native12_GLOBAL__N_125multi_tensor_apply_kernelINS1_28TensorListScalarListMetadataIfLi4EEENS1_28PointwiseOpScalarListFunctorIN3c108BFloat16ELi4ELi3ELi3EEEJSt10multipliesIfEEEEvT_T0_DpT1_.uses_vcc, 1
	.set _ZN2at6native12_GLOBAL__N_125multi_tensor_apply_kernelINS1_28TensorListScalarListMetadataIfLi4EEENS1_28PointwiseOpScalarListFunctorIN3c108BFloat16ELi4ELi3ELi3EEEJSt10multipliesIfEEEEvT_T0_DpT1_.uses_flat_scratch, 0
	.set _ZN2at6native12_GLOBAL__N_125multi_tensor_apply_kernelINS1_28TensorListScalarListMetadataIfLi4EEENS1_28PointwiseOpScalarListFunctorIN3c108BFloat16ELi4ELi3ELi3EEEJSt10multipliesIfEEEEvT_T0_DpT1_.has_dyn_sized_stack, 0
	.set _ZN2at6native12_GLOBAL__N_125multi_tensor_apply_kernelINS1_28TensorListScalarListMetadataIfLi4EEENS1_28PointwiseOpScalarListFunctorIN3c108BFloat16ELi4ELi3ELi3EEEJSt10multipliesIfEEEEvT_T0_DpT1_.has_recursion, 0
	.set _ZN2at6native12_GLOBAL__N_125multi_tensor_apply_kernelINS1_28TensorListScalarListMetadataIfLi4EEENS1_28PointwiseOpScalarListFunctorIN3c108BFloat16ELi4ELi3ELi3EEEJSt10multipliesIfEEEEvT_T0_DpT1_.has_indirect_call, 0
	.section	.AMDGPU.csdata,"",@progbits
; Kernel info:
; codeLenInByte = 2268
; TotalNumSgprs: 29
; NumVgprs: 59
; ScratchSize: 0
; MemoryBound: 0
; FloatMode: 240
; IeeeMode: 1
; LDSByteSize: 0 bytes/workgroup (compile time only)
; SGPRBlocks: 0
; VGPRBlocks: 3
; NumSGPRsForWavesPerEU: 29
; NumVGPRsForWavesPerEU: 59
; NamedBarCnt: 0
; Occupancy: 16
; WaveLimiterHint : 0
; COMPUTE_PGM_RSRC2:SCRATCH_EN: 0
; COMPUTE_PGM_RSRC2:USER_SGPR: 2
; COMPUTE_PGM_RSRC2:TRAP_HANDLER: 0
; COMPUTE_PGM_RSRC2:TGID_X_EN: 1
; COMPUTE_PGM_RSRC2:TGID_Y_EN: 0
; COMPUTE_PGM_RSRC2:TGID_Z_EN: 0
; COMPUTE_PGM_RSRC2:TIDIG_COMP_CNT: 0
	.section	.text._ZN2at6native12_GLOBAL__N_125multi_tensor_apply_kernelINS1_28TensorListScalarListMetadataIhLi3EEENS1_28PointwiseOpScalarListFunctorIhLi3ELi3ELi0EEEJSt10multipliesIhEEEEvT_T0_DpT1_,"axG",@progbits,_ZN2at6native12_GLOBAL__N_125multi_tensor_apply_kernelINS1_28TensorListScalarListMetadataIhLi3EEENS1_28PointwiseOpScalarListFunctorIhLi3ELi3ELi0EEEJSt10multipliesIhEEEEvT_T0_DpT1_,comdat
	.globl	_ZN2at6native12_GLOBAL__N_125multi_tensor_apply_kernelINS1_28TensorListScalarListMetadataIhLi3EEENS1_28PointwiseOpScalarListFunctorIhLi3ELi3ELi0EEEJSt10multipliesIhEEEEvT_T0_DpT1_ ; -- Begin function _ZN2at6native12_GLOBAL__N_125multi_tensor_apply_kernelINS1_28TensorListScalarListMetadataIhLi3EEENS1_28PointwiseOpScalarListFunctorIhLi3ELi3ELi0EEEJSt10multipliesIhEEEEvT_T0_DpT1_
	.p2align	8
	.type	_ZN2at6native12_GLOBAL__N_125multi_tensor_apply_kernelINS1_28TensorListScalarListMetadataIhLi3EEENS1_28PointwiseOpScalarListFunctorIhLi3ELi3ELi0EEEJSt10multipliesIhEEEEvT_T0_DpT1_,@function
_ZN2at6native12_GLOBAL__N_125multi_tensor_apply_kernelINS1_28TensorListScalarListMetadataIhLi3EEENS1_28PointwiseOpScalarListFunctorIhLi3ELi3ELi0EEEJSt10multipliesIhEEEEvT_T0_DpT1_: ; @_ZN2at6native12_GLOBAL__N_125multi_tensor_apply_kernelINS1_28TensorListScalarListMetadataIhLi3EEENS1_28PointwiseOpScalarListFunctorIhLi3ELi3ELi0EEEJSt10multipliesIhEEEEvT_T0_DpT1_
; %bb.0:
	s_bfe_u32 s2, ttmp6, 0x4000c
	s_and_b32 s3, ttmp6, 15
	s_add_co_i32 s2, s2, 1
	s_getreg_b32 s4, hwreg(HW_REG_IB_STS2, 6, 4)
	s_mul_i32 s2, ttmp9, s2
	v_mov_b32_e32 v3, 0
	s_add_co_i32 s3, s3, s2
	s_cmp_eq_u32 s4, 0
	s_cselect_b32 s2, ttmp9, s3
	s_mov_b32 s3, 0
	v_mov_b32_e32 v1, s2
	s_add_nc_u64 s[4:5], s[0:1], s[2:3]
	s_mul_u64 s[6:7], s[2:3], 3
	s_delay_alu instid0(SALU_CYCLE_1) | instskip(SKIP_4) | instid1(SALU_CYCLE_1)
	s_add_nc_u64 s[4:5], s[4:5], s[6:7]
	global_load_u8 v1, v1, s[0:1] offset:1584
	s_load_b32 s4, s[4:5], 0x770
	s_wait_kmcnt 0x0
	s_ashr_i32 s5, s4, 31
	s_lshl_b64 s[12:13], s[4:5], 16
	s_wait_loadcnt 0x0
	v_readfirstlane_b32 s2, v1
	s_delay_alu instid0(VALU_DEP_1) | instskip(SKIP_1) | instid1(VALU_DEP_1)
	v_mov_b32_e32 v2, s2
	s_and_b32 s2, s2, 0xff
	v_and_b32_e32 v2, 0xff, v2
	s_delay_alu instid0(VALU_DEP_1)
	v_add_nc_u64_e32 v[2:3], s[0:1], v[2:3]
	global_load_u8 v36, v[2:3], off offset:1536
	s_clause 0x3
	s_load_b64 s[6:7], s[0:1], s2 offset:0x180 scale_offset
	s_load_b64 s[8:9], s[0:1], s2 offset:0x300 scale_offset
	;; [unrolled: 1-line block ×4, first 2 shown]
	s_wait_kmcnt 0x0
	s_add_nc_u64 s[4:5], s[6:7], s[12:13]
	s_delay_alu instid0(SALU_CYCLE_1) | instskip(SKIP_2) | instid1(SALU_CYCLE_1)
	s_or_b32 s2, s8, s4
	s_add_nc_u64 s[4:5], s[10:11], s[12:13]
	s_and_b32 s2, s2, 3
	s_cmp_eq_u32 s2, 0
	s_cselect_b32 s16, -1, 0
	s_or_b64 s[4:5], s[14:15], s[4:5]
	s_sub_nc_u64 s[14:15], s[14:15], s[12:13]
	s_and_b32 s2, s4, 3
	s_delay_alu instid0(SALU_CYCLE_1) | instskip(SKIP_1) | instid1(SALU_CYCLE_1)
	s_cmp_eq_u64 s[2:3], 0
	s_cselect_b32 s2, -1, 0
	s_and_b32 s2, s16, s2
	s_delay_alu instid0(SALU_CYCLE_1)
	s_and_b32 vcc_lo, exec_lo, s2
	s_mov_b32 s2, -1
	s_cbranch_vccnz .LBB99_29
; %bb.1:
	v_cmp_lt_i64_e64 s2, s[14:15], 1
	s_and_b32 vcc_lo, exec_lo, s2
	s_cbranch_vccnz .LBB99_28
; %bb.2:
	s_load_b32 s2, s[0:1], 0xc84
	v_min_i64 v[2:3], 0x10000, s[14:15]
	v_min_u64 v[4:5], 0x10000, s[14:15]
	v_mov_b32_e32 v1, 0
	s_mov_b32 s17, 0
	s_delay_alu instid0(SALU_CYCLE_1) | instskip(SKIP_1) | instid1(VALU_DEP_1)
	s_mov_b32 s3, s17
	s_mov_b32 s5, s17
	v_add_nc_u64_e32 v[12:13], s[12:13], v[0:1]
	s_delay_alu instid0(VALU_DEP_1) | instskip(SKIP_4) | instid1(SALU_CYCLE_1)
	v_add_nc_u64_e32 v[6:7], s[10:11], v[12:13]
	v_add_nc_u64_e32 v[8:9], s[6:7], v[12:13]
	;; [unrolled: 1-line block ×3, first 2 shown]
	s_wait_kmcnt 0x0
	s_and_b32 s16, s2, 0xffff
	s_lshl_b32 s2, s16, 1
	s_mul_i32 s4, s16, 3
	v_add_nc_u64_e32 v[20:21], s[16:17], v[12:13]
	s_add_nc_u64 s[18:19], s[12:13], s[4:5]
	v_add_nc_u64_e32 v[12:13], s[4:5], v[0:1]
	s_add_nc_u64 s[4:5], s[12:13], s[2:3]
	v_add_nc_u64_e32 v[26:27], s[18:19], v[0:1]
	v_add_nc_u64_e32 v[32:33], s[4:5], v[0:1]
	;; [unrolled: 1-line block ×13, first 2 shown]
	s_lshl_b32 s16, s16, 2
	s_mov_b64 s[18:19], 0
	s_branch .LBB99_4
.LBB99_3:                               ;   in Loop: Header=BB99_4 Depth=1
	s_wait_xcnt 0x0
	s_or_b32 exec_lo, exec_lo, s2
	s_add_nc_u64 s[18:19], s[18:19], s[16:17]
	s_delay_alu instid0(SALU_CYCLE_1)
	v_cmp_lt_i64_e32 vcc_lo, s[18:19], v[2:3]
	s_cbranch_vccz .LBB99_28
.LBB99_4:                               ; =>This Inner Loop Header: Depth=1
	s_wait_loadcnt 0x0
	v_add_nc_u64_e32 v[38:39], s[18:19], v[0:1]
	v_mov_b32_e32 v37, 0
	s_delay_alu instid0(VALU_DEP_2)
	v_cmp_lt_u64_e32 vcc_lo, v[38:39], v[4:5]
	v_mov_b32_e32 v38, 0
	s_and_saveexec_b32 s2, vcc_lo
	s_cbranch_execz .LBB99_6
; %bb.5:                                ;   in Loop: Header=BB99_4 Depth=1
	v_add_nc_u64_e32 v[40:41], s[18:19], v[6:7]
	v_add_nc_u64_e32 v[42:43], s[18:19], v[8:9]
	global_load_u8 v37, v[40:41], off
	global_load_u8 v38, v[42:43], off
.LBB99_6:                               ;   in Loop: Header=BB99_4 Depth=1
	s_wait_xcnt 0x0
	s_or_b32 exec_lo, exec_lo, s2
	v_dual_mov_b32 v39, 0 :: v_dual_mov_b32 v40, 0
	s_and_saveexec_b32 s2, vcc_lo
	s_cbranch_execz .LBB99_8
; %bb.7:                                ;   in Loop: Header=BB99_4 Depth=1
	v_add_nc_u64_e32 v[40:41], s[18:19], v[10:11]
	global_load_u8 v40, v[40:41], off
.LBB99_8:                               ;   in Loop: Header=BB99_4 Depth=1
	s_wait_xcnt 0x0
	s_or_b32 exec_lo, exec_lo, s2
	v_add_nc_u64_e32 v[42:43], s[18:19], v[34:35]
	v_mov_b32_e32 v41, 0
	s_delay_alu instid0(VALU_DEP_2)
	v_cmp_lt_u64_e64 s2, v[42:43], v[4:5]
	s_and_saveexec_b32 s3, s2
	s_cbranch_execz .LBB99_10
; %bb.9:                                ;   in Loop: Header=BB99_4 Depth=1
	v_add_nc_u64_e32 v[42:43], s[18:19], v[16:17]
	v_add_nc_u64_e32 v[44:45], s[18:19], v[18:19]
	global_load_u8 v41, v[42:43], off
	global_load_u8 v39, v[44:45], off
.LBB99_10:                              ;   in Loop: Header=BB99_4 Depth=1
	s_wait_xcnt 0x0
	s_or_b32 exec_lo, exec_lo, s3
	v_dual_mov_b32 v42, 0 :: v_dual_mov_b32 v43, 0
	s_and_saveexec_b32 s3, s2
	s_cbranch_execz .LBB99_12
; %bb.11:                               ;   in Loop: Header=BB99_4 Depth=1
	v_add_nc_u64_e32 v[44:45], s[18:19], v[20:21]
	global_load_u8 v43, v[44:45], off
.LBB99_12:                              ;   in Loop: Header=BB99_4 Depth=1
	s_wait_xcnt 0x0
	s_or_b32 exec_lo, exec_lo, s3
	v_add_nc_u64_e32 v[44:45], s[18:19], v[14:15]
	s_delay_alu instid0(VALU_DEP_1)
	v_cmp_lt_u64_e64 s3, v[44:45], v[4:5]
	v_mov_b32_e32 v44, 0
	s_and_saveexec_b32 s4, s3
	s_cbranch_execz .LBB99_14
; %bb.13:                               ;   in Loop: Header=BB99_4 Depth=1
	v_add_nc_u64_e32 v[46:47], s[18:19], v[28:29]
	v_add_nc_u64_e32 v[48:49], s[18:19], v[30:31]
	global_load_u8 v44, v[46:47], off
	global_load_u8 v42, v[48:49], off
.LBB99_14:                              ;   in Loop: Header=BB99_4 Depth=1
	s_wait_xcnt 0x0
	s_or_b32 exec_lo, exec_lo, s4
	v_dual_mov_b32 v45, 0 :: v_dual_mov_b32 v46, 0
	s_and_saveexec_b32 s4, s3
	s_cbranch_execz .LBB99_16
; %bb.15:                               ;   in Loop: Header=BB99_4 Depth=1
	v_add_nc_u64_e32 v[46:47], s[18:19], v[32:33]
	global_load_u8 v46, v[46:47], off
.LBB99_16:                              ;   in Loop: Header=BB99_4 Depth=1
	s_wait_xcnt 0x0
	s_or_b32 exec_lo, exec_lo, s4
	v_add_nc_u64_e32 v[48:49], s[18:19], v[12:13]
	v_mov_b32_e32 v47, 0
	s_delay_alu instid0(VALU_DEP_2)
	v_cmp_lt_u64_e64 s4, v[48:49], v[4:5]
	s_and_saveexec_b32 s5, s4
	s_cbranch_execnz .LBB99_22
; %bb.17:                               ;   in Loop: Header=BB99_4 Depth=1
	s_or_b32 exec_lo, exec_lo, s5
	v_mov_b32_e32 v48, 0
	s_and_saveexec_b32 s5, s4
	s_cbranch_execnz .LBB99_23
.LBB99_18:                              ;   in Loop: Header=BB99_4 Depth=1
	s_or_b32 exec_lo, exec_lo, s5
	s_and_saveexec_b32 s5, vcc_lo
	s_cbranch_execnz .LBB99_24
.LBB99_19:                              ;   in Loop: Header=BB99_4 Depth=1
	s_or_b32 exec_lo, exec_lo, s5
	s_and_saveexec_b32 s5, s2
	s_cbranch_execnz .LBB99_25
.LBB99_20:                              ;   in Loop: Header=BB99_4 Depth=1
	s_or_b32 exec_lo, exec_lo, s5
	s_and_saveexec_b32 s2, s3
	s_cbranch_execnz .LBB99_26
.LBB99_21:                              ;   in Loop: Header=BB99_4 Depth=1
	s_or_b32 exec_lo, exec_lo, s2
	s_and_saveexec_b32 s2, s4
	s_cbranch_execz .LBB99_3
	s_branch .LBB99_27
.LBB99_22:                              ;   in Loop: Header=BB99_4 Depth=1
	v_add_nc_u64_e32 v[48:49], s[18:19], v[22:23]
	v_add_nc_u64_e32 v[50:51], s[18:19], v[24:25]
	global_load_u8 v47, v[48:49], off
	global_load_u8 v45, v[50:51], off
	s_wait_xcnt 0x0
	s_or_b32 exec_lo, exec_lo, s5
	v_mov_b32_e32 v48, 0
	s_and_saveexec_b32 s5, s4
	s_cbranch_execz .LBB99_18
.LBB99_23:                              ;   in Loop: Header=BB99_4 Depth=1
	v_add_nc_u64_e32 v[48:49], s[18:19], v[26:27]
	global_load_u8 v48, v[48:49], off
	s_wait_xcnt 0x0
	s_or_b32 exec_lo, exec_lo, s5
	s_and_saveexec_b32 s5, vcc_lo
	s_cbranch_execz .LBB99_19
.LBB99_24:                              ;   in Loop: Header=BB99_4 Depth=1
	s_wait_loadcnt 0x0
	v_mul_lo_u16 v38, v38, v36
	v_add_nc_u64_e32 v[50:51], s[18:19], v[6:7]
	s_delay_alu instid0(VALU_DEP_2)
	v_mad_u16 v37, v38, v40, v37
	global_store_b8 v[50:51], v37, off
	s_wait_xcnt 0x0
	s_or_b32 exec_lo, exec_lo, s5
	s_and_saveexec_b32 s5, s2
	s_cbranch_execz .LBB99_20
.LBB99_25:                              ;   in Loop: Header=BB99_4 Depth=1
	s_wait_loadcnt 0x0
	v_mul_lo_u16 v37, v39, v36
	v_add_nc_u64_e32 v[38:39], s[18:19], v[16:17]
	s_delay_alu instid0(VALU_DEP_2)
	v_mad_u16 v37, v37, v43, v41
	global_store_b8 v[38:39], v37, off
	s_wait_xcnt 0x0
	s_or_b32 exec_lo, exec_lo, s5
	s_and_saveexec_b32 s2, s3
	s_cbranch_execz .LBB99_21
.LBB99_26:                              ;   in Loop: Header=BB99_4 Depth=1
	s_wait_loadcnt 0x0
	v_mul_lo_u16 v37, v42, v36
	v_add_nc_u64_e32 v[38:39], s[18:19], v[28:29]
	s_delay_alu instid0(VALU_DEP_2)
	v_mad_u16 v37, v37, v46, v44
	global_store_b8 v[38:39], v37, off
	s_wait_xcnt 0x0
	s_or_b32 exec_lo, exec_lo, s2
	s_and_saveexec_b32 s2, s4
	s_cbranch_execz .LBB99_3
.LBB99_27:                              ;   in Loop: Header=BB99_4 Depth=1
	s_wait_loadcnt 0x0
	v_mul_lo_u16 v37, v45, v36
	v_add_nc_u64_e32 v[38:39], s[18:19], v[22:23]
	s_delay_alu instid0(VALU_DEP_2)
	v_mad_u16 v37, v37, v48, v47
	global_store_b8 v[38:39], v37, off
	s_branch .LBB99_3
.LBB99_28:
	s_mov_b32 s2, 0
.LBB99_29:
	s_delay_alu instid0(SALU_CYCLE_1)
	s_and_not1_b32 vcc_lo, exec_lo, s2
	s_cbranch_vccnz .LBB99_33
; %bb.30:
	v_min_i64 v[2:3], 0x10000, s[14:15]
	v_dual_mov_b32 v5, 0 :: v_dual_lshlrev_b32 v4, 2, v0
	s_mov_b32 s2, exec_lo
	s_delay_alu instid0(VALU_DEP_1)
	v_cmpx_lt_i64_e64 v[4:5], v[2:3]
	s_cbranch_execz .LBB99_33
; %bb.31:
	s_load_b32 s0, s[0:1], 0xc84
	v_mov_b32_e32 v1, v5
	v_add_nc_u64_e32 v[4:5], s[12:13], v[4:5]
	s_wait_xcnt 0x0
	s_mov_b32 s1, 0
	s_delay_alu instid0(SALU_CYCLE_1) | instskip(SKIP_3) | instid1(SALU_CYCLE_1)
	s_mov_b32 s3, s1
	s_mov_b32 s4, s1
	s_wait_kmcnt 0x0
	s_and_b32 s0, s0, 0xffff
	s_lshl_b32 s2, s0, 2
.LBB99_32:                              ; =>This Inner Loop Header: Depth=1
	v_add_nc_u64_e32 v[6:7], s[6:7], v[4:5]
	v_add_nc_u64_e32 v[8:9], s[10:11], v[4:5]
	;; [unrolled: 1-line block ×5, first 2 shown]
	global_load_b32 v12, v[6:7], off
	global_load_b32 v13, v[8:9], off
	;; [unrolled: 1-line block ×3, first 2 shown]
	s_wait_loadcnt 0x2
	s_wait_xcnt 0x0
	v_mul_lo_u16 v10, v36, v12
	s_wait_loadcnt 0x1
	v_dual_lshrrev_b32 v6, 8, v13 :: v_dual_lshrrev_b32 v7, 8, v12
	s_wait_loadcnt 0x0
	v_dual_lshrrev_b32 v11, 8, v14 :: v_dual_lshrrev_b32 v15, 16, v12
	v_dual_lshrrev_b32 v16, 16, v13 :: v_dual_lshrrev_b32 v17, 16, v14
	;; [unrolled: 1-line block ×3, first 2 shown]
	v_mul_lo_u16 v7, v36, v7
	s_delay_alu instid0(VALU_DEP_4) | instskip(SKIP_1) | instid1(VALU_DEP_4)
	v_mul_lo_u16 v15, v36, v15
	v_lshrrev_b32_e32 v19, 24, v14
	v_mul_lo_u16 v12, v36, v12
	v_mad_u16 v10, v10, v14, v13
	v_mad_u16 v11, v7, v11, v6
	;; [unrolled: 1-line block ×3, first 2 shown]
	v_lshlrev_b64_e32 v[6:7], 2, v[0:1]
	v_mad_u16 v12, v12, v19, v18
	s_delay_alu instid0(VALU_DEP_4) | instskip(NEXT) | instid1(VALU_DEP_4)
	v_and_b32_e32 v11, 0xff, v11
	v_and_b32_e32 v13, 0xff, v15
	s_delay_alu instid0(VALU_DEP_3) | instskip(SKIP_1) | instid1(VALU_DEP_4)
	v_lshlrev_b32_e32 v12, 24, v12
	v_cmp_ge_i64_e32 vcc_lo, v[6:7], v[2:3]
	v_perm_b32 v10, v11, v10, 0x6050400
	s_delay_alu instid0(VALU_DEP_4) | instskip(SKIP_1) | instid1(VALU_DEP_1)
	v_lshlrev_b32_e32 v11, 16, v13
	s_or_b32 s4, vcc_lo, s4
	v_or3_b32 v6, v10, v11, v12
	global_store_b32 v[8:9], v6, off
	s_wait_xcnt 0x0
	s_and_not1_b32 exec_lo, exec_lo, s4
	s_cbranch_execnz .LBB99_32
.LBB99_33:
	s_endpgm
	.section	.rodata,"a",@progbits
	.p2align	6, 0x0
	.amdhsa_kernel _ZN2at6native12_GLOBAL__N_125multi_tensor_apply_kernelINS1_28TensorListScalarListMetadataIhLi3EEENS1_28PointwiseOpScalarListFunctorIhLi3ELi3ELi0EEEJSt10multipliesIhEEEEvT_T0_DpT1_
		.amdhsa_group_segment_fixed_size 0
		.amdhsa_private_segment_fixed_size 0
		.amdhsa_kernarg_size 3448
		.amdhsa_user_sgpr_count 2
		.amdhsa_user_sgpr_dispatch_ptr 0
		.amdhsa_user_sgpr_queue_ptr 0
		.amdhsa_user_sgpr_kernarg_segment_ptr 1
		.amdhsa_user_sgpr_dispatch_id 0
		.amdhsa_user_sgpr_kernarg_preload_length 0
		.amdhsa_user_sgpr_kernarg_preload_offset 0
		.amdhsa_user_sgpr_private_segment_size 0
		.amdhsa_wavefront_size32 1
		.amdhsa_uses_dynamic_stack 0
		.amdhsa_enable_private_segment 0
		.amdhsa_system_sgpr_workgroup_id_x 1
		.amdhsa_system_sgpr_workgroup_id_y 0
		.amdhsa_system_sgpr_workgroup_id_z 0
		.amdhsa_system_sgpr_workgroup_info 0
		.amdhsa_system_vgpr_workitem_id 0
		.amdhsa_next_free_vgpr 52
		.amdhsa_next_free_sgpr 20
		.amdhsa_named_barrier_count 0
		.amdhsa_reserve_vcc 1
		.amdhsa_float_round_mode_32 0
		.amdhsa_float_round_mode_16_64 0
		.amdhsa_float_denorm_mode_32 3
		.amdhsa_float_denorm_mode_16_64 3
		.amdhsa_fp16_overflow 0
		.amdhsa_memory_ordered 1
		.amdhsa_forward_progress 1
		.amdhsa_inst_pref_size 13
		.amdhsa_round_robin_scheduling 0
		.amdhsa_exception_fp_ieee_invalid_op 0
		.amdhsa_exception_fp_denorm_src 0
		.amdhsa_exception_fp_ieee_div_zero 0
		.amdhsa_exception_fp_ieee_overflow 0
		.amdhsa_exception_fp_ieee_underflow 0
		.amdhsa_exception_fp_ieee_inexact 0
		.amdhsa_exception_int_div_zero 0
	.end_amdhsa_kernel
	.section	.text._ZN2at6native12_GLOBAL__N_125multi_tensor_apply_kernelINS1_28TensorListScalarListMetadataIhLi3EEENS1_28PointwiseOpScalarListFunctorIhLi3ELi3ELi0EEEJSt10multipliesIhEEEEvT_T0_DpT1_,"axG",@progbits,_ZN2at6native12_GLOBAL__N_125multi_tensor_apply_kernelINS1_28TensorListScalarListMetadataIhLi3EEENS1_28PointwiseOpScalarListFunctorIhLi3ELi3ELi0EEEJSt10multipliesIhEEEEvT_T0_DpT1_,comdat
.Lfunc_end99:
	.size	_ZN2at6native12_GLOBAL__N_125multi_tensor_apply_kernelINS1_28TensorListScalarListMetadataIhLi3EEENS1_28PointwiseOpScalarListFunctorIhLi3ELi3ELi0EEEJSt10multipliesIhEEEEvT_T0_DpT1_, .Lfunc_end99-_ZN2at6native12_GLOBAL__N_125multi_tensor_apply_kernelINS1_28TensorListScalarListMetadataIhLi3EEENS1_28PointwiseOpScalarListFunctorIhLi3ELi3ELi0EEEJSt10multipliesIhEEEEvT_T0_DpT1_
                                        ; -- End function
	.set _ZN2at6native12_GLOBAL__N_125multi_tensor_apply_kernelINS1_28TensorListScalarListMetadataIhLi3EEENS1_28PointwiseOpScalarListFunctorIhLi3ELi3ELi0EEEJSt10multipliesIhEEEEvT_T0_DpT1_.num_vgpr, 52
	.set _ZN2at6native12_GLOBAL__N_125multi_tensor_apply_kernelINS1_28TensorListScalarListMetadataIhLi3EEENS1_28PointwiseOpScalarListFunctorIhLi3ELi3ELi0EEEJSt10multipliesIhEEEEvT_T0_DpT1_.num_agpr, 0
	.set _ZN2at6native12_GLOBAL__N_125multi_tensor_apply_kernelINS1_28TensorListScalarListMetadataIhLi3EEENS1_28PointwiseOpScalarListFunctorIhLi3ELi3ELi0EEEJSt10multipliesIhEEEEvT_T0_DpT1_.numbered_sgpr, 20
	.set _ZN2at6native12_GLOBAL__N_125multi_tensor_apply_kernelINS1_28TensorListScalarListMetadataIhLi3EEENS1_28PointwiseOpScalarListFunctorIhLi3ELi3ELi0EEEJSt10multipliesIhEEEEvT_T0_DpT1_.num_named_barrier, 0
	.set _ZN2at6native12_GLOBAL__N_125multi_tensor_apply_kernelINS1_28TensorListScalarListMetadataIhLi3EEENS1_28PointwiseOpScalarListFunctorIhLi3ELi3ELi0EEEJSt10multipliesIhEEEEvT_T0_DpT1_.private_seg_size, 0
	.set _ZN2at6native12_GLOBAL__N_125multi_tensor_apply_kernelINS1_28TensorListScalarListMetadataIhLi3EEENS1_28PointwiseOpScalarListFunctorIhLi3ELi3ELi0EEEJSt10multipliesIhEEEEvT_T0_DpT1_.uses_vcc, 1
	.set _ZN2at6native12_GLOBAL__N_125multi_tensor_apply_kernelINS1_28TensorListScalarListMetadataIhLi3EEENS1_28PointwiseOpScalarListFunctorIhLi3ELi3ELi0EEEJSt10multipliesIhEEEEvT_T0_DpT1_.uses_flat_scratch, 0
	.set _ZN2at6native12_GLOBAL__N_125multi_tensor_apply_kernelINS1_28TensorListScalarListMetadataIhLi3EEENS1_28PointwiseOpScalarListFunctorIhLi3ELi3ELi0EEEJSt10multipliesIhEEEEvT_T0_DpT1_.has_dyn_sized_stack, 0
	.set _ZN2at6native12_GLOBAL__N_125multi_tensor_apply_kernelINS1_28TensorListScalarListMetadataIhLi3EEENS1_28PointwiseOpScalarListFunctorIhLi3ELi3ELi0EEEJSt10multipliesIhEEEEvT_T0_DpT1_.has_recursion, 0
	.set _ZN2at6native12_GLOBAL__N_125multi_tensor_apply_kernelINS1_28TensorListScalarListMetadataIhLi3EEENS1_28PointwiseOpScalarListFunctorIhLi3ELi3ELi0EEEJSt10multipliesIhEEEEvT_T0_DpT1_.has_indirect_call, 0
	.section	.AMDGPU.csdata,"",@progbits
; Kernel info:
; codeLenInByte = 1588
; TotalNumSgprs: 22
; NumVgprs: 52
; ScratchSize: 0
; MemoryBound: 0
; FloatMode: 240
; IeeeMode: 1
; LDSByteSize: 0 bytes/workgroup (compile time only)
; SGPRBlocks: 0
; VGPRBlocks: 3
; NumSGPRsForWavesPerEU: 22
; NumVGPRsForWavesPerEU: 52
; NamedBarCnt: 0
; Occupancy: 16
; WaveLimiterHint : 0
; COMPUTE_PGM_RSRC2:SCRATCH_EN: 0
; COMPUTE_PGM_RSRC2:USER_SGPR: 2
; COMPUTE_PGM_RSRC2:TRAP_HANDLER: 0
; COMPUTE_PGM_RSRC2:TGID_X_EN: 1
; COMPUTE_PGM_RSRC2:TGID_Y_EN: 0
; COMPUTE_PGM_RSRC2:TGID_Z_EN: 0
; COMPUTE_PGM_RSRC2:TIDIG_COMP_CNT: 0
	.section	.text._ZN2at6native12_GLOBAL__N_125multi_tensor_apply_kernelINS1_28TensorListScalarListMetadataIaLi3EEENS1_28PointwiseOpScalarListFunctorIaLi3ELi3ELi0EEEJSt10multipliesIaEEEEvT_T0_DpT1_,"axG",@progbits,_ZN2at6native12_GLOBAL__N_125multi_tensor_apply_kernelINS1_28TensorListScalarListMetadataIaLi3EEENS1_28PointwiseOpScalarListFunctorIaLi3ELi3ELi0EEEJSt10multipliesIaEEEEvT_T0_DpT1_,comdat
	.globl	_ZN2at6native12_GLOBAL__N_125multi_tensor_apply_kernelINS1_28TensorListScalarListMetadataIaLi3EEENS1_28PointwiseOpScalarListFunctorIaLi3ELi3ELi0EEEJSt10multipliesIaEEEEvT_T0_DpT1_ ; -- Begin function _ZN2at6native12_GLOBAL__N_125multi_tensor_apply_kernelINS1_28TensorListScalarListMetadataIaLi3EEENS1_28PointwiseOpScalarListFunctorIaLi3ELi3ELi0EEEJSt10multipliesIaEEEEvT_T0_DpT1_
	.p2align	8
	.type	_ZN2at6native12_GLOBAL__N_125multi_tensor_apply_kernelINS1_28TensorListScalarListMetadataIaLi3EEENS1_28PointwiseOpScalarListFunctorIaLi3ELi3ELi0EEEJSt10multipliesIaEEEEvT_T0_DpT1_,@function
_ZN2at6native12_GLOBAL__N_125multi_tensor_apply_kernelINS1_28TensorListScalarListMetadataIaLi3EEENS1_28PointwiseOpScalarListFunctorIaLi3ELi3ELi0EEEJSt10multipliesIaEEEEvT_T0_DpT1_: ; @_ZN2at6native12_GLOBAL__N_125multi_tensor_apply_kernelINS1_28TensorListScalarListMetadataIaLi3EEENS1_28PointwiseOpScalarListFunctorIaLi3ELi3ELi0EEEJSt10multipliesIaEEEEvT_T0_DpT1_
; %bb.0:
	s_bfe_u32 s2, ttmp6, 0x4000c
	s_and_b32 s3, ttmp6, 15
	s_add_co_i32 s2, s2, 1
	s_getreg_b32 s4, hwreg(HW_REG_IB_STS2, 6, 4)
	s_mul_i32 s2, ttmp9, s2
	v_mov_b32_e32 v3, 0
	s_add_co_i32 s3, s3, s2
	s_cmp_eq_u32 s4, 0
	s_cselect_b32 s2, ttmp9, s3
	s_mov_b32 s3, 0
	v_mov_b32_e32 v1, s2
	s_add_nc_u64 s[4:5], s[0:1], s[2:3]
	s_mul_u64 s[6:7], s[2:3], 3
	s_delay_alu instid0(SALU_CYCLE_1) | instskip(SKIP_4) | instid1(SALU_CYCLE_1)
	s_add_nc_u64 s[4:5], s[4:5], s[6:7]
	global_load_u8 v1, v1, s[0:1] offset:1584
	s_load_b32 s4, s[4:5], 0x770
	s_wait_kmcnt 0x0
	s_ashr_i32 s5, s4, 31
	s_lshl_b64 s[12:13], s[4:5], 16
	s_wait_loadcnt 0x0
	v_readfirstlane_b32 s2, v1
	s_delay_alu instid0(VALU_DEP_1) | instskip(SKIP_1) | instid1(VALU_DEP_1)
	v_mov_b32_e32 v2, s2
	s_and_b32 s2, s2, 0xff
	v_and_b32_e32 v2, 0xff, v2
	s_delay_alu instid0(VALU_DEP_1)
	v_add_nc_u64_e32 v[2:3], s[0:1], v[2:3]
	global_load_u8 v36, v[2:3], off offset:1536
	s_clause 0x3
	s_load_b64 s[6:7], s[0:1], s2 offset:0x180 scale_offset
	s_load_b64 s[8:9], s[0:1], s2 offset:0x300 scale_offset
	;; [unrolled: 1-line block ×4, first 2 shown]
	s_wait_kmcnt 0x0
	s_add_nc_u64 s[4:5], s[6:7], s[12:13]
	s_delay_alu instid0(SALU_CYCLE_1) | instskip(SKIP_2) | instid1(SALU_CYCLE_1)
	s_or_b32 s2, s8, s4
	s_add_nc_u64 s[4:5], s[10:11], s[12:13]
	s_and_b32 s2, s2, 3
	s_cmp_eq_u32 s2, 0
	s_cselect_b32 s16, -1, 0
	s_or_b64 s[4:5], s[14:15], s[4:5]
	s_sub_nc_u64 s[14:15], s[14:15], s[12:13]
	s_and_b32 s2, s4, 3
	s_delay_alu instid0(SALU_CYCLE_1) | instskip(SKIP_1) | instid1(SALU_CYCLE_1)
	s_cmp_eq_u64 s[2:3], 0
	s_cselect_b32 s2, -1, 0
	s_and_b32 s2, s16, s2
	s_delay_alu instid0(SALU_CYCLE_1)
	s_and_b32 vcc_lo, exec_lo, s2
	s_mov_b32 s2, -1
	s_cbranch_vccnz .LBB100_29
; %bb.1:
	v_cmp_lt_i64_e64 s2, s[14:15], 1
	s_and_b32 vcc_lo, exec_lo, s2
	s_cbranch_vccnz .LBB100_28
; %bb.2:
	s_load_b32 s2, s[0:1], 0xc84
	v_min_i64 v[2:3], 0x10000, s[14:15]
	v_min_u64 v[4:5], 0x10000, s[14:15]
	v_mov_b32_e32 v1, 0
	s_mov_b32 s17, 0
	s_delay_alu instid0(SALU_CYCLE_1) | instskip(SKIP_1) | instid1(VALU_DEP_1)
	s_mov_b32 s3, s17
	s_mov_b32 s5, s17
	v_add_nc_u64_e32 v[12:13], s[12:13], v[0:1]
	s_delay_alu instid0(VALU_DEP_1) | instskip(SKIP_4) | instid1(SALU_CYCLE_1)
	v_add_nc_u64_e32 v[6:7], s[10:11], v[12:13]
	v_add_nc_u64_e32 v[8:9], s[6:7], v[12:13]
	;; [unrolled: 1-line block ×3, first 2 shown]
	s_wait_kmcnt 0x0
	s_and_b32 s16, s2, 0xffff
	s_lshl_b32 s2, s16, 1
	s_mul_i32 s4, s16, 3
	v_add_nc_u64_e32 v[20:21], s[16:17], v[12:13]
	s_add_nc_u64 s[18:19], s[12:13], s[4:5]
	v_add_nc_u64_e32 v[12:13], s[4:5], v[0:1]
	s_add_nc_u64 s[4:5], s[12:13], s[2:3]
	v_add_nc_u64_e32 v[26:27], s[18:19], v[0:1]
	v_add_nc_u64_e32 v[32:33], s[4:5], v[0:1]
	;; [unrolled: 1-line block ×13, first 2 shown]
	s_lshl_b32 s16, s16, 2
	s_mov_b64 s[18:19], 0
	s_branch .LBB100_4
.LBB100_3:                              ;   in Loop: Header=BB100_4 Depth=1
	s_wait_xcnt 0x0
	s_or_b32 exec_lo, exec_lo, s2
	s_add_nc_u64 s[18:19], s[18:19], s[16:17]
	s_delay_alu instid0(SALU_CYCLE_1)
	v_cmp_lt_i64_e32 vcc_lo, s[18:19], v[2:3]
	s_cbranch_vccz .LBB100_28
.LBB100_4:                              ; =>This Inner Loop Header: Depth=1
	s_wait_loadcnt 0x0
	v_add_nc_u64_e32 v[38:39], s[18:19], v[0:1]
	v_mov_b32_e32 v37, 0
	s_delay_alu instid0(VALU_DEP_2)
	v_cmp_lt_u64_e32 vcc_lo, v[38:39], v[4:5]
	v_mov_b32_e32 v38, 0
	s_and_saveexec_b32 s2, vcc_lo
	s_cbranch_execz .LBB100_6
; %bb.5:                                ;   in Loop: Header=BB100_4 Depth=1
	v_add_nc_u64_e32 v[40:41], s[18:19], v[6:7]
	v_add_nc_u64_e32 v[42:43], s[18:19], v[8:9]
	global_load_u8 v37, v[40:41], off
	global_load_u8 v38, v[42:43], off
.LBB100_6:                              ;   in Loop: Header=BB100_4 Depth=1
	s_wait_xcnt 0x0
	s_or_b32 exec_lo, exec_lo, s2
	v_dual_mov_b32 v39, 0 :: v_dual_mov_b32 v40, 0
	s_and_saveexec_b32 s2, vcc_lo
	s_cbranch_execz .LBB100_8
; %bb.7:                                ;   in Loop: Header=BB100_4 Depth=1
	v_add_nc_u64_e32 v[40:41], s[18:19], v[10:11]
	global_load_u8 v40, v[40:41], off
.LBB100_8:                              ;   in Loop: Header=BB100_4 Depth=1
	s_wait_xcnt 0x0
	s_or_b32 exec_lo, exec_lo, s2
	v_add_nc_u64_e32 v[42:43], s[18:19], v[34:35]
	v_mov_b32_e32 v41, 0
	s_delay_alu instid0(VALU_DEP_2)
	v_cmp_lt_u64_e64 s2, v[42:43], v[4:5]
	s_and_saveexec_b32 s3, s2
	s_cbranch_execz .LBB100_10
; %bb.9:                                ;   in Loop: Header=BB100_4 Depth=1
	v_add_nc_u64_e32 v[42:43], s[18:19], v[16:17]
	v_add_nc_u64_e32 v[44:45], s[18:19], v[18:19]
	global_load_u8 v41, v[42:43], off
	global_load_u8 v39, v[44:45], off
.LBB100_10:                             ;   in Loop: Header=BB100_4 Depth=1
	s_wait_xcnt 0x0
	s_or_b32 exec_lo, exec_lo, s3
	v_dual_mov_b32 v42, 0 :: v_dual_mov_b32 v43, 0
	s_and_saveexec_b32 s3, s2
	s_cbranch_execz .LBB100_12
; %bb.11:                               ;   in Loop: Header=BB100_4 Depth=1
	v_add_nc_u64_e32 v[44:45], s[18:19], v[20:21]
	global_load_u8 v43, v[44:45], off
.LBB100_12:                             ;   in Loop: Header=BB100_4 Depth=1
	s_wait_xcnt 0x0
	s_or_b32 exec_lo, exec_lo, s3
	v_add_nc_u64_e32 v[44:45], s[18:19], v[14:15]
	s_delay_alu instid0(VALU_DEP_1)
	v_cmp_lt_u64_e64 s3, v[44:45], v[4:5]
	v_mov_b32_e32 v44, 0
	s_and_saveexec_b32 s4, s3
	s_cbranch_execz .LBB100_14
; %bb.13:                               ;   in Loop: Header=BB100_4 Depth=1
	v_add_nc_u64_e32 v[46:47], s[18:19], v[28:29]
	v_add_nc_u64_e32 v[48:49], s[18:19], v[30:31]
	global_load_u8 v44, v[46:47], off
	global_load_u8 v42, v[48:49], off
.LBB100_14:                             ;   in Loop: Header=BB100_4 Depth=1
	s_wait_xcnt 0x0
	s_or_b32 exec_lo, exec_lo, s4
	v_dual_mov_b32 v45, 0 :: v_dual_mov_b32 v46, 0
	s_and_saveexec_b32 s4, s3
	s_cbranch_execz .LBB100_16
; %bb.15:                               ;   in Loop: Header=BB100_4 Depth=1
	v_add_nc_u64_e32 v[46:47], s[18:19], v[32:33]
	global_load_u8 v46, v[46:47], off
.LBB100_16:                             ;   in Loop: Header=BB100_4 Depth=1
	s_wait_xcnt 0x0
	s_or_b32 exec_lo, exec_lo, s4
	v_add_nc_u64_e32 v[48:49], s[18:19], v[12:13]
	v_mov_b32_e32 v47, 0
	s_delay_alu instid0(VALU_DEP_2)
	v_cmp_lt_u64_e64 s4, v[48:49], v[4:5]
	s_and_saveexec_b32 s5, s4
	s_cbranch_execnz .LBB100_22
; %bb.17:                               ;   in Loop: Header=BB100_4 Depth=1
	s_or_b32 exec_lo, exec_lo, s5
	v_mov_b32_e32 v48, 0
	s_and_saveexec_b32 s5, s4
	s_cbranch_execnz .LBB100_23
.LBB100_18:                             ;   in Loop: Header=BB100_4 Depth=1
	s_or_b32 exec_lo, exec_lo, s5
	s_and_saveexec_b32 s5, vcc_lo
	s_cbranch_execnz .LBB100_24
.LBB100_19:                             ;   in Loop: Header=BB100_4 Depth=1
	s_or_b32 exec_lo, exec_lo, s5
	s_and_saveexec_b32 s5, s2
	s_cbranch_execnz .LBB100_25
.LBB100_20:                             ;   in Loop: Header=BB100_4 Depth=1
	s_or_b32 exec_lo, exec_lo, s5
	s_and_saveexec_b32 s2, s3
	s_cbranch_execnz .LBB100_26
.LBB100_21:                             ;   in Loop: Header=BB100_4 Depth=1
	s_or_b32 exec_lo, exec_lo, s2
	s_and_saveexec_b32 s2, s4
	s_cbranch_execz .LBB100_3
	s_branch .LBB100_27
.LBB100_22:                             ;   in Loop: Header=BB100_4 Depth=1
	v_add_nc_u64_e32 v[48:49], s[18:19], v[22:23]
	v_add_nc_u64_e32 v[50:51], s[18:19], v[24:25]
	global_load_u8 v47, v[48:49], off
	global_load_u8 v45, v[50:51], off
	s_wait_xcnt 0x0
	s_or_b32 exec_lo, exec_lo, s5
	v_mov_b32_e32 v48, 0
	s_and_saveexec_b32 s5, s4
	s_cbranch_execz .LBB100_18
.LBB100_23:                             ;   in Loop: Header=BB100_4 Depth=1
	v_add_nc_u64_e32 v[48:49], s[18:19], v[26:27]
	global_load_u8 v48, v[48:49], off
	s_wait_xcnt 0x0
	s_or_b32 exec_lo, exec_lo, s5
	s_and_saveexec_b32 s5, vcc_lo
	s_cbranch_execz .LBB100_19
.LBB100_24:                             ;   in Loop: Header=BB100_4 Depth=1
	s_wait_loadcnt 0x0
	v_mul_lo_u16 v38, v38, v36
	v_add_nc_u64_e32 v[50:51], s[18:19], v[6:7]
	s_delay_alu instid0(VALU_DEP_2)
	v_mad_u16 v37, v38, v40, v37
	global_store_b8 v[50:51], v37, off
	s_wait_xcnt 0x0
	s_or_b32 exec_lo, exec_lo, s5
	s_and_saveexec_b32 s5, s2
	s_cbranch_execz .LBB100_20
.LBB100_25:                             ;   in Loop: Header=BB100_4 Depth=1
	s_wait_loadcnt 0x0
	v_mul_lo_u16 v37, v39, v36
	v_add_nc_u64_e32 v[38:39], s[18:19], v[16:17]
	s_delay_alu instid0(VALU_DEP_2)
	v_mad_u16 v37, v37, v43, v41
	global_store_b8 v[38:39], v37, off
	s_wait_xcnt 0x0
	s_or_b32 exec_lo, exec_lo, s5
	s_and_saveexec_b32 s2, s3
	s_cbranch_execz .LBB100_21
.LBB100_26:                             ;   in Loop: Header=BB100_4 Depth=1
	s_wait_loadcnt 0x0
	v_mul_lo_u16 v37, v42, v36
	v_add_nc_u64_e32 v[38:39], s[18:19], v[28:29]
	s_delay_alu instid0(VALU_DEP_2)
	v_mad_u16 v37, v37, v46, v44
	global_store_b8 v[38:39], v37, off
	s_wait_xcnt 0x0
	s_or_b32 exec_lo, exec_lo, s2
	s_and_saveexec_b32 s2, s4
	s_cbranch_execz .LBB100_3
.LBB100_27:                             ;   in Loop: Header=BB100_4 Depth=1
	s_wait_loadcnt 0x0
	v_mul_lo_u16 v37, v45, v36
	v_add_nc_u64_e32 v[38:39], s[18:19], v[22:23]
	s_delay_alu instid0(VALU_DEP_2)
	v_mad_u16 v37, v37, v48, v47
	global_store_b8 v[38:39], v37, off
	s_branch .LBB100_3
.LBB100_28:
	s_mov_b32 s2, 0
.LBB100_29:
	s_delay_alu instid0(SALU_CYCLE_1)
	s_and_not1_b32 vcc_lo, exec_lo, s2
	s_cbranch_vccnz .LBB100_33
; %bb.30:
	v_min_i64 v[2:3], 0x10000, s[14:15]
	v_dual_mov_b32 v5, 0 :: v_dual_lshlrev_b32 v4, 2, v0
	s_mov_b32 s2, exec_lo
	s_delay_alu instid0(VALU_DEP_1)
	v_cmpx_lt_i64_e64 v[4:5], v[2:3]
	s_cbranch_execz .LBB100_33
; %bb.31:
	s_load_b32 s0, s[0:1], 0xc84
	v_mov_b32_e32 v1, v5
	v_add_nc_u64_e32 v[4:5], s[12:13], v[4:5]
	s_wait_xcnt 0x0
	s_mov_b32 s1, 0
	s_delay_alu instid0(SALU_CYCLE_1) | instskip(SKIP_3) | instid1(SALU_CYCLE_1)
	s_mov_b32 s3, s1
	s_mov_b32 s4, s1
	s_wait_kmcnt 0x0
	s_and_b32 s0, s0, 0xffff
	s_lshl_b32 s2, s0, 2
.LBB100_32:                             ; =>This Inner Loop Header: Depth=1
	v_add_nc_u64_e32 v[6:7], s[6:7], v[4:5]
	v_add_nc_u64_e32 v[8:9], s[10:11], v[4:5]
	;; [unrolled: 1-line block ×5, first 2 shown]
	global_load_b32 v12, v[6:7], off
	global_load_b32 v13, v[8:9], off
	;; [unrolled: 1-line block ×3, first 2 shown]
	s_wait_loadcnt 0x2
	s_wait_xcnt 0x0
	v_mul_lo_u16 v10, v36, v12
	s_wait_loadcnt 0x1
	v_dual_lshrrev_b32 v6, 8, v13 :: v_dual_lshrrev_b32 v7, 8, v12
	s_wait_loadcnt 0x0
	v_dual_lshrrev_b32 v11, 8, v14 :: v_dual_lshrrev_b32 v15, 16, v12
	v_dual_lshrrev_b32 v16, 16, v13 :: v_dual_lshrrev_b32 v17, 16, v14
	;; [unrolled: 1-line block ×3, first 2 shown]
	v_mul_lo_u16 v7, v36, v7
	s_delay_alu instid0(VALU_DEP_4) | instskip(SKIP_1) | instid1(VALU_DEP_4)
	v_mul_lo_u16 v15, v36, v15
	v_lshrrev_b32_e32 v19, 24, v14
	v_mul_lo_u16 v12, v36, v12
	v_mad_u16 v10, v10, v14, v13
	v_mad_u16 v11, v7, v11, v6
	;; [unrolled: 1-line block ×3, first 2 shown]
	v_lshlrev_b64_e32 v[6:7], 2, v[0:1]
	v_mad_u16 v12, v12, v19, v18
	s_delay_alu instid0(VALU_DEP_4) | instskip(NEXT) | instid1(VALU_DEP_4)
	v_and_b32_e32 v11, 0xff, v11
	v_and_b32_e32 v13, 0xff, v15
	s_delay_alu instid0(VALU_DEP_3) | instskip(SKIP_1) | instid1(VALU_DEP_4)
	v_lshlrev_b32_e32 v12, 24, v12
	v_cmp_ge_i64_e32 vcc_lo, v[6:7], v[2:3]
	v_perm_b32 v10, v11, v10, 0x6050400
	s_delay_alu instid0(VALU_DEP_4) | instskip(SKIP_1) | instid1(VALU_DEP_1)
	v_lshlrev_b32_e32 v11, 16, v13
	s_or_b32 s4, vcc_lo, s4
	v_or3_b32 v6, v10, v11, v12
	global_store_b32 v[8:9], v6, off
	s_wait_xcnt 0x0
	s_and_not1_b32 exec_lo, exec_lo, s4
	s_cbranch_execnz .LBB100_32
.LBB100_33:
	s_endpgm
	.section	.rodata,"a",@progbits
	.p2align	6, 0x0
	.amdhsa_kernel _ZN2at6native12_GLOBAL__N_125multi_tensor_apply_kernelINS1_28TensorListScalarListMetadataIaLi3EEENS1_28PointwiseOpScalarListFunctorIaLi3ELi3ELi0EEEJSt10multipliesIaEEEEvT_T0_DpT1_
		.amdhsa_group_segment_fixed_size 0
		.amdhsa_private_segment_fixed_size 0
		.amdhsa_kernarg_size 3448
		.amdhsa_user_sgpr_count 2
		.amdhsa_user_sgpr_dispatch_ptr 0
		.amdhsa_user_sgpr_queue_ptr 0
		.amdhsa_user_sgpr_kernarg_segment_ptr 1
		.amdhsa_user_sgpr_dispatch_id 0
		.amdhsa_user_sgpr_kernarg_preload_length 0
		.amdhsa_user_sgpr_kernarg_preload_offset 0
		.amdhsa_user_sgpr_private_segment_size 0
		.amdhsa_wavefront_size32 1
		.amdhsa_uses_dynamic_stack 0
		.amdhsa_enable_private_segment 0
		.amdhsa_system_sgpr_workgroup_id_x 1
		.amdhsa_system_sgpr_workgroup_id_y 0
		.amdhsa_system_sgpr_workgroup_id_z 0
		.amdhsa_system_sgpr_workgroup_info 0
		.amdhsa_system_vgpr_workitem_id 0
		.amdhsa_next_free_vgpr 52
		.amdhsa_next_free_sgpr 20
		.amdhsa_named_barrier_count 0
		.amdhsa_reserve_vcc 1
		.amdhsa_float_round_mode_32 0
		.amdhsa_float_round_mode_16_64 0
		.amdhsa_float_denorm_mode_32 3
		.amdhsa_float_denorm_mode_16_64 3
		.amdhsa_fp16_overflow 0
		.amdhsa_memory_ordered 1
		.amdhsa_forward_progress 1
		.amdhsa_inst_pref_size 13
		.amdhsa_round_robin_scheduling 0
		.amdhsa_exception_fp_ieee_invalid_op 0
		.amdhsa_exception_fp_denorm_src 0
		.amdhsa_exception_fp_ieee_div_zero 0
		.amdhsa_exception_fp_ieee_overflow 0
		.amdhsa_exception_fp_ieee_underflow 0
		.amdhsa_exception_fp_ieee_inexact 0
		.amdhsa_exception_int_div_zero 0
	.end_amdhsa_kernel
	.section	.text._ZN2at6native12_GLOBAL__N_125multi_tensor_apply_kernelINS1_28TensorListScalarListMetadataIaLi3EEENS1_28PointwiseOpScalarListFunctorIaLi3ELi3ELi0EEEJSt10multipliesIaEEEEvT_T0_DpT1_,"axG",@progbits,_ZN2at6native12_GLOBAL__N_125multi_tensor_apply_kernelINS1_28TensorListScalarListMetadataIaLi3EEENS1_28PointwiseOpScalarListFunctorIaLi3ELi3ELi0EEEJSt10multipliesIaEEEEvT_T0_DpT1_,comdat
.Lfunc_end100:
	.size	_ZN2at6native12_GLOBAL__N_125multi_tensor_apply_kernelINS1_28TensorListScalarListMetadataIaLi3EEENS1_28PointwiseOpScalarListFunctorIaLi3ELi3ELi0EEEJSt10multipliesIaEEEEvT_T0_DpT1_, .Lfunc_end100-_ZN2at6native12_GLOBAL__N_125multi_tensor_apply_kernelINS1_28TensorListScalarListMetadataIaLi3EEENS1_28PointwiseOpScalarListFunctorIaLi3ELi3ELi0EEEJSt10multipliesIaEEEEvT_T0_DpT1_
                                        ; -- End function
	.set _ZN2at6native12_GLOBAL__N_125multi_tensor_apply_kernelINS1_28TensorListScalarListMetadataIaLi3EEENS1_28PointwiseOpScalarListFunctorIaLi3ELi3ELi0EEEJSt10multipliesIaEEEEvT_T0_DpT1_.num_vgpr, 52
	.set _ZN2at6native12_GLOBAL__N_125multi_tensor_apply_kernelINS1_28TensorListScalarListMetadataIaLi3EEENS1_28PointwiseOpScalarListFunctorIaLi3ELi3ELi0EEEJSt10multipliesIaEEEEvT_T0_DpT1_.num_agpr, 0
	.set _ZN2at6native12_GLOBAL__N_125multi_tensor_apply_kernelINS1_28TensorListScalarListMetadataIaLi3EEENS1_28PointwiseOpScalarListFunctorIaLi3ELi3ELi0EEEJSt10multipliesIaEEEEvT_T0_DpT1_.numbered_sgpr, 20
	.set _ZN2at6native12_GLOBAL__N_125multi_tensor_apply_kernelINS1_28TensorListScalarListMetadataIaLi3EEENS1_28PointwiseOpScalarListFunctorIaLi3ELi3ELi0EEEJSt10multipliesIaEEEEvT_T0_DpT1_.num_named_barrier, 0
	.set _ZN2at6native12_GLOBAL__N_125multi_tensor_apply_kernelINS1_28TensorListScalarListMetadataIaLi3EEENS1_28PointwiseOpScalarListFunctorIaLi3ELi3ELi0EEEJSt10multipliesIaEEEEvT_T0_DpT1_.private_seg_size, 0
	.set _ZN2at6native12_GLOBAL__N_125multi_tensor_apply_kernelINS1_28TensorListScalarListMetadataIaLi3EEENS1_28PointwiseOpScalarListFunctorIaLi3ELi3ELi0EEEJSt10multipliesIaEEEEvT_T0_DpT1_.uses_vcc, 1
	.set _ZN2at6native12_GLOBAL__N_125multi_tensor_apply_kernelINS1_28TensorListScalarListMetadataIaLi3EEENS1_28PointwiseOpScalarListFunctorIaLi3ELi3ELi0EEEJSt10multipliesIaEEEEvT_T0_DpT1_.uses_flat_scratch, 0
	.set _ZN2at6native12_GLOBAL__N_125multi_tensor_apply_kernelINS1_28TensorListScalarListMetadataIaLi3EEENS1_28PointwiseOpScalarListFunctorIaLi3ELi3ELi0EEEJSt10multipliesIaEEEEvT_T0_DpT1_.has_dyn_sized_stack, 0
	.set _ZN2at6native12_GLOBAL__N_125multi_tensor_apply_kernelINS1_28TensorListScalarListMetadataIaLi3EEENS1_28PointwiseOpScalarListFunctorIaLi3ELi3ELi0EEEJSt10multipliesIaEEEEvT_T0_DpT1_.has_recursion, 0
	.set _ZN2at6native12_GLOBAL__N_125multi_tensor_apply_kernelINS1_28TensorListScalarListMetadataIaLi3EEENS1_28PointwiseOpScalarListFunctorIaLi3ELi3ELi0EEEJSt10multipliesIaEEEEvT_T0_DpT1_.has_indirect_call, 0
	.section	.AMDGPU.csdata,"",@progbits
; Kernel info:
; codeLenInByte = 1588
; TotalNumSgprs: 22
; NumVgprs: 52
; ScratchSize: 0
; MemoryBound: 0
; FloatMode: 240
; IeeeMode: 1
; LDSByteSize: 0 bytes/workgroup (compile time only)
; SGPRBlocks: 0
; VGPRBlocks: 3
; NumSGPRsForWavesPerEU: 22
; NumVGPRsForWavesPerEU: 52
; NamedBarCnt: 0
; Occupancy: 16
; WaveLimiterHint : 0
; COMPUTE_PGM_RSRC2:SCRATCH_EN: 0
; COMPUTE_PGM_RSRC2:USER_SGPR: 2
; COMPUTE_PGM_RSRC2:TRAP_HANDLER: 0
; COMPUTE_PGM_RSRC2:TGID_X_EN: 1
; COMPUTE_PGM_RSRC2:TGID_Y_EN: 0
; COMPUTE_PGM_RSRC2:TGID_Z_EN: 0
; COMPUTE_PGM_RSRC2:TIDIG_COMP_CNT: 0
	.section	.text._ZN2at6native12_GLOBAL__N_125multi_tensor_apply_kernelINS1_28TensorListScalarListMetadataIiLi3EEENS1_28PointwiseOpScalarListFunctorIiLi3ELi3ELi0EEEJSt10multipliesIiEEEEvT_T0_DpT1_,"axG",@progbits,_ZN2at6native12_GLOBAL__N_125multi_tensor_apply_kernelINS1_28TensorListScalarListMetadataIiLi3EEENS1_28PointwiseOpScalarListFunctorIiLi3ELi3ELi0EEEJSt10multipliesIiEEEEvT_T0_DpT1_,comdat
	.globl	_ZN2at6native12_GLOBAL__N_125multi_tensor_apply_kernelINS1_28TensorListScalarListMetadataIiLi3EEENS1_28PointwiseOpScalarListFunctorIiLi3ELi3ELi0EEEJSt10multipliesIiEEEEvT_T0_DpT1_ ; -- Begin function _ZN2at6native12_GLOBAL__N_125multi_tensor_apply_kernelINS1_28TensorListScalarListMetadataIiLi3EEENS1_28PointwiseOpScalarListFunctorIiLi3ELi3ELi0EEEJSt10multipliesIiEEEEvT_T0_DpT1_
	.p2align	8
	.type	_ZN2at6native12_GLOBAL__N_125multi_tensor_apply_kernelINS1_28TensorListScalarListMetadataIiLi3EEENS1_28PointwiseOpScalarListFunctorIiLi3ELi3ELi0EEEJSt10multipliesIiEEEEvT_T0_DpT1_,@function
_ZN2at6native12_GLOBAL__N_125multi_tensor_apply_kernelINS1_28TensorListScalarListMetadataIiLi3EEENS1_28PointwiseOpScalarListFunctorIiLi3ELi3ELi0EEEJSt10multipliesIiEEEEvT_T0_DpT1_: ; @_ZN2at6native12_GLOBAL__N_125multi_tensor_apply_kernelINS1_28TensorListScalarListMetadataIiLi3EEENS1_28PointwiseOpScalarListFunctorIiLi3ELi3ELi0EEEJSt10multipliesIiEEEEvT_T0_DpT1_
; %bb.0:
	s_bfe_u32 s2, ttmp6, 0x4000c
	s_and_b32 s3, ttmp6, 15
	s_add_co_i32 s2, s2, 1
	s_getreg_b32 s4, hwreg(HW_REG_IB_STS2, 6, 4)
	s_mul_i32 s2, ttmp9, s2
	s_delay_alu instid0(SALU_CYCLE_1)
	s_add_co_i32 s3, s3, s2
	s_cmp_eq_u32 s4, 0
	s_cselect_b32 s2, ttmp9, s3
	s_mov_b32 s3, 0
	s_load_u8 s20, s[0:1], s2 offset:0x6c0
	s_add_nc_u64 s[4:5], s[0:1], s[2:3]
	s_mul_u64 s[6:7], s[2:3], 3
	s_delay_alu instid0(SALU_CYCLE_1)
	s_add_nc_u64 s[4:5], s[4:5], s[6:7]
	s_load_b32 s14, s[4:5], 0x800
	s_wait_kmcnt 0x0
	s_clause 0x3
	s_load_b64 s[8:9], s[0:1], s20 offset:0x180 scale_offset
	s_load_b64 s[6:7], s[0:1], s20 offset:0x300 scale_offset
	;; [unrolled: 1-line block ×4, first 2 shown]
	s_lshl_b32 s2, s20, 3
	s_ashr_i32 s15, s14, 31
	s_delay_alu instid0(SALU_CYCLE_1) | instskip(SKIP_2) | instid1(SALU_CYCLE_1)
	s_lshl_b64 s[12:13], s[14:15], 18
	s_wait_kmcnt 0x0
	s_add_nc_u64 s[16:17], s[8:9], s[12:13]
	s_or_b32 s16, s6, s16
	s_delay_alu instid0(SALU_CYCLE_1)
	s_and_b32 s18, s16, 15
	s_and_b64 s[16:17], s[10:11], 15
	s_cmp_eq_u32 s18, 0
	s_add_nc_u64 s[18:19], s[0:1], s[2:3]
	s_cselect_b32 s23, -1, 0
	s_lshl_b32 s2, s20, 2
	s_lshl_b64 s[14:15], s[14:15], 16
	s_sub_nc_u64 s[20:21], 0, s[2:3]
	s_and_b32 s2, s4, 3
	s_add_nc_u64 s[18:19], s[18:19], s[20:21]
	s_or_b64 s[2:3], s[16:17], s[2:3]
	s_load_b32 s22, s[18:19], 0x600
	s_cmp_eq_u64 s[2:3], 0
	s_sub_nc_u64 s[14:15], s[4:5], s[14:15]
	s_cselect_b32 s2, -1, 0
	s_delay_alu instid0(SALU_CYCLE_1) | instskip(NEXT) | instid1(SALU_CYCLE_1)
	s_and_b32 s2, s23, s2
	s_and_b32 vcc_lo, exec_lo, s2
	s_mov_b32 s2, -1
	s_cbranch_vccnz .LBB101_29
; %bb.1:
	v_cmp_lt_i64_e64 s2, s[14:15], 1
	s_and_b32 vcc_lo, exec_lo, s2
	s_cbranch_vccnz .LBB101_28
; %bb.2:
	s_load_b32 s2, s[0:1], 0xd14
	v_min_i64 v[2:3], 0x10000, s[14:15]
	v_min_u64 v[4:5], 0x10000, s[14:15]
	v_dual_mov_b32 v1, 0 :: v_dual_lshlrev_b32 v12, 2, v0
	s_wait_xcnt 0x0
	s_mov_b32 s19, 0
	s_mov_b64 s[20:21], 0
	s_mov_b32 s17, s19
	v_dual_mov_b32 v13, v1 :: v_dual_mov_b32 v35, v1
	s_mov_b32 s3, s19
	s_mov_b32 s5, s19
	s_delay_alu instid0(VALU_DEP_1) | instskip(SKIP_3) | instid1(SALU_CYCLE_1)
	v_add_nc_u64_e32 v[6:7], s[10:11], v[12:13]
	v_add_nc_u64_e32 v[8:9], s[8:9], v[12:13]
	s_wait_kmcnt 0x0
	s_and_b32 s18, s2, 0xffff
	v_add_nc_u64_e32 v[10:11], s[18:19], v[0:1]
	v_mad_nc_u64_u32 v[28:29], s18, 12, v[12:13]
	s_lshl_b32 s16, s18, 3
	s_mul_i32 s4, s18, 3
	v_add_nc_u64_e32 v[22:23], s[16:17], v[12:13]
	s_lshl_b32 s2, s18, 1
	v_add_nc_u64_e32 v[12:13], s[6:7], v[12:13]
	v_lshlrev_b32_e32 v34, 2, v10
	v_add_nc_u64_e32 v[14:15], s[4:5], v[0:1]
	v_add_nc_u64_e32 v[16:17], s[2:3], v[0:1]
	s_lshl_b32 s16, s18, 2
	v_add_nc_u64_e32 v[18:19], s[10:11], v[22:23]
	v_add_nc_u64_e32 v[20:21], s[8:9], v[22:23]
	;; [unrolled: 1-line block ×9, first 2 shown]
	s_lshl_b32 s18, s18, 4
	s_branch .LBB101_4
.LBB101_3:                              ;   in Loop: Header=BB101_4 Depth=1
	s_wait_xcnt 0x0
	s_or_b32 exec_lo, exec_lo, s2
	s_add_nc_u64 s[20:21], s[20:21], s[16:17]
	v_add_nc_u64_e32 v[6:7], s[18:19], v[6:7]
	v_cmp_lt_i64_e32 vcc_lo, s[20:21], v[2:3]
	v_add_nc_u64_e32 v[8:9], s[18:19], v[8:9]
	v_add_nc_u64_e32 v[12:13], s[18:19], v[12:13]
	;; [unrolled: 1-line block ×11, first 2 shown]
	s_cbranch_vccz .LBB101_28
.LBB101_4:                              ; =>This Inner Loop Header: Depth=1
	s_wait_loadcnt 0x0
	v_add_nc_u64_e32 v[36:37], s[20:21], v[0:1]
	s_delay_alu instid0(VALU_DEP_1)
	v_cmp_lt_u64_e32 vcc_lo, v[36:37], v[4:5]
	v_dual_mov_b32 v37, 0 :: v_dual_mov_b32 v36, 0
	s_and_saveexec_b32 s2, vcc_lo
	s_cbranch_execz .LBB101_6
; %bb.5:                                ;   in Loop: Header=BB101_4 Depth=1
	v_add_nc_u64_e32 v[38:39], s[12:13], v[6:7]
	v_add_nc_u64_e32 v[40:41], s[12:13], v[8:9]
	global_load_b32 v36, v[38:39], off
	global_load_b32 v37, v[40:41], off
.LBB101_6:                              ;   in Loop: Header=BB101_4 Depth=1
	s_wait_xcnt 0x0
	s_or_b32 exec_lo, exec_lo, s2
	v_dual_mov_b32 v38, 0 :: v_dual_mov_b32 v39, 0
	s_and_saveexec_b32 s2, vcc_lo
	s_cbranch_execz .LBB101_8
; %bb.7:                                ;   in Loop: Header=BB101_4 Depth=1
	v_add_nc_u64_e32 v[40:41], s[12:13], v[12:13]
	global_load_b32 v39, v[40:41], off
.LBB101_8:                              ;   in Loop: Header=BB101_4 Depth=1
	s_wait_xcnt 0x0
	s_or_b32 exec_lo, exec_lo, s2
	v_add_nc_u64_e32 v[40:41], s[20:21], v[10:11]
	s_delay_alu instid0(VALU_DEP_1)
	v_cmp_lt_u64_e64 s2, v[40:41], v[4:5]
	v_mov_b32_e32 v40, 0
	s_and_saveexec_b32 s3, s2
	s_cbranch_execz .LBB101_10
; %bb.9:                                ;   in Loop: Header=BB101_4 Depth=1
	v_add_nc_u64_e32 v[42:43], s[12:13], v[30:31]
	v_add_nc_u64_e32 v[44:45], s[12:13], v[32:33]
	global_load_b32 v40, v[42:43], off
	global_load_b32 v38, v[44:45], off
.LBB101_10:                             ;   in Loop: Header=BB101_4 Depth=1
	s_wait_xcnt 0x0
	s_or_b32 exec_lo, exec_lo, s3
	v_dual_mov_b32 v41, 0 :: v_dual_mov_b32 v42, 0
	s_and_saveexec_b32 s3, s2
	s_cbranch_execz .LBB101_12
; %bb.11:                               ;   in Loop: Header=BB101_4 Depth=1
	v_add_nc_u64_e32 v[42:43], s[12:13], v[34:35]
	global_load_b32 v42, v[42:43], off
.LBB101_12:                             ;   in Loop: Header=BB101_4 Depth=1
	s_wait_xcnt 0x0
	s_or_b32 exec_lo, exec_lo, s3
	v_add_nc_u64_e32 v[44:45], s[20:21], v[16:17]
	v_mov_b32_e32 v43, 0
	s_delay_alu instid0(VALU_DEP_2)
	v_cmp_lt_u64_e64 s3, v[44:45], v[4:5]
	s_and_saveexec_b32 s4, s3
	s_cbranch_execz .LBB101_14
; %bb.13:                               ;   in Loop: Header=BB101_4 Depth=1
	v_add_nc_u64_e32 v[44:45], s[12:13], v[18:19]
	v_add_nc_u64_e32 v[46:47], s[12:13], v[20:21]
	global_load_b32 v43, v[44:45], off
	global_load_b32 v41, v[46:47], off
.LBB101_14:                             ;   in Loop: Header=BB101_4 Depth=1
	s_wait_xcnt 0x0
	s_or_b32 exec_lo, exec_lo, s4
	v_dual_mov_b32 v44, 0 :: v_dual_mov_b32 v45, 0
	s_and_saveexec_b32 s4, s3
	s_cbranch_execz .LBB101_16
; %bb.15:                               ;   in Loop: Header=BB101_4 Depth=1
	v_add_nc_u64_e32 v[46:47], s[12:13], v[22:23]
	global_load_b32 v45, v[46:47], off
.LBB101_16:                             ;   in Loop: Header=BB101_4 Depth=1
	s_wait_xcnt 0x0
	s_or_b32 exec_lo, exec_lo, s4
	v_add_nc_u64_e32 v[46:47], s[20:21], v[14:15]
	s_delay_alu instid0(VALU_DEP_1)
	v_cmp_lt_u64_e64 s4, v[46:47], v[4:5]
	v_mov_b32_e32 v46, 0
	s_and_saveexec_b32 s5, s4
	s_cbranch_execnz .LBB101_22
; %bb.17:                               ;   in Loop: Header=BB101_4 Depth=1
	s_or_b32 exec_lo, exec_lo, s5
	v_mov_b32_e32 v47, 0
	s_and_saveexec_b32 s5, s4
	s_cbranch_execnz .LBB101_23
.LBB101_18:                             ;   in Loop: Header=BB101_4 Depth=1
	s_or_b32 exec_lo, exec_lo, s5
	s_and_saveexec_b32 s5, vcc_lo
	s_cbranch_execnz .LBB101_24
.LBB101_19:                             ;   in Loop: Header=BB101_4 Depth=1
	s_or_b32 exec_lo, exec_lo, s5
	s_and_saveexec_b32 s5, s2
	s_cbranch_execnz .LBB101_25
.LBB101_20:                             ;   in Loop: Header=BB101_4 Depth=1
	s_or_b32 exec_lo, exec_lo, s5
	s_and_saveexec_b32 s2, s3
	s_cbranch_execnz .LBB101_26
.LBB101_21:                             ;   in Loop: Header=BB101_4 Depth=1
	s_or_b32 exec_lo, exec_lo, s2
	s_and_saveexec_b32 s2, s4
	s_cbranch_execz .LBB101_3
	s_branch .LBB101_27
.LBB101_22:                             ;   in Loop: Header=BB101_4 Depth=1
	v_add_nc_u64_e32 v[48:49], s[12:13], v[24:25]
	v_add_nc_u64_e32 v[50:51], s[12:13], v[26:27]
	global_load_b32 v46, v[48:49], off
	global_load_b32 v44, v[50:51], off
	s_wait_xcnt 0x0
	s_or_b32 exec_lo, exec_lo, s5
	v_mov_b32_e32 v47, 0
	s_and_saveexec_b32 s5, s4
	s_cbranch_execz .LBB101_18
.LBB101_23:                             ;   in Loop: Header=BB101_4 Depth=1
	v_add_nc_u64_e32 v[48:49], s[12:13], v[28:29]
	global_load_b32 v47, v[48:49], off
	s_wait_xcnt 0x0
	s_or_b32 exec_lo, exec_lo, s5
	s_and_saveexec_b32 s5, vcc_lo
	s_cbranch_execz .LBB101_19
.LBB101_24:                             ;   in Loop: Header=BB101_4 Depth=1
	s_wait_loadcnt 0x0
	v_mul_lo_u32 v37, v37, s22
	s_delay_alu instid0(VALU_DEP_1)
	v_mad_u32 v39, v37, v39, v36
	v_add_nc_u64_e32 v[36:37], s[12:13], v[6:7]
	global_store_b32 v[36:37], v39, off
	s_wait_xcnt 0x0
	s_or_b32 exec_lo, exec_lo, s5
	s_and_saveexec_b32 s5, s2
	s_cbranch_execz .LBB101_20
.LBB101_25:                             ;   in Loop: Header=BB101_4 Depth=1
	s_wait_loadcnt 0x0
	v_mul_lo_u32 v36, v38, s22
	s_delay_alu instid0(VALU_DEP_1)
	v_mad_u32 v38, v36, v42, v40
	v_add_nc_u64_e32 v[36:37], s[12:13], v[30:31]
	global_store_b32 v[36:37], v38, off
	s_wait_xcnt 0x0
	s_or_b32 exec_lo, exec_lo, s5
	s_and_saveexec_b32 s2, s3
	s_cbranch_execz .LBB101_21
.LBB101_26:                             ;   in Loop: Header=BB101_4 Depth=1
	s_wait_loadcnt 0x0
	v_mul_lo_u32 v36, v41, s22
	s_delay_alu instid0(VALU_DEP_1)
	v_mad_u32 v38, v36, v45, v43
	v_add_nc_u64_e32 v[36:37], s[12:13], v[18:19]
	global_store_b32 v[36:37], v38, off
	s_wait_xcnt 0x0
	s_or_b32 exec_lo, exec_lo, s2
	s_and_saveexec_b32 s2, s4
	s_cbranch_execz .LBB101_3
.LBB101_27:                             ;   in Loop: Header=BB101_4 Depth=1
	s_wait_loadcnt 0x0
	v_mul_lo_u32 v36, v44, s22
	s_delay_alu instid0(VALU_DEP_1)
	v_mad_u32 v38, v36, v47, v46
	v_add_nc_u64_e32 v[36:37], s[12:13], v[24:25]
	global_store_b32 v[36:37], v38, off
	s_branch .LBB101_3
.LBB101_28:
	s_mov_b32 s2, 0
.LBB101_29:
	s_delay_alu instid0(SALU_CYCLE_1)
	s_and_not1_b32 vcc_lo, exec_lo, s2
	s_cbranch_vccnz .LBB101_33
; %bb.30:
	v_min_i64 v[2:3], 0x10000, s[14:15]
	v_dual_mov_b32 v5, 0 :: v_dual_lshlrev_b32 v4, 2, v0
	s_mov_b32 s2, exec_lo
	s_delay_alu instid0(VALU_DEP_1)
	v_cmpx_lt_i64_e64 v[4:5], v[2:3]
	s_cbranch_execz .LBB101_33
; %bb.31:
	s_load_b32 s0, s[0:1], 0xd14
	v_dual_mov_b32 v1, v5 :: v_dual_lshlrev_b32 v4, 4, v0
	s_wait_xcnt 0x0
	s_mov_b32 s1, 0
	s_wait_kmcnt 0x0
	s_mov_b32 s14, s22
	s_add_nc_u64 s[2:3], s[10:11], 8
	v_add_nc_u64_e32 v[4:5], s[12:13], v[4:5]
	s_add_nc_u64 s[4:5], s[8:9], 8
	s_mov_b32 s9, s1
	s_mov_b32 s10, s1
	s_and_b32 s0, s0, 0xffff
	s_delay_alu instid0(SALU_CYCLE_1)
	s_lshl_b32 s8, s0, 4
.LBB101_32:                             ; =>This Inner Loop Header: Depth=1
	s_delay_alu instid0(VALU_DEP_1)
	v_add_nc_u64_e32 v[6:7], s[4:5], v[4:5]
	v_add_nc_u64_e32 v[18:19], s[2:3], v[4:5]
	;; [unrolled: 1-line block ×5, first 2 shown]
	global_load_b128 v[6:9], v[6:7], off offset:-8
	global_load_b128 v[10:13], v[18:19], off offset:-8
	global_load_b128 v[14:17], v[20:21], off
	s_wait_xcnt 0x0
	v_lshlrev_b64_e32 v[20:21], 2, v[0:1]
	s_delay_alu instid0(VALU_DEP_1)
	v_cmp_ge_i64_e32 vcc_lo, v[20:21], v[2:3]
	s_or_b32 s10, vcc_lo, s10
	s_wait_loadcnt 0x2
	v_mul_lo_u32 v7, v7, s14
	v_mul_lo_u32 v6, v6, s22
	;; [unrolled: 1-line block ×4, first 2 shown]
	s_wait_loadcnt 0x0
	s_delay_alu instid0(VALU_DEP_4) | instskip(NEXT) | instid1(VALU_DEP_4)
	v_mad_u32 v7, v7, v15, v11
	v_mad_u32 v6, v6, v14, v10
	s_delay_alu instid0(VALU_DEP_4) | instskip(NEXT) | instid1(VALU_DEP_4)
	v_mad_u32 v9, v9, v17, v13
	v_mad_u32 v8, v8, v16, v12
	global_store_b128 v[18:19], v[6:9], off offset:-8
	s_wait_xcnt 0x0
	s_and_not1_b32 exec_lo, exec_lo, s10
	s_cbranch_execnz .LBB101_32
.LBB101_33:
	s_endpgm
	.section	.rodata,"a",@progbits
	.p2align	6, 0x0
	.amdhsa_kernel _ZN2at6native12_GLOBAL__N_125multi_tensor_apply_kernelINS1_28TensorListScalarListMetadataIiLi3EEENS1_28PointwiseOpScalarListFunctorIiLi3ELi3ELi0EEEJSt10multipliesIiEEEEvT_T0_DpT1_
		.amdhsa_group_segment_fixed_size 0
		.amdhsa_private_segment_fixed_size 0
		.amdhsa_kernarg_size 3592
		.amdhsa_user_sgpr_count 2
		.amdhsa_user_sgpr_dispatch_ptr 0
		.amdhsa_user_sgpr_queue_ptr 0
		.amdhsa_user_sgpr_kernarg_segment_ptr 1
		.amdhsa_user_sgpr_dispatch_id 0
		.amdhsa_user_sgpr_kernarg_preload_length 0
		.amdhsa_user_sgpr_kernarg_preload_offset 0
		.amdhsa_user_sgpr_private_segment_size 0
		.amdhsa_wavefront_size32 1
		.amdhsa_uses_dynamic_stack 0
		.amdhsa_enable_private_segment 0
		.amdhsa_system_sgpr_workgroup_id_x 1
		.amdhsa_system_sgpr_workgroup_id_y 0
		.amdhsa_system_sgpr_workgroup_id_z 0
		.amdhsa_system_sgpr_workgroup_info 0
		.amdhsa_system_vgpr_workitem_id 0
		.amdhsa_next_free_vgpr 52
		.amdhsa_next_free_sgpr 24
		.amdhsa_named_barrier_count 0
		.amdhsa_reserve_vcc 1
		.amdhsa_float_round_mode_32 0
		.amdhsa_float_round_mode_16_64 0
		.amdhsa_float_denorm_mode_32 3
		.amdhsa_float_denorm_mode_16_64 3
		.amdhsa_fp16_overflow 0
		.amdhsa_memory_ordered 1
		.amdhsa_forward_progress 1
		.amdhsa_inst_pref_size 13
		.amdhsa_round_robin_scheduling 0
		.amdhsa_exception_fp_ieee_invalid_op 0
		.amdhsa_exception_fp_denorm_src 0
		.amdhsa_exception_fp_ieee_div_zero 0
		.amdhsa_exception_fp_ieee_overflow 0
		.amdhsa_exception_fp_ieee_underflow 0
		.amdhsa_exception_fp_ieee_inexact 0
		.amdhsa_exception_int_div_zero 0
	.end_amdhsa_kernel
	.section	.text._ZN2at6native12_GLOBAL__N_125multi_tensor_apply_kernelINS1_28TensorListScalarListMetadataIiLi3EEENS1_28PointwiseOpScalarListFunctorIiLi3ELi3ELi0EEEJSt10multipliesIiEEEEvT_T0_DpT1_,"axG",@progbits,_ZN2at6native12_GLOBAL__N_125multi_tensor_apply_kernelINS1_28TensorListScalarListMetadataIiLi3EEENS1_28PointwiseOpScalarListFunctorIiLi3ELi3ELi0EEEJSt10multipliesIiEEEEvT_T0_DpT1_,comdat
.Lfunc_end101:
	.size	_ZN2at6native12_GLOBAL__N_125multi_tensor_apply_kernelINS1_28TensorListScalarListMetadataIiLi3EEENS1_28PointwiseOpScalarListFunctorIiLi3ELi3ELi0EEEJSt10multipliesIiEEEEvT_T0_DpT1_, .Lfunc_end101-_ZN2at6native12_GLOBAL__N_125multi_tensor_apply_kernelINS1_28TensorListScalarListMetadataIiLi3EEENS1_28PointwiseOpScalarListFunctorIiLi3ELi3ELi0EEEJSt10multipliesIiEEEEvT_T0_DpT1_
                                        ; -- End function
	.set _ZN2at6native12_GLOBAL__N_125multi_tensor_apply_kernelINS1_28TensorListScalarListMetadataIiLi3EEENS1_28PointwiseOpScalarListFunctorIiLi3ELi3ELi0EEEJSt10multipliesIiEEEEvT_T0_DpT1_.num_vgpr, 52
	.set _ZN2at6native12_GLOBAL__N_125multi_tensor_apply_kernelINS1_28TensorListScalarListMetadataIiLi3EEENS1_28PointwiseOpScalarListFunctorIiLi3ELi3ELi0EEEJSt10multipliesIiEEEEvT_T0_DpT1_.num_agpr, 0
	.set _ZN2at6native12_GLOBAL__N_125multi_tensor_apply_kernelINS1_28TensorListScalarListMetadataIiLi3EEENS1_28PointwiseOpScalarListFunctorIiLi3ELi3ELi0EEEJSt10multipliesIiEEEEvT_T0_DpT1_.numbered_sgpr, 24
	.set _ZN2at6native12_GLOBAL__N_125multi_tensor_apply_kernelINS1_28TensorListScalarListMetadataIiLi3EEENS1_28PointwiseOpScalarListFunctorIiLi3ELi3ELi0EEEJSt10multipliesIiEEEEvT_T0_DpT1_.num_named_barrier, 0
	.set _ZN2at6native12_GLOBAL__N_125multi_tensor_apply_kernelINS1_28TensorListScalarListMetadataIiLi3EEENS1_28PointwiseOpScalarListFunctorIiLi3ELi3ELi0EEEJSt10multipliesIiEEEEvT_T0_DpT1_.private_seg_size, 0
	.set _ZN2at6native12_GLOBAL__N_125multi_tensor_apply_kernelINS1_28TensorListScalarListMetadataIiLi3EEENS1_28PointwiseOpScalarListFunctorIiLi3ELi3ELi0EEEJSt10multipliesIiEEEEvT_T0_DpT1_.uses_vcc, 1
	.set _ZN2at6native12_GLOBAL__N_125multi_tensor_apply_kernelINS1_28TensorListScalarListMetadataIiLi3EEENS1_28PointwiseOpScalarListFunctorIiLi3ELi3ELi0EEEJSt10multipliesIiEEEEvT_T0_DpT1_.uses_flat_scratch, 0
	.set _ZN2at6native12_GLOBAL__N_125multi_tensor_apply_kernelINS1_28TensorListScalarListMetadataIiLi3EEENS1_28PointwiseOpScalarListFunctorIiLi3ELi3ELi0EEEJSt10multipliesIiEEEEvT_T0_DpT1_.has_dyn_sized_stack, 0
	.set _ZN2at6native12_GLOBAL__N_125multi_tensor_apply_kernelINS1_28TensorListScalarListMetadataIiLi3EEENS1_28PointwiseOpScalarListFunctorIiLi3ELi3ELi0EEEJSt10multipliesIiEEEEvT_T0_DpT1_.has_recursion, 0
	.set _ZN2at6native12_GLOBAL__N_125multi_tensor_apply_kernelINS1_28TensorListScalarListMetadataIiLi3EEENS1_28PointwiseOpScalarListFunctorIiLi3ELi3ELi0EEEJSt10multipliesIiEEEEvT_T0_DpT1_.has_indirect_call, 0
	.section	.AMDGPU.csdata,"",@progbits
; Kernel info:
; codeLenInByte = 1540
; TotalNumSgprs: 26
; NumVgprs: 52
; ScratchSize: 0
; MemoryBound: 0
; FloatMode: 240
; IeeeMode: 1
; LDSByteSize: 0 bytes/workgroup (compile time only)
; SGPRBlocks: 0
; VGPRBlocks: 3
; NumSGPRsForWavesPerEU: 26
; NumVGPRsForWavesPerEU: 52
; NamedBarCnt: 0
; Occupancy: 16
; WaveLimiterHint : 0
; COMPUTE_PGM_RSRC2:SCRATCH_EN: 0
; COMPUTE_PGM_RSRC2:USER_SGPR: 2
; COMPUTE_PGM_RSRC2:TRAP_HANDLER: 0
; COMPUTE_PGM_RSRC2:TGID_X_EN: 1
; COMPUTE_PGM_RSRC2:TGID_Y_EN: 0
; COMPUTE_PGM_RSRC2:TGID_Z_EN: 0
; COMPUTE_PGM_RSRC2:TIDIG_COMP_CNT: 0
	.section	.text._ZN2at6native12_GLOBAL__N_125multi_tensor_apply_kernelINS1_28TensorListScalarListMetadataIlLi3EEENS1_28PointwiseOpScalarListFunctorIlLi3ELi3ELi0EEEJSt10multipliesIlEEEEvT_T0_DpT1_,"axG",@progbits,_ZN2at6native12_GLOBAL__N_125multi_tensor_apply_kernelINS1_28TensorListScalarListMetadataIlLi3EEENS1_28PointwiseOpScalarListFunctorIlLi3ELi3ELi0EEEJSt10multipliesIlEEEEvT_T0_DpT1_,comdat
	.globl	_ZN2at6native12_GLOBAL__N_125multi_tensor_apply_kernelINS1_28TensorListScalarListMetadataIlLi3EEENS1_28PointwiseOpScalarListFunctorIlLi3ELi3ELi0EEEJSt10multipliesIlEEEEvT_T0_DpT1_ ; -- Begin function _ZN2at6native12_GLOBAL__N_125multi_tensor_apply_kernelINS1_28TensorListScalarListMetadataIlLi3EEENS1_28PointwiseOpScalarListFunctorIlLi3ELi3ELi0EEEJSt10multipliesIlEEEEvT_T0_DpT1_
	.p2align	8
	.type	_ZN2at6native12_GLOBAL__N_125multi_tensor_apply_kernelINS1_28TensorListScalarListMetadataIlLi3EEENS1_28PointwiseOpScalarListFunctorIlLi3ELi3ELi0EEEJSt10multipliesIlEEEEvT_T0_DpT1_,@function
_ZN2at6native12_GLOBAL__N_125multi_tensor_apply_kernelINS1_28TensorListScalarListMetadataIlLi3EEENS1_28PointwiseOpScalarListFunctorIlLi3ELi3ELi0EEEJSt10multipliesIlEEEEvT_T0_DpT1_: ; @_ZN2at6native12_GLOBAL__N_125multi_tensor_apply_kernelINS1_28TensorListScalarListMetadataIlLi3EEENS1_28PointwiseOpScalarListFunctorIlLi3ELi3ELi0EEEJSt10multipliesIlEEEEvT_T0_DpT1_
; %bb.0:
	s_bfe_u32 s2, ttmp6, 0x4000c
	s_and_b32 s3, ttmp6, 15
	s_add_co_i32 s2, s2, 1
	s_getreg_b32 s4, hwreg(HW_REG_IB_STS2, 6, 4)
	s_mul_i32 s2, ttmp9, s2
	s_mov_b32 s17, 0
	s_add_co_i32 s3, s3, s2
	s_cmp_eq_u32 s4, 0
	s_cselect_b32 s16, ttmp9, s3
	s_load_u8 s10, s[0:1], s16 offset:0x780
	s_add_nc_u64 s[2:3], s[0:1], s[16:17]
	s_mul_u64 s[4:5], s[16:17], 3
	s_delay_alu instid0(SALU_CYCLE_1)
	s_add_nc_u64 s[8:9], s[2:3], s[4:5]
	s_load_b32 s20, s[8:9], 0x8c0
	s_wait_kmcnt 0x0
	s_clause 0x4
	s_load_b64 s[2:3], s[0:1], s10 offset:0x180 scale_offset
	s_load_b64 s[4:5], s[0:1], s10 offset:0x300 scale_offset
	;; [unrolled: 1-line block ×5, first 2 shown]
	s_ashr_i32 s21, s20, 31
	s_delay_alu instid0(SALU_CYCLE_1)
	s_lshl_b64 s[14:15], s[20:21], 19
	s_wait_kmcnt 0x0
	s_add_nc_u64 s[8:9], s[2:3], s[14:15]
	s_add_nc_u64 s[10:11], s[4:5], s[14:15]
	;; [unrolled: 1-line block ×3, first 2 shown]
	s_or_b32 s16, s10, s8
	s_and_b64 s[24:25], s[12:13], 31
	s_and_b32 s16, s16, 31
	s_delay_alu instid0(SALU_CYCLE_1) | instskip(SKIP_4) | instid1(SALU_CYCLE_1)
	s_cmp_eq_u32 s16, 0
	s_cselect_b32 s26, -1, 0
	s_and_b32 s16, s22, 3
	s_lshl_b64 s[20:21], s[20:21], 16
	s_or_b64 s[16:17], s[24:25], s[16:17]
	s_cmp_eq_u64 s[16:17], 0
	s_cselect_b32 s16, -1, 0
	s_delay_alu instid0(SALU_CYCLE_1)
	s_and_b32 s24, s26, s16
	s_sub_nc_u64 s[16:17], s[22:23], s[20:21]
	s_and_b32 vcc_lo, exec_lo, s24
	s_mov_b32 s20, -1
	s_cbranch_vccnz .LBB102_29
; %bb.1:
	v_cmp_lt_i64_e64 s20, s[16:17], 1
	s_and_b32 vcc_lo, exec_lo, s20
	s_cbranch_vccnz .LBB102_28
; %bb.2:
	s_load_b32 s20, s[0:1], 0xdd4
	v_min_i64 v[2:3], 0x10000, s[16:17]
	v_min_u64 v[4:5], 0x10000, s[16:17]
	v_dual_mov_b32 v1, 0 :: v_dual_lshlrev_b32 v12, 3, v0
	s_mov_b32 s21, 0
	s_delay_alu instid0(SALU_CYCLE_1) | instskip(NEXT) | instid1(VALU_DEP_1)
	s_mov_b32 s27, s21
	v_dual_mov_b32 v13, v1 :: v_dual_mov_b32 v35, v1
	s_mov_b32 s23, s21
	s_mov_b32 s25, s21
	s_delay_alu instid0(VALU_DEP_1) | instskip(SKIP_3) | instid1(SALU_CYCLE_1)
	v_add_nc_u64_e32 v[6:7], s[18:19], v[12:13]
	v_add_nc_u64_e32 v[8:9], s[2:3], v[12:13]
	s_wait_kmcnt 0x0
	s_and_b32 s20, s20, 0xffff
	v_add_nc_u64_e32 v[10:11], s[20:21], v[0:1]
	v_mad_nc_u64_u32 v[28:29], s20, 24, v[12:13]
	s_lshl_b32 s26, s20, 4
	s_mul_i32 s24, s20, 3
	v_add_nc_u64_e32 v[22:23], s[26:27], v[12:13]
	s_lshl_b32 s22, s20, 1
	v_add_nc_u64_e32 v[12:13], s[4:5], v[12:13]
	v_lshlrev_b32_e32 v34, 3, v10
	v_add_nc_u64_e32 v[14:15], s[24:25], v[0:1]
	v_add_nc_u64_e32 v[16:17], s[22:23], v[0:1]
	s_mov_b64 s[22:23], 0
	v_add_nc_u64_e32 v[18:19], s[18:19], v[22:23]
	v_add_nc_u64_e32 v[20:21], s[2:3], v[22:23]
	;; [unrolled: 1-line block ×9, first 2 shown]
	s_lshl_b32 s18, s20, 2
	s_mov_b32 s19, s21
	s_lshl_b32 s20, s20, 5
	s_branch .LBB102_4
.LBB102_3:                              ;   in Loop: Header=BB102_4 Depth=1
	s_wait_xcnt 0x0
	s_or_b32 exec_lo, exec_lo, s2
	s_add_nc_u64 s[22:23], s[22:23], s[18:19]
	v_add_nc_u64_e32 v[6:7], s[20:21], v[6:7]
	v_cmp_lt_i64_e32 vcc_lo, s[22:23], v[2:3]
	v_add_nc_u64_e32 v[8:9], s[20:21], v[8:9]
	v_add_nc_u64_e32 v[12:13], s[20:21], v[12:13]
	;; [unrolled: 1-line block ×11, first 2 shown]
	s_cbranch_vccz .LBB102_28
.LBB102_4:                              ; =>This Inner Loop Header: Depth=1
	s_wait_loadcnt 0x1
	v_add_nc_u64_e32 v[40:41], s[22:23], v[0:1]
	s_wait_loadcnt 0x0
	v_mov_b64_e32 v[36:37], 0
	v_mov_b64_e32 v[38:39], 0
	s_delay_alu instid0(VALU_DEP_3)
	v_cmp_lt_u64_e32 vcc_lo, v[40:41], v[4:5]
	v_mov_b64_e32 v[40:41], 0
	s_and_saveexec_b32 s2, vcc_lo
	s_cbranch_execz .LBB102_6
; %bb.5:                                ;   in Loop: Header=BB102_4 Depth=1
	v_add_nc_u64_e32 v[42:43], s[14:15], v[6:7]
	v_add_nc_u64_e32 v[44:45], s[14:15], v[8:9]
	global_load_b64 v[40:41], v[42:43], off
	global_load_b64 v[38:39], v[44:45], off
.LBB102_6:                              ;   in Loop: Header=BB102_4 Depth=1
	s_wait_xcnt 0x0
	s_or_b32 exec_lo, exec_lo, s2
	s_and_saveexec_b32 s2, vcc_lo
	s_cbranch_execz .LBB102_8
; %bb.7:                                ;   in Loop: Header=BB102_4 Depth=1
	v_add_nc_u64_e32 v[36:37], s[14:15], v[12:13]
	global_load_b64 v[36:37], v[36:37], off
.LBB102_8:                              ;   in Loop: Header=BB102_4 Depth=1
	s_wait_xcnt 0x0
	s_or_b32 exec_lo, exec_lo, s2
	v_add_nc_u64_e32 v[46:47], s[22:23], v[10:11]
	v_mov_b64_e32 v[42:43], 0
	v_mov_b64_e32 v[44:45], 0
	s_delay_alu instid0(VALU_DEP_3)
	v_cmp_lt_u64_e64 s2, v[46:47], v[4:5]
	v_mov_b64_e32 v[46:47], 0
	s_and_saveexec_b32 s3, s2
	s_cbranch_execz .LBB102_10
; %bb.9:                                ;   in Loop: Header=BB102_4 Depth=1
	v_add_nc_u64_e32 v[48:49], s[14:15], v[30:31]
	v_add_nc_u64_e32 v[50:51], s[14:15], v[32:33]
	global_load_b64 v[46:47], v[48:49], off
	global_load_b64 v[44:45], v[50:51], off
.LBB102_10:                             ;   in Loop: Header=BB102_4 Depth=1
	s_wait_xcnt 0x0
	s_or_b32 exec_lo, exec_lo, s3
	s_and_saveexec_b32 s3, s2
	s_cbranch_execz .LBB102_12
; %bb.11:                               ;   in Loop: Header=BB102_4 Depth=1
	v_add_nc_u64_e32 v[42:43], s[14:15], v[34:35]
	global_load_b64 v[42:43], v[42:43], off
.LBB102_12:                             ;   in Loop: Header=BB102_4 Depth=1
	s_wait_xcnt 0x0
	s_or_b32 exec_lo, exec_lo, s3
	v_add_nc_u64_e32 v[52:53], s[22:23], v[16:17]
	v_mov_b64_e32 v[48:49], 0
	v_mov_b64_e32 v[50:51], 0
	s_delay_alu instid0(VALU_DEP_3)
	v_cmp_lt_u64_e64 s3, v[52:53], v[4:5]
	v_mov_b64_e32 v[52:53], 0
	s_and_saveexec_b32 s4, s3
	s_cbranch_execz .LBB102_14
; %bb.13:                               ;   in Loop: Header=BB102_4 Depth=1
	v_add_nc_u64_e32 v[54:55], s[14:15], v[18:19]
	v_add_nc_u64_e32 v[56:57], s[14:15], v[20:21]
	global_load_b64 v[52:53], v[54:55], off
	global_load_b64 v[50:51], v[56:57], off
.LBB102_14:                             ;   in Loop: Header=BB102_4 Depth=1
	s_wait_xcnt 0x0
	s_or_b32 exec_lo, exec_lo, s4
	s_and_saveexec_b32 s4, s3
	s_cbranch_execz .LBB102_16
; %bb.15:                               ;   in Loop: Header=BB102_4 Depth=1
	v_add_nc_u64_e32 v[48:49], s[14:15], v[22:23]
	global_load_b64 v[48:49], v[48:49], off
.LBB102_16:                             ;   in Loop: Header=BB102_4 Depth=1
	s_wait_xcnt 0x0
	s_or_b32 exec_lo, exec_lo, s4
	v_add_nc_u64_e32 v[58:59], s[22:23], v[14:15]
	v_mov_b64_e32 v[54:55], 0
	v_mov_b64_e32 v[56:57], 0
	s_delay_alu instid0(VALU_DEP_3)
	v_cmp_lt_u64_e64 s4, v[58:59], v[4:5]
	v_mov_b64_e32 v[58:59], 0
	s_and_saveexec_b32 s5, s4
	s_cbranch_execnz .LBB102_22
; %bb.17:                               ;   in Loop: Header=BB102_4 Depth=1
	s_or_b32 exec_lo, exec_lo, s5
	s_and_saveexec_b32 s5, s4
	s_cbranch_execnz .LBB102_23
.LBB102_18:                             ;   in Loop: Header=BB102_4 Depth=1
	s_or_b32 exec_lo, exec_lo, s5
	s_and_saveexec_b32 s5, vcc_lo
	s_cbranch_execnz .LBB102_24
.LBB102_19:                             ;   in Loop: Header=BB102_4 Depth=1
	s_or_b32 exec_lo, exec_lo, s5
	s_and_saveexec_b32 s5, s2
	s_cbranch_execnz .LBB102_25
.LBB102_20:                             ;   in Loop: Header=BB102_4 Depth=1
	s_or_b32 exec_lo, exec_lo, s5
	s_and_saveexec_b32 s2, s3
	s_cbranch_execnz .LBB102_26
.LBB102_21:                             ;   in Loop: Header=BB102_4 Depth=1
	s_or_b32 exec_lo, exec_lo, s2
	s_and_saveexec_b32 s2, s4
	s_cbranch_execz .LBB102_3
	s_branch .LBB102_27
.LBB102_22:                             ;   in Loop: Header=BB102_4 Depth=1
	v_add_nc_u64_e32 v[60:61], s[14:15], v[24:25]
	v_add_nc_u64_e32 v[62:63], s[14:15], v[26:27]
	global_load_b64 v[58:59], v[60:61], off
	global_load_b64 v[56:57], v[62:63], off
	s_wait_xcnt 0x0
	s_or_b32 exec_lo, exec_lo, s5
	s_and_saveexec_b32 s5, s4
	s_cbranch_execz .LBB102_18
.LBB102_23:                             ;   in Loop: Header=BB102_4 Depth=1
	v_add_nc_u64_e32 v[54:55], s[14:15], v[28:29]
	global_load_b64 v[54:55], v[54:55], off
	s_wait_xcnt 0x0
	s_or_b32 exec_lo, exec_lo, s5
	s_and_saveexec_b32 s5, vcc_lo
	s_cbranch_execz .LBB102_19
.LBB102_24:                             ;   in Loop: Header=BB102_4 Depth=1
	s_wait_loadcnt 0x0
	v_mul_u64_e32 v[38:39], s[6:7], v[38:39]
	s_delay_alu instid0(VALU_DEP_1) | instskip(NEXT) | instid1(VALU_DEP_1)
	v_mad_nc_u64_u32 v[40:41], v38, v36, v[40:41]
	v_mad_u32 v36, v39, v36, v41
	s_delay_alu instid0(VALU_DEP_1)
	v_mad_u32 v41, v38, v37, v36
	v_add_nc_u64_e32 v[36:37], s[14:15], v[6:7]
	global_store_b64 v[36:37], v[40:41], off
	s_wait_xcnt 0x0
	s_or_b32 exec_lo, exec_lo, s5
	s_and_saveexec_b32 s5, s2
	s_cbranch_execz .LBB102_20
.LBB102_25:                             ;   in Loop: Header=BB102_4 Depth=1
	s_wait_loadcnt 0x0
	v_mul_u64_e32 v[36:37], s[6:7], v[44:45]
	s_delay_alu instid0(VALU_DEP_1) | instskip(NEXT) | instid1(VALU_DEP_1)
	v_mad_nc_u64_u32 v[38:39], v36, v42, v[46:47]
	v_mad_u32 v37, v37, v42, v39
	s_delay_alu instid0(VALU_DEP_1)
	v_mad_u32 v39, v36, v43, v37
	v_add_nc_u64_e32 v[36:37], s[14:15], v[30:31]
	global_store_b64 v[36:37], v[38:39], off
	s_wait_xcnt 0x0
	s_or_b32 exec_lo, exec_lo, s5
	s_and_saveexec_b32 s2, s3
	s_cbranch_execz .LBB102_21
.LBB102_26:                             ;   in Loop: Header=BB102_4 Depth=1
	s_wait_loadcnt 0x0
	v_mul_u64_e32 v[36:37], s[6:7], v[50:51]
	s_delay_alu instid0(VALU_DEP_1) | instskip(NEXT) | instid1(VALU_DEP_1)
	v_mad_nc_u64_u32 v[38:39], v36, v48, v[52:53]
	v_mad_u32 v37, v37, v48, v39
	s_delay_alu instid0(VALU_DEP_1)
	v_mad_u32 v39, v36, v49, v37
	v_add_nc_u64_e32 v[36:37], s[14:15], v[18:19]
	global_store_b64 v[36:37], v[38:39], off
	s_wait_xcnt 0x0
	s_or_b32 exec_lo, exec_lo, s2
	s_and_saveexec_b32 s2, s4
	s_cbranch_execz .LBB102_3
.LBB102_27:                             ;   in Loop: Header=BB102_4 Depth=1
	s_wait_loadcnt 0x0
	v_mul_u64_e32 v[36:37], s[6:7], v[56:57]
	s_delay_alu instid0(VALU_DEP_1) | instskip(NEXT) | instid1(VALU_DEP_1)
	v_mad_nc_u64_u32 v[38:39], v36, v54, v[58:59]
	v_mad_u32 v37, v37, v54, v39
	s_delay_alu instid0(VALU_DEP_1)
	v_mad_u32 v39, v36, v55, v37
	v_add_nc_u64_e32 v[36:37], s[14:15], v[24:25]
	global_store_b64 v[36:37], v[38:39], off
	s_branch .LBB102_3
.LBB102_28:
	s_mov_b32 s20, 0
.LBB102_29:
	s_delay_alu instid0(SALU_CYCLE_1)
	s_and_not1_b32 vcc_lo, exec_lo, s20
	s_cbranch_vccnz .LBB102_33
; %bb.30:
	v_min_i64 v[2:3], 0x10000, s[16:17]
	v_dual_mov_b32 v5, 0 :: v_dual_lshlrev_b32 v4, 2, v0
	s_mov_b32 s2, exec_lo
	s_delay_alu instid0(VALU_DEP_1)
	v_cmpx_lt_i64_e64 v[4:5], v[2:3]
	s_cbranch_execz .LBB102_33
; %bb.31:
	s_load_b32 s0, s[0:1], 0xdd4
	v_dual_mov_b32 v1, v5 :: v_dual_lshlrev_b32 v4, 5, v0
	s_wait_xcnt 0x0
	s_mov_b32 s1, 0
	s_delay_alu instid0(SALU_CYCLE_1) | instskip(SKIP_3) | instid1(SALU_CYCLE_1)
	s_mov_b32 s3, s1
	s_mov_b32 s4, s1
	s_wait_kmcnt 0x0
	s_and_b32 s0, s0, 0xffff
	s_lshl_b32 s2, s0, 5
.LBB102_32:                             ; =>This Inner Loop Header: Depth=1
	v_add_nc_u64_e32 v[14:15], s[8:9], v[4:5]
	v_add_nc_u64_e32 v[30:31], s[10:11], v[4:5]
	;; [unrolled: 1-line block ×4, first 2 shown]
	s_add_nc_u64 s[10:11], s[10:11], s[2:3]
	s_add_nc_u64 s[12:13], s[12:13], s[2:3]
	;; [unrolled: 1-line block ×3, first 2 shown]
	s_clause 0x1
	global_load_b128 v[6:9], v[14:15], off
	global_load_b128 v[10:13], v[14:15], off offset:16
	global_load_b128 v[14:17], v[30:31], off
	s_clause 0x1
	global_load_b128 v[18:21], v[32:33], off
	global_load_b128 v[22:25], v[32:33], off offset:16
	global_load_b128 v[26:29], v[30:31], off offset:16
	s_wait_loadcnt 0x5
	s_wait_xcnt 0x0
	v_mul_u64_e32 v[30:31], s[6:7], v[6:7]
	v_mul_u64_e32 v[34:35], s[6:7], v[8:9]
	s_wait_loadcnt 0x4
	v_mul_u64_e32 v[36:37], s[6:7], v[10:11]
	v_mul_u64_e32 v[38:39], s[6:7], v[12:13]
	s_wait_loadcnt 0x2
	s_delay_alu instid0(VALU_DEP_4) | instskip(NEXT) | instid1(VALU_DEP_4)
	v_mad_nc_u64_u32 v[6:7], v30, v14, v[18:19]
	v_mad_nc_u64_u32 v[8:9], v34, v16, v[20:21]
	s_wait_loadcnt 0x0
	s_delay_alu instid0(VALU_DEP_4) | instskip(NEXT) | instid1(VALU_DEP_4)
	v_mad_nc_u64_u32 v[10:11], v36, v26, v[22:23]
	v_mad_nc_u64_u32 v[12:13], v38, v28, v[24:25]
	v_lshlrev_b64_e32 v[18:19], 2, v[0:1]
	s_delay_alu instid0(VALU_DEP_1)
	v_cmp_ge_i64_e32 vcc_lo, v[18:19], v[2:3]
	v_mad_u32 v7, v31, v14, v7
	v_mad_u32 v9, v35, v16, v9
	;; [unrolled: 1-line block ×4, first 2 shown]
	s_or_b32 s4, vcc_lo, s4
	s_delay_alu instid0(VALU_DEP_4) | instskip(NEXT) | instid1(VALU_DEP_4)
	v_mad_u32 v7, v30, v15, v7
	v_mad_u32 v9, v34, v17, v9
	s_delay_alu instid0(VALU_DEP_4) | instskip(NEXT) | instid1(VALU_DEP_4)
	v_mad_u32 v11, v36, v27, v11
	v_mad_u32 v13, v38, v29, v13
	s_clause 0x1
	global_store_b128 v[32:33], v[6:9], off
	global_store_b128 v[32:33], v[10:13], off offset:16
	s_wait_xcnt 0x0
	s_and_not1_b32 exec_lo, exec_lo, s4
	s_cbranch_execnz .LBB102_32
.LBB102_33:
	s_endpgm
	.section	.rodata,"a",@progbits
	.p2align	6, 0x0
	.amdhsa_kernel _ZN2at6native12_GLOBAL__N_125multi_tensor_apply_kernelINS1_28TensorListScalarListMetadataIlLi3EEENS1_28PointwiseOpScalarListFunctorIlLi3ELi3ELi0EEEJSt10multipliesIlEEEEvT_T0_DpT1_
		.amdhsa_group_segment_fixed_size 0
		.amdhsa_private_segment_fixed_size 0
		.amdhsa_kernarg_size 3784
		.amdhsa_user_sgpr_count 2
		.amdhsa_user_sgpr_dispatch_ptr 0
		.amdhsa_user_sgpr_queue_ptr 0
		.amdhsa_user_sgpr_kernarg_segment_ptr 1
		.amdhsa_user_sgpr_dispatch_id 0
		.amdhsa_user_sgpr_kernarg_preload_length 0
		.amdhsa_user_sgpr_kernarg_preload_offset 0
		.amdhsa_user_sgpr_private_segment_size 0
		.amdhsa_wavefront_size32 1
		.amdhsa_uses_dynamic_stack 0
		.amdhsa_enable_private_segment 0
		.amdhsa_system_sgpr_workgroup_id_x 1
		.amdhsa_system_sgpr_workgroup_id_y 0
		.amdhsa_system_sgpr_workgroup_id_z 0
		.amdhsa_system_sgpr_workgroup_info 0
		.amdhsa_system_vgpr_workitem_id 0
		.amdhsa_next_free_vgpr 64
		.amdhsa_next_free_sgpr 28
		.amdhsa_named_barrier_count 0
		.amdhsa_reserve_vcc 1
		.amdhsa_float_round_mode_32 0
		.amdhsa_float_round_mode_16_64 0
		.amdhsa_float_denorm_mode_32 3
		.amdhsa_float_denorm_mode_16_64 3
		.amdhsa_fp16_overflow 0
		.amdhsa_memory_ordered 1
		.amdhsa_forward_progress 1
		.amdhsa_inst_pref_size 14
		.amdhsa_round_robin_scheduling 0
		.amdhsa_exception_fp_ieee_invalid_op 0
		.amdhsa_exception_fp_denorm_src 0
		.amdhsa_exception_fp_ieee_div_zero 0
		.amdhsa_exception_fp_ieee_overflow 0
		.amdhsa_exception_fp_ieee_underflow 0
		.amdhsa_exception_fp_ieee_inexact 0
		.amdhsa_exception_int_div_zero 0
	.end_amdhsa_kernel
	.section	.text._ZN2at6native12_GLOBAL__N_125multi_tensor_apply_kernelINS1_28TensorListScalarListMetadataIlLi3EEENS1_28PointwiseOpScalarListFunctorIlLi3ELi3ELi0EEEJSt10multipliesIlEEEEvT_T0_DpT1_,"axG",@progbits,_ZN2at6native12_GLOBAL__N_125multi_tensor_apply_kernelINS1_28TensorListScalarListMetadataIlLi3EEENS1_28PointwiseOpScalarListFunctorIlLi3ELi3ELi0EEEJSt10multipliesIlEEEEvT_T0_DpT1_,comdat
.Lfunc_end102:
	.size	_ZN2at6native12_GLOBAL__N_125multi_tensor_apply_kernelINS1_28TensorListScalarListMetadataIlLi3EEENS1_28PointwiseOpScalarListFunctorIlLi3ELi3ELi0EEEJSt10multipliesIlEEEEvT_T0_DpT1_, .Lfunc_end102-_ZN2at6native12_GLOBAL__N_125multi_tensor_apply_kernelINS1_28TensorListScalarListMetadataIlLi3EEENS1_28PointwiseOpScalarListFunctorIlLi3ELi3ELi0EEEJSt10multipliesIlEEEEvT_T0_DpT1_
                                        ; -- End function
	.set _ZN2at6native12_GLOBAL__N_125multi_tensor_apply_kernelINS1_28TensorListScalarListMetadataIlLi3EEENS1_28PointwiseOpScalarListFunctorIlLi3ELi3ELi0EEEJSt10multipliesIlEEEEvT_T0_DpT1_.num_vgpr, 64
	.set _ZN2at6native12_GLOBAL__N_125multi_tensor_apply_kernelINS1_28TensorListScalarListMetadataIlLi3EEENS1_28PointwiseOpScalarListFunctorIlLi3ELi3ELi0EEEJSt10multipliesIlEEEEvT_T0_DpT1_.num_agpr, 0
	.set _ZN2at6native12_GLOBAL__N_125multi_tensor_apply_kernelINS1_28TensorListScalarListMetadataIlLi3EEENS1_28PointwiseOpScalarListFunctorIlLi3ELi3ELi0EEEJSt10multipliesIlEEEEvT_T0_DpT1_.numbered_sgpr, 28
	.set _ZN2at6native12_GLOBAL__N_125multi_tensor_apply_kernelINS1_28TensorListScalarListMetadataIlLi3EEENS1_28PointwiseOpScalarListFunctorIlLi3ELi3ELi0EEEJSt10multipliesIlEEEEvT_T0_DpT1_.num_named_barrier, 0
	.set _ZN2at6native12_GLOBAL__N_125multi_tensor_apply_kernelINS1_28TensorListScalarListMetadataIlLi3EEENS1_28PointwiseOpScalarListFunctorIlLi3ELi3ELi0EEEJSt10multipliesIlEEEEvT_T0_DpT1_.private_seg_size, 0
	.set _ZN2at6native12_GLOBAL__N_125multi_tensor_apply_kernelINS1_28TensorListScalarListMetadataIlLi3EEENS1_28PointwiseOpScalarListFunctorIlLi3ELi3ELi0EEEJSt10multipliesIlEEEEvT_T0_DpT1_.uses_vcc, 1
	.set _ZN2at6native12_GLOBAL__N_125multi_tensor_apply_kernelINS1_28TensorListScalarListMetadataIlLi3EEENS1_28PointwiseOpScalarListFunctorIlLi3ELi3ELi0EEEJSt10multipliesIlEEEEvT_T0_DpT1_.uses_flat_scratch, 0
	.set _ZN2at6native12_GLOBAL__N_125multi_tensor_apply_kernelINS1_28TensorListScalarListMetadataIlLi3EEENS1_28PointwiseOpScalarListFunctorIlLi3ELi3ELi0EEEJSt10multipliesIlEEEEvT_T0_DpT1_.has_dyn_sized_stack, 0
	.set _ZN2at6native12_GLOBAL__N_125multi_tensor_apply_kernelINS1_28TensorListScalarListMetadataIlLi3EEENS1_28PointwiseOpScalarListFunctorIlLi3ELi3ELi0EEEJSt10multipliesIlEEEEvT_T0_DpT1_.has_recursion, 0
	.set _ZN2at6native12_GLOBAL__N_125multi_tensor_apply_kernelINS1_28TensorListScalarListMetadataIlLi3EEENS1_28PointwiseOpScalarListFunctorIlLi3ELi3ELi0EEEJSt10multipliesIlEEEEvT_T0_DpT1_.has_indirect_call, 0
	.section	.AMDGPU.csdata,"",@progbits
; Kernel info:
; codeLenInByte = 1704
; TotalNumSgprs: 30
; NumVgprs: 64
; ScratchSize: 0
; MemoryBound: 0
; FloatMode: 240
; IeeeMode: 1
; LDSByteSize: 0 bytes/workgroup (compile time only)
; SGPRBlocks: 0
; VGPRBlocks: 3
; NumSGPRsForWavesPerEU: 30
; NumVGPRsForWavesPerEU: 64
; NamedBarCnt: 0
; Occupancy: 16
; WaveLimiterHint : 1
; COMPUTE_PGM_RSRC2:SCRATCH_EN: 0
; COMPUTE_PGM_RSRC2:USER_SGPR: 2
; COMPUTE_PGM_RSRC2:TRAP_HANDLER: 0
; COMPUTE_PGM_RSRC2:TGID_X_EN: 1
; COMPUTE_PGM_RSRC2:TGID_Y_EN: 0
; COMPUTE_PGM_RSRC2:TGID_Z_EN: 0
; COMPUTE_PGM_RSRC2:TIDIG_COMP_CNT: 0
	.section	.text._ZN2at6native12_GLOBAL__N_125multi_tensor_apply_kernelINS1_28TensorListScalarListMetadataIsLi3EEENS1_28PointwiseOpScalarListFunctorIsLi3ELi3ELi0EEEJSt10multipliesIsEEEEvT_T0_DpT1_,"axG",@progbits,_ZN2at6native12_GLOBAL__N_125multi_tensor_apply_kernelINS1_28TensorListScalarListMetadataIsLi3EEENS1_28PointwiseOpScalarListFunctorIsLi3ELi3ELi0EEEJSt10multipliesIsEEEEvT_T0_DpT1_,comdat
	.globl	_ZN2at6native12_GLOBAL__N_125multi_tensor_apply_kernelINS1_28TensorListScalarListMetadataIsLi3EEENS1_28PointwiseOpScalarListFunctorIsLi3ELi3ELi0EEEJSt10multipliesIsEEEEvT_T0_DpT1_ ; -- Begin function _ZN2at6native12_GLOBAL__N_125multi_tensor_apply_kernelINS1_28TensorListScalarListMetadataIsLi3EEENS1_28PointwiseOpScalarListFunctorIsLi3ELi3ELi0EEEJSt10multipliesIsEEEEvT_T0_DpT1_
	.p2align	8
	.type	_ZN2at6native12_GLOBAL__N_125multi_tensor_apply_kernelINS1_28TensorListScalarListMetadataIsLi3EEENS1_28PointwiseOpScalarListFunctorIsLi3ELi3ELi0EEEJSt10multipliesIsEEEEvT_T0_DpT1_,@function
_ZN2at6native12_GLOBAL__N_125multi_tensor_apply_kernelINS1_28TensorListScalarListMetadataIsLi3EEENS1_28PointwiseOpScalarListFunctorIsLi3ELi3ELi0EEEJSt10multipliesIsEEEEvT_T0_DpT1_: ; @_ZN2at6native12_GLOBAL__N_125multi_tensor_apply_kernelINS1_28TensorListScalarListMetadataIsLi3EEENS1_28PointwiseOpScalarListFunctorIsLi3ELi3ELi0EEEJSt10multipliesIsEEEEvT_T0_DpT1_
; %bb.0:
	s_bfe_u32 s2, ttmp6, 0x4000c
	s_and_b32 s3, ttmp6, 15
	s_add_co_i32 s2, s2, 1
	s_getreg_b32 s4, hwreg(HW_REG_IB_STS2, 6, 4)
	s_mul_i32 s2, ttmp9, s2
	v_mov_b32_e32 v3, 0
	s_add_co_i32 s3, s3, s2
	s_cmp_eq_u32 s4, 0
	s_cselect_b32 s2, ttmp9, s3
	s_mov_b32 s3, 0
	v_mov_b32_e32 v1, s2
	s_add_nc_u64 s[4:5], s[0:1], s[2:3]
	s_mul_u64 s[6:7], s[2:3], 3
	s_delay_alu instid0(SALU_CYCLE_1) | instskip(SKIP_4) | instid1(VALU_DEP_1)
	s_add_nc_u64 s[4:5], s[4:5], s[6:7]
	global_load_u8 v1, v1, s[0:1] offset:1632
	s_load_b32 s4, s[4:5], 0x7a0
	s_wait_loadcnt 0x0
	v_readfirstlane_b32 s2, v1
	v_mov_b32_e32 v2, s2
	s_wait_xcnt 0x0
	s_and_b32 s5, s2, 0xff
	s_delay_alu instid0(SALU_CYCLE_1) | instskip(NEXT) | instid1(SALU_CYCLE_1)
	s_lshl_b32 s2, s5, 3
	s_add_nc_u64 s[6:7], s[0:1], s[2:3]
	v_and_b32_e32 v2, 0xff, v2
	s_delay_alu instid0(VALU_DEP_1) | instskip(NEXT) | instid1(VALU_DEP_1)
	v_mul_u64_e32 v[2:3], -6, v[2:3]
	v_add_nc_u64_e32 v[2:3], s[6:7], v[2:3]
	global_load_u16 v36, v[2:3], off offset:1536
	s_clause 0x3
	s_load_b64 s[6:7], s[0:1], s5 offset:0x180 scale_offset
	s_load_b64 s[8:9], s[0:1], s5 offset:0x300 scale_offset
	;; [unrolled: 1-line block ×4, first 2 shown]
	s_wait_kmcnt 0x0
	s_ashr_i32 s5, s4, 31
	s_delay_alu instid0(SALU_CYCLE_1) | instskip(NEXT) | instid1(SALU_CYCLE_1)
	s_lshl_b64 s[12:13], s[4:5], 17
	s_add_nc_u64 s[16:17], s[6:7], s[12:13]
	s_delay_alu instid0(SALU_CYCLE_1) | instskip(SKIP_2) | instid1(SALU_CYCLE_1)
	s_or_b32 s2, s8, s16
	s_and_b64 s[16:17], s[10:11], 7
	s_and_b32 s2, s2, 7
	s_cmp_eq_u32 s2, 0
	s_cselect_b32 s18, -1, 0
	s_and_b32 s2, s14, 3
	s_lshl_b64 s[4:5], s[4:5], 16
	s_or_b64 s[2:3], s[16:17], s[2:3]
	s_sub_nc_u64 s[14:15], s[14:15], s[4:5]
	s_cmp_eq_u64 s[2:3], 0
	s_cselect_b32 s2, -1, 0
	s_delay_alu instid0(SALU_CYCLE_1) | instskip(NEXT) | instid1(SALU_CYCLE_1)
	s_and_b32 s2, s18, s2
	s_and_b32 vcc_lo, exec_lo, s2
	s_mov_b32 s2, -1
	s_cbranch_vccnz .LBB103_29
; %bb.1:
	v_cmp_lt_i64_e64 s2, s[14:15], 1
	s_and_b32 vcc_lo, exec_lo, s2
	s_cbranch_vccnz .LBB103_28
; %bb.2:
	s_load_b32 s2, s[0:1], 0xcb4
	v_min_i64 v[2:3], 0x10000, s[14:15]
	v_min_u64 v[4:5], 0x10000, s[14:15]
	v_dual_mov_b32 v1, 0 :: v_dual_lshlrev_b32 v12, 1, v0
	s_mov_b32 s19, 0
	s_mov_b64 s[20:21], 0
	s_mov_b32 s17, s19
	s_delay_alu instid0(VALU_DEP_1) | instskip(SKIP_2) | instid1(VALU_DEP_1)
	v_dual_mov_b32 v13, v1 :: v_dual_mov_b32 v35, v1
	s_mov_b32 s3, s19
	s_mov_b32 s5, s19
	v_add_nc_u64_e32 v[6:7], s[10:11], v[12:13]
	v_add_nc_u64_e32 v[8:9], s[6:7], v[12:13]
	s_wait_kmcnt 0x0
	s_and_b32 s18, s2, 0xffff
	s_delay_alu instid0(SALU_CYCLE_1)
	v_add_nc_u64_e32 v[10:11], s[18:19], v[0:1]
	v_mad_nc_u64_u32 v[28:29], s18, 6, v[12:13]
	s_lshl_b32 s16, s18, 2
	s_mul_i32 s4, s18, 3
	v_add_nc_u64_e32 v[22:23], s[16:17], v[12:13]
	s_lshl_b32 s2, s18, 1
	v_add_nc_u64_e32 v[12:13], s[8:9], v[12:13]
	v_lshlrev_b32_e32 v34, 1, v10
	v_add_nc_u64_e32 v[14:15], s[4:5], v[0:1]
	v_add_nc_u64_e32 v[16:17], s[2:3], v[0:1]
	s_lshl_b32 s18, s18, 3
	v_add_nc_u64_e32 v[18:19], s[10:11], v[22:23]
	v_add_nc_u64_e32 v[20:21], s[6:7], v[22:23]
	;; [unrolled: 1-line block ×9, first 2 shown]
	s_branch .LBB103_4
.LBB103_3:                              ;   in Loop: Header=BB103_4 Depth=1
	s_wait_xcnt 0x0
	s_or_b32 exec_lo, exec_lo, s2
	s_add_nc_u64 s[20:21], s[20:21], s[16:17]
	v_add_nc_u64_e32 v[6:7], s[18:19], v[6:7]
	v_cmp_lt_i64_e32 vcc_lo, s[20:21], v[2:3]
	v_add_nc_u64_e32 v[8:9], s[18:19], v[8:9]
	v_add_nc_u64_e32 v[12:13], s[18:19], v[12:13]
	;; [unrolled: 1-line block ×11, first 2 shown]
	s_cbranch_vccz .LBB103_28
.LBB103_4:                              ; =>This Inner Loop Header: Depth=1
	s_wait_loadcnt 0x0
	v_add_nc_u64_e32 v[38:39], s[20:21], v[0:1]
	v_mov_b32_e32 v37, 0
	s_delay_alu instid0(VALU_DEP_2)
	v_cmp_lt_u64_e32 vcc_lo, v[38:39], v[4:5]
	v_mov_b32_e32 v38, 0
	s_and_saveexec_b32 s2, vcc_lo
	s_cbranch_execz .LBB103_6
; %bb.5:                                ;   in Loop: Header=BB103_4 Depth=1
	v_add_nc_u64_e32 v[40:41], s[12:13], v[6:7]
	v_add_nc_u64_e32 v[42:43], s[12:13], v[8:9]
	global_load_u16 v37, v[40:41], off
	global_load_u16 v38, v[42:43], off
.LBB103_6:                              ;   in Loop: Header=BB103_4 Depth=1
	s_wait_xcnt 0x0
	s_or_b32 exec_lo, exec_lo, s2
	v_dual_mov_b32 v39, 0 :: v_dual_mov_b32 v40, 0
	s_and_saveexec_b32 s2, vcc_lo
	s_cbranch_execz .LBB103_8
; %bb.7:                                ;   in Loop: Header=BB103_4 Depth=1
	v_add_nc_u64_e32 v[40:41], s[12:13], v[12:13]
	global_load_u16 v40, v[40:41], off
.LBB103_8:                              ;   in Loop: Header=BB103_4 Depth=1
	s_wait_xcnt 0x0
	s_or_b32 exec_lo, exec_lo, s2
	v_add_nc_u64_e32 v[42:43], s[20:21], v[10:11]
	v_mov_b32_e32 v41, 0
	s_delay_alu instid0(VALU_DEP_2)
	v_cmp_lt_u64_e64 s2, v[42:43], v[4:5]
	s_and_saveexec_b32 s3, s2
	s_cbranch_execz .LBB103_10
; %bb.9:                                ;   in Loop: Header=BB103_4 Depth=1
	v_add_nc_u64_e32 v[42:43], s[12:13], v[30:31]
	v_add_nc_u64_e32 v[44:45], s[12:13], v[32:33]
	global_load_u16 v41, v[42:43], off
	global_load_u16 v39, v[44:45], off
.LBB103_10:                             ;   in Loop: Header=BB103_4 Depth=1
	s_wait_xcnt 0x0
	s_or_b32 exec_lo, exec_lo, s3
	v_dual_mov_b32 v42, 0 :: v_dual_mov_b32 v43, 0
	s_and_saveexec_b32 s3, s2
	s_cbranch_execz .LBB103_12
; %bb.11:                               ;   in Loop: Header=BB103_4 Depth=1
	v_add_nc_u64_e32 v[44:45], s[12:13], v[34:35]
	global_load_u16 v43, v[44:45], off
.LBB103_12:                             ;   in Loop: Header=BB103_4 Depth=1
	s_wait_xcnt 0x0
	s_or_b32 exec_lo, exec_lo, s3
	v_add_nc_u64_e32 v[44:45], s[20:21], v[16:17]
	s_delay_alu instid0(VALU_DEP_1)
	v_cmp_lt_u64_e64 s3, v[44:45], v[4:5]
	v_mov_b32_e32 v44, 0
	s_and_saveexec_b32 s4, s3
	s_cbranch_execz .LBB103_14
; %bb.13:                               ;   in Loop: Header=BB103_4 Depth=1
	v_add_nc_u64_e32 v[46:47], s[12:13], v[18:19]
	v_add_nc_u64_e32 v[48:49], s[12:13], v[20:21]
	global_load_u16 v44, v[46:47], off
	global_load_u16 v42, v[48:49], off
.LBB103_14:                             ;   in Loop: Header=BB103_4 Depth=1
	s_wait_xcnt 0x0
	s_or_b32 exec_lo, exec_lo, s4
	v_dual_mov_b32 v45, 0 :: v_dual_mov_b32 v46, 0
	s_and_saveexec_b32 s4, s3
	s_cbranch_execz .LBB103_16
; %bb.15:                               ;   in Loop: Header=BB103_4 Depth=1
	v_add_nc_u64_e32 v[46:47], s[12:13], v[22:23]
	global_load_u16 v46, v[46:47], off
.LBB103_16:                             ;   in Loop: Header=BB103_4 Depth=1
	s_wait_xcnt 0x0
	s_or_b32 exec_lo, exec_lo, s4
	v_add_nc_u64_e32 v[48:49], s[20:21], v[14:15]
	v_mov_b32_e32 v47, 0
	s_delay_alu instid0(VALU_DEP_2)
	v_cmp_lt_u64_e64 s4, v[48:49], v[4:5]
	s_and_saveexec_b32 s5, s4
	s_cbranch_execnz .LBB103_22
; %bb.17:                               ;   in Loop: Header=BB103_4 Depth=1
	s_or_b32 exec_lo, exec_lo, s5
	v_mov_b32_e32 v48, 0
	s_and_saveexec_b32 s5, s4
	s_cbranch_execnz .LBB103_23
.LBB103_18:                             ;   in Loop: Header=BB103_4 Depth=1
	s_or_b32 exec_lo, exec_lo, s5
	s_and_saveexec_b32 s5, vcc_lo
	s_cbranch_execnz .LBB103_24
.LBB103_19:                             ;   in Loop: Header=BB103_4 Depth=1
	s_or_b32 exec_lo, exec_lo, s5
	s_and_saveexec_b32 s5, s2
	s_cbranch_execnz .LBB103_25
.LBB103_20:                             ;   in Loop: Header=BB103_4 Depth=1
	s_or_b32 exec_lo, exec_lo, s5
	s_and_saveexec_b32 s2, s3
	s_cbranch_execnz .LBB103_26
.LBB103_21:                             ;   in Loop: Header=BB103_4 Depth=1
	s_or_b32 exec_lo, exec_lo, s2
	s_and_saveexec_b32 s2, s4
	s_cbranch_execz .LBB103_3
	s_branch .LBB103_27
.LBB103_22:                             ;   in Loop: Header=BB103_4 Depth=1
	v_add_nc_u64_e32 v[48:49], s[12:13], v[24:25]
	v_add_nc_u64_e32 v[50:51], s[12:13], v[26:27]
	global_load_u16 v47, v[48:49], off
	global_load_u16 v45, v[50:51], off
	s_wait_xcnt 0x0
	s_or_b32 exec_lo, exec_lo, s5
	v_mov_b32_e32 v48, 0
	s_and_saveexec_b32 s5, s4
	s_cbranch_execz .LBB103_18
.LBB103_23:                             ;   in Loop: Header=BB103_4 Depth=1
	v_add_nc_u64_e32 v[48:49], s[12:13], v[28:29]
	global_load_u16 v48, v[48:49], off
	s_wait_xcnt 0x0
	s_or_b32 exec_lo, exec_lo, s5
	s_and_saveexec_b32 s5, vcc_lo
	s_cbranch_execz .LBB103_19
.LBB103_24:                             ;   in Loop: Header=BB103_4 Depth=1
	s_wait_loadcnt 0x0
	v_mul_lo_u16 v38, v38, v36
	v_add_nc_u64_e32 v[50:51], s[12:13], v[6:7]
	s_delay_alu instid0(VALU_DEP_2)
	v_mad_u16 v37, v38, v40, v37
	global_store_b16 v[50:51], v37, off
	s_wait_xcnt 0x0
	s_or_b32 exec_lo, exec_lo, s5
	s_and_saveexec_b32 s5, s2
	s_cbranch_execz .LBB103_20
.LBB103_25:                             ;   in Loop: Header=BB103_4 Depth=1
	s_wait_loadcnt 0x0
	v_mul_lo_u16 v37, v39, v36
	v_add_nc_u64_e32 v[38:39], s[12:13], v[30:31]
	s_delay_alu instid0(VALU_DEP_2)
	v_mad_u16 v37, v37, v43, v41
	global_store_b16 v[38:39], v37, off
	s_wait_xcnt 0x0
	s_or_b32 exec_lo, exec_lo, s5
	s_and_saveexec_b32 s2, s3
	s_cbranch_execz .LBB103_21
.LBB103_26:                             ;   in Loop: Header=BB103_4 Depth=1
	s_wait_loadcnt 0x0
	v_mul_lo_u16 v37, v42, v36
	v_add_nc_u64_e32 v[38:39], s[12:13], v[18:19]
	s_delay_alu instid0(VALU_DEP_2)
	v_mad_u16 v37, v37, v46, v44
	global_store_b16 v[38:39], v37, off
	s_wait_xcnt 0x0
	s_or_b32 exec_lo, exec_lo, s2
	s_and_saveexec_b32 s2, s4
	s_cbranch_execz .LBB103_3
.LBB103_27:                             ;   in Loop: Header=BB103_4 Depth=1
	s_wait_loadcnt 0x0
	v_mul_lo_u16 v37, v45, v36
	v_add_nc_u64_e32 v[38:39], s[12:13], v[24:25]
	s_delay_alu instid0(VALU_DEP_2)
	v_mad_u16 v37, v37, v48, v47
	global_store_b16 v[38:39], v37, off
	s_branch .LBB103_3
.LBB103_28:
	s_mov_b32 s2, 0
.LBB103_29:
	s_delay_alu instid0(SALU_CYCLE_1)
	s_and_not1_b32 vcc_lo, exec_lo, s2
	s_cbranch_vccnz .LBB103_33
; %bb.30:
	v_min_i64 v[2:3], 0x10000, s[14:15]
	v_dual_mov_b32 v5, 0 :: v_dual_lshlrev_b32 v4, 2, v0
	s_mov_b32 s2, exec_lo
	s_delay_alu instid0(VALU_DEP_1)
	v_cmpx_lt_i64_e64 v[4:5], v[2:3]
	s_cbranch_execz .LBB103_33
; %bb.31:
	s_load_b32 s0, s[0:1], 0xcb4
	v_dual_mov_b32 v1, v5 :: v_dual_lshlrev_b32 v4, 3, v0
	s_wait_xcnt 0x0
	s_mov_b32 s1, 0
	s_delay_alu instid0(SALU_CYCLE_1) | instskip(NEXT) | instid1(VALU_DEP_1)
	s_mov_b32 s3, s1
	v_add_nc_u64_e32 v[4:5], s[12:13], v[4:5]
	s_mov_b32 s4, s1
	s_wait_kmcnt 0x0
	s_and_b32 s0, s0, 0xffff
	s_delay_alu instid0(SALU_CYCLE_1)
	s_lshl_b32 s2, s0, 3
.LBB103_32:                             ; =>This Inner Loop Header: Depth=1
	s_delay_alu instid0(VALU_DEP_1)
	v_add_nc_u64_e32 v[6:7], s[6:7], v[4:5]
	v_add_nc_u64_e32 v[8:9], s[10:11], v[4:5]
	;; [unrolled: 1-line block ×5, first 2 shown]
	global_load_b64 v[12:13], v[6:7], off
	global_load_b64 v[14:15], v[8:9], off
	;; [unrolled: 1-line block ×3, first 2 shown]
	s_wait_loadcnt 0x1
	s_wait_xcnt 0x0
	v_dual_lshrrev_b32 v7, 16, v12 :: v_dual_lshrrev_b32 v10, 16, v14
	v_mul_lo_u16 v6, v36, v12
	s_wait_loadcnt 0x0
	v_lshrrev_b32_e32 v11, 16, v16
	v_mul_lo_u16 v12, v36, v13
	v_lshrrev_b32_e32 v13, 16, v13
	v_mul_lo_u16 v7, v36, v7
	v_dual_lshrrev_b32 v18, 16, v15 :: v_dual_lshrrev_b32 v19, 16, v17
	v_mad_u16 v14, v6, v16, v14
	s_delay_alu instid0(VALU_DEP_4) | instskip(NEXT) | instid1(VALU_DEP_4)
	v_mul_lo_u16 v13, v36, v13
	v_mad_u16 v10, v7, v11, v10
	v_lshlrev_b64_e32 v[6:7], 2, v[0:1]
	v_mad_u16 v11, v12, v17, v15
	v_and_b32_e32 v12, 0xffff, v14
	v_mad_u16 v13, v13, v19, v18
	v_lshlrev_b32_e32 v10, 16, v10
	s_delay_alu instid0(VALU_DEP_4) | instskip(SKIP_1) | instid1(VALU_DEP_3)
	v_and_b32_e32 v11, 0xffff, v11
	v_cmp_ge_i64_e32 vcc_lo, v[6:7], v[2:3]
	v_dual_lshlrev_b32 v13, 16, v13 :: v_dual_bitop2_b32 v10, v10, v12 bitop3:0x54
	s_delay_alu instid0(VALU_DEP_1) | instskip(NEXT) | instid1(VALU_DEP_2)
	v_or3_b32 v7, 0, v11, v13
	v_or3_b32 v6, v10, 0, 0
	s_or_b32 s4, vcc_lo, s4
	global_store_b64 v[8:9], v[6:7], off
	s_wait_xcnt 0x0
	s_and_not1_b32 exec_lo, exec_lo, s4
	s_cbranch_execnz .LBB103_32
.LBB103_33:
	s_endpgm
	.section	.rodata,"a",@progbits
	.p2align	6, 0x0
	.amdhsa_kernel _ZN2at6native12_GLOBAL__N_125multi_tensor_apply_kernelINS1_28TensorListScalarListMetadataIsLi3EEENS1_28PointwiseOpScalarListFunctorIsLi3ELi3ELi0EEEJSt10multipliesIsEEEEvT_T0_DpT1_
		.amdhsa_group_segment_fixed_size 0
		.amdhsa_private_segment_fixed_size 0
		.amdhsa_kernarg_size 3496
		.amdhsa_user_sgpr_count 2
		.amdhsa_user_sgpr_dispatch_ptr 0
		.amdhsa_user_sgpr_queue_ptr 0
		.amdhsa_user_sgpr_kernarg_segment_ptr 1
		.amdhsa_user_sgpr_dispatch_id 0
		.amdhsa_user_sgpr_kernarg_preload_length 0
		.amdhsa_user_sgpr_kernarg_preload_offset 0
		.amdhsa_user_sgpr_private_segment_size 0
		.amdhsa_wavefront_size32 1
		.amdhsa_uses_dynamic_stack 0
		.amdhsa_enable_private_segment 0
		.amdhsa_system_sgpr_workgroup_id_x 1
		.amdhsa_system_sgpr_workgroup_id_y 0
		.amdhsa_system_sgpr_workgroup_id_z 0
		.amdhsa_system_sgpr_workgroup_info 0
		.amdhsa_system_vgpr_workitem_id 0
		.amdhsa_next_free_vgpr 52
		.amdhsa_next_free_sgpr 22
		.amdhsa_named_barrier_count 0
		.amdhsa_reserve_vcc 1
		.amdhsa_float_round_mode_32 0
		.amdhsa_float_round_mode_16_64 0
		.amdhsa_float_denorm_mode_32 3
		.amdhsa_float_denorm_mode_16_64 3
		.amdhsa_fp16_overflow 0
		.amdhsa_memory_ordered 1
		.amdhsa_forward_progress 1
		.amdhsa_inst_pref_size 13
		.amdhsa_round_robin_scheduling 0
		.amdhsa_exception_fp_ieee_invalid_op 0
		.amdhsa_exception_fp_denorm_src 0
		.amdhsa_exception_fp_ieee_div_zero 0
		.amdhsa_exception_fp_ieee_overflow 0
		.amdhsa_exception_fp_ieee_underflow 0
		.amdhsa_exception_fp_ieee_inexact 0
		.amdhsa_exception_int_div_zero 0
	.end_amdhsa_kernel
	.section	.text._ZN2at6native12_GLOBAL__N_125multi_tensor_apply_kernelINS1_28TensorListScalarListMetadataIsLi3EEENS1_28PointwiseOpScalarListFunctorIsLi3ELi3ELi0EEEJSt10multipliesIsEEEEvT_T0_DpT1_,"axG",@progbits,_ZN2at6native12_GLOBAL__N_125multi_tensor_apply_kernelINS1_28TensorListScalarListMetadataIsLi3EEENS1_28PointwiseOpScalarListFunctorIsLi3ELi3ELi0EEEJSt10multipliesIsEEEEvT_T0_DpT1_,comdat
.Lfunc_end103:
	.size	_ZN2at6native12_GLOBAL__N_125multi_tensor_apply_kernelINS1_28TensorListScalarListMetadataIsLi3EEENS1_28PointwiseOpScalarListFunctorIsLi3ELi3ELi0EEEJSt10multipliesIsEEEEvT_T0_DpT1_, .Lfunc_end103-_ZN2at6native12_GLOBAL__N_125multi_tensor_apply_kernelINS1_28TensorListScalarListMetadataIsLi3EEENS1_28PointwiseOpScalarListFunctorIsLi3ELi3ELi0EEEJSt10multipliesIsEEEEvT_T0_DpT1_
                                        ; -- End function
	.set _ZN2at6native12_GLOBAL__N_125multi_tensor_apply_kernelINS1_28TensorListScalarListMetadataIsLi3EEENS1_28PointwiseOpScalarListFunctorIsLi3ELi3ELi0EEEJSt10multipliesIsEEEEvT_T0_DpT1_.num_vgpr, 52
	.set _ZN2at6native12_GLOBAL__N_125multi_tensor_apply_kernelINS1_28TensorListScalarListMetadataIsLi3EEENS1_28PointwiseOpScalarListFunctorIsLi3ELi3ELi0EEEJSt10multipliesIsEEEEvT_T0_DpT1_.num_agpr, 0
	.set _ZN2at6native12_GLOBAL__N_125multi_tensor_apply_kernelINS1_28TensorListScalarListMetadataIsLi3EEENS1_28PointwiseOpScalarListFunctorIsLi3ELi3ELi0EEEJSt10multipliesIsEEEEvT_T0_DpT1_.numbered_sgpr, 22
	.set _ZN2at6native12_GLOBAL__N_125multi_tensor_apply_kernelINS1_28TensorListScalarListMetadataIsLi3EEENS1_28PointwiseOpScalarListFunctorIsLi3ELi3ELi0EEEJSt10multipliesIsEEEEvT_T0_DpT1_.num_named_barrier, 0
	.set _ZN2at6native12_GLOBAL__N_125multi_tensor_apply_kernelINS1_28TensorListScalarListMetadataIsLi3EEENS1_28PointwiseOpScalarListFunctorIsLi3ELi3ELi0EEEJSt10multipliesIsEEEEvT_T0_DpT1_.private_seg_size, 0
	.set _ZN2at6native12_GLOBAL__N_125multi_tensor_apply_kernelINS1_28TensorListScalarListMetadataIsLi3EEENS1_28PointwiseOpScalarListFunctorIsLi3ELi3ELi0EEEJSt10multipliesIsEEEEvT_T0_DpT1_.uses_vcc, 1
	.set _ZN2at6native12_GLOBAL__N_125multi_tensor_apply_kernelINS1_28TensorListScalarListMetadataIsLi3EEENS1_28PointwiseOpScalarListFunctorIsLi3ELi3ELi0EEEJSt10multipliesIsEEEEvT_T0_DpT1_.uses_flat_scratch, 0
	.set _ZN2at6native12_GLOBAL__N_125multi_tensor_apply_kernelINS1_28TensorListScalarListMetadataIsLi3EEENS1_28PointwiseOpScalarListFunctorIsLi3ELi3ELi0EEEJSt10multipliesIsEEEEvT_T0_DpT1_.has_dyn_sized_stack, 0
	.set _ZN2at6native12_GLOBAL__N_125multi_tensor_apply_kernelINS1_28TensorListScalarListMetadataIsLi3EEENS1_28PointwiseOpScalarListFunctorIsLi3ELi3ELi0EEEJSt10multipliesIsEEEEvT_T0_DpT1_.has_recursion, 0
	.set _ZN2at6native12_GLOBAL__N_125multi_tensor_apply_kernelINS1_28TensorListScalarListMetadataIsLi3EEENS1_28PointwiseOpScalarListFunctorIsLi3ELi3ELi0EEEJSt10multipliesIsEEEEvT_T0_DpT1_.has_indirect_call, 0
	.section	.AMDGPU.csdata,"",@progbits
; Kernel info:
; codeLenInByte = 1652
; TotalNumSgprs: 24
; NumVgprs: 52
; ScratchSize: 0
; MemoryBound: 0
; FloatMode: 240
; IeeeMode: 1
; LDSByteSize: 0 bytes/workgroup (compile time only)
; SGPRBlocks: 0
; VGPRBlocks: 3
; NumSGPRsForWavesPerEU: 24
; NumVGPRsForWavesPerEU: 52
; NamedBarCnt: 0
; Occupancy: 16
; WaveLimiterHint : 0
; COMPUTE_PGM_RSRC2:SCRATCH_EN: 0
; COMPUTE_PGM_RSRC2:USER_SGPR: 2
; COMPUTE_PGM_RSRC2:TRAP_HANDLER: 0
; COMPUTE_PGM_RSRC2:TGID_X_EN: 1
; COMPUTE_PGM_RSRC2:TGID_Y_EN: 0
; COMPUTE_PGM_RSRC2:TGID_Z_EN: 0
; COMPUTE_PGM_RSRC2:TIDIG_COMP_CNT: 0
	.section	.text._ZN2at6native12_GLOBAL__N_125multi_tensor_apply_kernelINS1_28TensorListScalarListMetadataIdLi3EEENS1_28PointwiseOpScalarListFunctorIdLi3ELi3ELi0EEEJSt10multipliesIdEEEEvT_T0_DpT1_,"axG",@progbits,_ZN2at6native12_GLOBAL__N_125multi_tensor_apply_kernelINS1_28TensorListScalarListMetadataIdLi3EEENS1_28PointwiseOpScalarListFunctorIdLi3ELi3ELi0EEEJSt10multipliesIdEEEEvT_T0_DpT1_,comdat
	.globl	_ZN2at6native12_GLOBAL__N_125multi_tensor_apply_kernelINS1_28TensorListScalarListMetadataIdLi3EEENS1_28PointwiseOpScalarListFunctorIdLi3ELi3ELi0EEEJSt10multipliesIdEEEEvT_T0_DpT1_ ; -- Begin function _ZN2at6native12_GLOBAL__N_125multi_tensor_apply_kernelINS1_28TensorListScalarListMetadataIdLi3EEENS1_28PointwiseOpScalarListFunctorIdLi3ELi3ELi0EEEJSt10multipliesIdEEEEvT_T0_DpT1_
	.p2align	8
	.type	_ZN2at6native12_GLOBAL__N_125multi_tensor_apply_kernelINS1_28TensorListScalarListMetadataIdLi3EEENS1_28PointwiseOpScalarListFunctorIdLi3ELi3ELi0EEEJSt10multipliesIdEEEEvT_T0_DpT1_,@function
_ZN2at6native12_GLOBAL__N_125multi_tensor_apply_kernelINS1_28TensorListScalarListMetadataIdLi3EEENS1_28PointwiseOpScalarListFunctorIdLi3ELi3ELi0EEEJSt10multipliesIdEEEEvT_T0_DpT1_: ; @_ZN2at6native12_GLOBAL__N_125multi_tensor_apply_kernelINS1_28TensorListScalarListMetadataIdLi3EEENS1_28PointwiseOpScalarListFunctorIdLi3ELi3ELi0EEEJSt10multipliesIdEEEEvT_T0_DpT1_
; %bb.0:
	s_bfe_u32 s2, ttmp6, 0x4000c
	s_and_b32 s3, ttmp6, 15
	s_add_co_i32 s2, s2, 1
	s_getreg_b32 s4, hwreg(HW_REG_IB_STS2, 6, 4)
	s_mul_i32 s2, ttmp9, s2
	s_mov_b32 s17, 0
	s_add_co_i32 s3, s3, s2
	s_cmp_eq_u32 s4, 0
	s_cselect_b32 s16, ttmp9, s3
	s_load_u8 s10, s[0:1], s16 offset:0x780
	s_add_nc_u64 s[2:3], s[0:1], s[16:17]
	s_mul_u64 s[4:5], s[16:17], 3
	s_delay_alu instid0(SALU_CYCLE_1)
	s_add_nc_u64 s[8:9], s[2:3], s[4:5]
	s_load_b32 s20, s[8:9], 0x8c0
	s_wait_kmcnt 0x0
	s_clause 0x4
	s_load_b64 s[2:3], s[0:1], s10 offset:0x180 scale_offset
	s_load_b64 s[4:5], s[0:1], s10 offset:0x300 scale_offset
	;; [unrolled: 1-line block ×5, first 2 shown]
	s_ashr_i32 s21, s20, 31
	s_delay_alu instid0(SALU_CYCLE_1)
	s_lshl_b64 s[14:15], s[20:21], 19
	s_wait_kmcnt 0x0
	s_add_nc_u64 s[8:9], s[2:3], s[14:15]
	s_add_nc_u64 s[10:11], s[4:5], s[14:15]
	s_add_nc_u64 s[12:13], s[18:19], s[14:15]
	s_or_b32 s16, s10, s8
	s_and_b64 s[24:25], s[12:13], 31
	s_and_b32 s16, s16, 31
	s_delay_alu instid0(SALU_CYCLE_1) | instskip(SKIP_4) | instid1(SALU_CYCLE_1)
	s_cmp_eq_u32 s16, 0
	s_cselect_b32 s26, -1, 0
	s_and_b32 s16, s22, 3
	s_lshl_b64 s[20:21], s[20:21], 16
	s_or_b64 s[16:17], s[24:25], s[16:17]
	s_cmp_eq_u64 s[16:17], 0
	s_cselect_b32 s16, -1, 0
	s_delay_alu instid0(SALU_CYCLE_1)
	s_and_b32 s24, s26, s16
	s_sub_nc_u64 s[16:17], s[22:23], s[20:21]
	s_and_b32 vcc_lo, exec_lo, s24
	s_mov_b32 s20, -1
	s_cbranch_vccnz .LBB104_45
; %bb.1:
	v_cmp_lt_i64_e64 s20, s[16:17], 1
	s_and_b32 vcc_lo, exec_lo, s20
	s_cbranch_vccnz .LBB104_44
; %bb.2:
	s_load_b32 s20, s[0:1], 0xdd4
	v_min_i64 v[2:3], 0x10000, s[16:17]
	v_min_u64 v[4:5], 0x10000, s[16:17]
	v_cmp_neq_f64_e64 s24, s[6:7], 1.0
	v_dual_mov_b32 v1, 0 :: v_dual_lshlrev_b32 v12, 3, v0
	s_mov_b32 s21, 0
	s_delay_alu instid0(SALU_CYCLE_1) | instskip(NEXT) | instid1(VALU_DEP_1)
	s_mov_b32 s29, s21
	v_dual_mov_b32 v13, v1 :: v_dual_mov_b32 v35, v1
	s_mov_b32 s23, s21
	s_mov_b32 s27, s21
	s_delay_alu instid0(VALU_DEP_1) | instskip(SKIP_3) | instid1(SALU_CYCLE_1)
	v_add_nc_u64_e32 v[6:7], s[18:19], v[12:13]
	v_add_nc_u64_e32 v[8:9], s[2:3], v[12:13]
	s_wait_kmcnt 0x0
	s_and_b32 s20, s20, 0xffff
	v_add_nc_u64_e32 v[10:11], s[20:21], v[0:1]
	v_mad_nc_u64_u32 v[28:29], s20, 24, v[12:13]
	s_lshl_b32 s28, s20, 4
	s_mul_i32 s26, s20, 3
	v_add_nc_u64_e32 v[22:23], s[28:29], v[12:13]
	s_lshl_b32 s22, s20, 1
	v_add_nc_u64_e32 v[12:13], s[4:5], v[12:13]
	v_lshlrev_b32_e32 v34, 3, v10
	v_add_nc_u64_e32 v[14:15], s[26:27], v[0:1]
	v_add_nc_u64_e32 v[16:17], s[22:23], v[0:1]
	s_mov_b64 s[22:23], 0
	v_add_nc_u64_e32 v[18:19], s[18:19], v[22:23]
	v_add_nc_u64_e32 v[20:21], s[2:3], v[22:23]
	;; [unrolled: 1-line block ×9, first 2 shown]
	s_lshl_b32 s18, s20, 2
	s_mov_b32 s19, s21
	s_lshl_b32 s20, s20, 5
	s_branch .LBB104_4
.LBB104_3:                              ;   in Loop: Header=BB104_4 Depth=1
	s_wait_xcnt 0x0
	s_or_b32 exec_lo, exec_lo, s2
	s_add_nc_u64 s[22:23], s[22:23], s[18:19]
	v_add_nc_u64_e32 v[6:7], s[20:21], v[6:7]
	v_cmp_ge_i64_e32 vcc_lo, s[22:23], v[2:3]
	v_add_nc_u64_e32 v[8:9], s[20:21], v[8:9]
	v_add_nc_u64_e32 v[12:13], s[20:21], v[12:13]
	;; [unrolled: 1-line block ×11, first 2 shown]
	s_cbranch_vccnz .LBB104_44
.LBB104_4:                              ; =>This Inner Loop Header: Depth=1
	s_wait_loadcnt 0x1
	v_add_nc_u64_e32 v[40:41], s[22:23], v[0:1]
	s_wait_loadcnt 0x0
	v_mov_b64_e32 v[36:37], 0
	v_mov_b64_e32 v[38:39], 0
	s_delay_alu instid0(VALU_DEP_3)
	v_cmp_lt_u64_e64 s2, v[40:41], v[4:5]
	v_mov_b64_e32 v[40:41], 0
	s_and_saveexec_b32 s3, s2
	s_cbranch_execz .LBB104_6
; %bb.5:                                ;   in Loop: Header=BB104_4 Depth=1
	v_add_nc_u64_e32 v[42:43], s[14:15], v[6:7]
	v_add_nc_u64_e32 v[44:45], s[14:15], v[8:9]
	global_load_b64 v[40:41], v[42:43], off
	global_load_b64 v[38:39], v[44:45], off
.LBB104_6:                              ;   in Loop: Header=BB104_4 Depth=1
	s_wait_xcnt 0x0
	s_or_b32 exec_lo, exec_lo, s3
	s_and_saveexec_b32 s3, s2
	s_cbranch_execz .LBB104_8
; %bb.7:                                ;   in Loop: Header=BB104_4 Depth=1
	v_add_nc_u64_e32 v[36:37], s[14:15], v[12:13]
	global_load_b64 v[36:37], v[36:37], off
.LBB104_8:                              ;   in Loop: Header=BB104_4 Depth=1
	s_wait_xcnt 0x0
	s_or_b32 exec_lo, exec_lo, s3
	v_add_nc_u64_e32 v[46:47], s[22:23], v[10:11]
	v_mov_b64_e32 v[42:43], 0
	v_mov_b64_e32 v[44:45], 0
	s_delay_alu instid0(VALU_DEP_3)
	v_cmp_lt_u64_e64 s3, v[46:47], v[4:5]
	v_mov_b64_e32 v[46:47], 0
	s_and_saveexec_b32 s4, s3
	s_cbranch_execz .LBB104_10
; %bb.9:                                ;   in Loop: Header=BB104_4 Depth=1
	v_add_nc_u64_e32 v[48:49], s[14:15], v[30:31]
	v_add_nc_u64_e32 v[50:51], s[14:15], v[32:33]
	global_load_b64 v[46:47], v[48:49], off
	global_load_b64 v[44:45], v[50:51], off
.LBB104_10:                             ;   in Loop: Header=BB104_4 Depth=1
	s_wait_xcnt 0x0
	s_or_b32 exec_lo, exec_lo, s4
	s_and_saveexec_b32 s4, s3
	s_cbranch_execz .LBB104_12
; %bb.11:                               ;   in Loop: Header=BB104_4 Depth=1
	v_add_nc_u64_e32 v[42:43], s[14:15], v[34:35]
	global_load_b64 v[42:43], v[42:43], off
.LBB104_12:                             ;   in Loop: Header=BB104_4 Depth=1
	s_wait_xcnt 0x0
	s_or_b32 exec_lo, exec_lo, s4
	v_add_nc_u64_e32 v[52:53], s[22:23], v[16:17]
	v_mov_b64_e32 v[48:49], 0
	v_mov_b64_e32 v[50:51], 0
	s_delay_alu instid0(VALU_DEP_3)
	v_cmp_lt_u64_e64 s4, v[52:53], v[4:5]
	v_mov_b64_e32 v[52:53], 0
	s_and_saveexec_b32 s5, s4
	s_cbranch_execz .LBB104_14
; %bb.13:                               ;   in Loop: Header=BB104_4 Depth=1
	v_add_nc_u64_e32 v[54:55], s[14:15], v[18:19]
	v_add_nc_u64_e32 v[56:57], s[14:15], v[20:21]
	global_load_b64 v[52:53], v[54:55], off
	global_load_b64 v[50:51], v[56:57], off
.LBB104_14:                             ;   in Loop: Header=BB104_4 Depth=1
	s_wait_xcnt 0x0
	s_or_b32 exec_lo, exec_lo, s5
	s_and_saveexec_b32 s5, s4
	s_cbranch_execz .LBB104_16
; %bb.15:                               ;   in Loop: Header=BB104_4 Depth=1
	v_add_nc_u64_e32 v[48:49], s[14:15], v[22:23]
	global_load_b64 v[48:49], v[48:49], off
.LBB104_16:                             ;   in Loop: Header=BB104_4 Depth=1
	s_wait_xcnt 0x0
	s_or_b32 exec_lo, exec_lo, s5
	v_add_nc_u64_e32 v[58:59], s[22:23], v[14:15]
	v_mov_b64_e32 v[54:55], 0
	v_mov_b64_e32 v[56:57], 0
	s_delay_alu instid0(VALU_DEP_3)
	v_cmp_lt_u64_e64 s5, v[58:59], v[4:5]
	v_mov_b64_e32 v[58:59], 0
	s_and_saveexec_b32 s25, s5
	s_cbranch_execnz .LBB104_34
; %bb.17:                               ;   in Loop: Header=BB104_4 Depth=1
	s_or_b32 exec_lo, exec_lo, s25
	s_and_saveexec_b32 s25, s5
	s_cbranch_execnz .LBB104_35
.LBB104_18:                             ;   in Loop: Header=BB104_4 Depth=1
	s_or_b32 exec_lo, exec_lo, s25
	s_delay_alu instid0(SALU_CYCLE_1)
	s_and_b32 vcc_lo, exec_lo, s24
	s_cbranch_vccz .LBB104_36
.LBB104_19:                             ;   in Loop: Header=BB104_4 Depth=1
	s_wait_loadcnt 0x0
	v_mul_f64_e32 v[60:61], v[38:39], v[36:37]
	s_delay_alu instid0(VALU_DEP_1)
	v_fma_f64 v[60:61], s[6:7], v[60:61], v[40:41]
	s_cbranch_execnz .LBB104_21
.LBB104_20:                             ;   in Loop: Header=BB104_4 Depth=1
	s_wait_loadcnt 0x0
	v_fmac_f64_e32 v[40:41], v[38:39], v[36:37]
	s_delay_alu instid0(VALU_DEP_1)
	v_mov_b64_e32 v[60:61], v[40:41]
.LBB104_21:                             ;   in Loop: Header=BB104_4 Depth=1
	s_and_not1_b32 vcc_lo, exec_lo, s24
	s_cbranch_vccnz .LBB104_41
; %bb.22:                               ;   in Loop: Header=BB104_4 Depth=1
	s_wait_loadcnt 0x0
	v_mul_f64_e32 v[36:37], v[44:45], v[42:43]
	s_delay_alu instid0(VALU_DEP_1)
	v_fma_f64 v[36:37], s[6:7], v[36:37], v[46:47]
	s_cbranch_execnz .LBB104_24
.LBB104_23:                             ;   in Loop: Header=BB104_4 Depth=1
	s_wait_loadcnt 0x0
	v_fmac_f64_e32 v[46:47], v[44:45], v[42:43]
	s_delay_alu instid0(VALU_DEP_1)
	v_mov_b64_e32 v[36:37], v[46:47]
.LBB104_24:                             ;   in Loop: Header=BB104_4 Depth=1
	s_and_not1_b32 vcc_lo, exec_lo, s24
	s_cbranch_vccnz .LBB104_42
; %bb.25:                               ;   in Loop: Header=BB104_4 Depth=1
	s_wait_loadcnt 0x0
	v_mul_f64_e32 v[38:39], v[50:51], v[48:49]
	s_delay_alu instid0(VALU_DEP_1)
	v_fma_f64 v[38:39], s[6:7], v[38:39], v[52:53]
	s_cbranch_execnz .LBB104_27
.LBB104_26:                             ;   in Loop: Header=BB104_4 Depth=1
	s_wait_loadcnt 0x0
	v_fmac_f64_e32 v[52:53], v[50:51], v[48:49]
	s_delay_alu instid0(VALU_DEP_1)
	v_mov_b64_e32 v[38:39], v[52:53]
.LBB104_27:                             ;   in Loop: Header=BB104_4 Depth=1
	s_and_not1_b32 vcc_lo, exec_lo, s24
	s_cbranch_vccnz .LBB104_43
; %bb.28:                               ;   in Loop: Header=BB104_4 Depth=1
	s_wait_loadcnt 0x0
	v_mul_f64_e32 v[40:41], v[56:57], v[54:55]
	s_delay_alu instid0(VALU_DEP_1)
	v_fma_f64 v[40:41], s[6:7], v[40:41], v[58:59]
	s_cbranch_execnz .LBB104_30
.LBB104_29:                             ;   in Loop: Header=BB104_4 Depth=1
	s_wait_loadcnt 0x0
	v_fmac_f64_e32 v[58:59], v[56:57], v[54:55]
	s_delay_alu instid0(VALU_DEP_1)
	v_mov_b64_e32 v[40:41], v[58:59]
.LBB104_30:                             ;   in Loop: Header=BB104_4 Depth=1
	s_and_saveexec_b32 s25, s2
	s_delay_alu instid0(SALU_CYCLE_1)
	s_xor_b32 s2, exec_lo, s25
	s_cbranch_execnz .LBB104_37
; %bb.31:                               ;   in Loop: Header=BB104_4 Depth=1
	s_or_b32 exec_lo, exec_lo, s2
	s_and_saveexec_b32 s2, s3
	s_cbranch_execnz .LBB104_38
.LBB104_32:                             ;   in Loop: Header=BB104_4 Depth=1
	s_or_b32 exec_lo, exec_lo, s2
	s_and_saveexec_b32 s2, s4
	s_cbranch_execnz .LBB104_39
.LBB104_33:                             ;   in Loop: Header=BB104_4 Depth=1
	s_or_b32 exec_lo, exec_lo, s2
	s_and_saveexec_b32 s2, s5
	s_cbranch_execz .LBB104_3
	s_branch .LBB104_40
.LBB104_34:                             ;   in Loop: Header=BB104_4 Depth=1
	v_add_nc_u64_e32 v[60:61], s[14:15], v[24:25]
	v_add_nc_u64_e32 v[62:63], s[14:15], v[26:27]
	global_load_b64 v[58:59], v[60:61], off
	global_load_b64 v[56:57], v[62:63], off
	s_wait_xcnt 0x0
	s_or_b32 exec_lo, exec_lo, s25
	s_and_saveexec_b32 s25, s5
	s_cbranch_execz .LBB104_18
.LBB104_35:                             ;   in Loop: Header=BB104_4 Depth=1
	v_add_nc_u64_e32 v[54:55], s[14:15], v[28:29]
	global_load_b64 v[54:55], v[54:55], off
	s_wait_xcnt 0x0
	s_or_b32 exec_lo, exec_lo, s25
	s_delay_alu instid0(SALU_CYCLE_1)
	s_and_b32 vcc_lo, exec_lo, s24
	s_cbranch_vccnz .LBB104_19
.LBB104_36:                             ;   in Loop: Header=BB104_4 Depth=1
                                        ; implicit-def: $vgpr60_vgpr61
	s_branch .LBB104_20
.LBB104_37:                             ;   in Loop: Header=BB104_4 Depth=1
	s_wait_loadcnt 0x0
	v_add_nc_u64_e32 v[42:43], s[14:15], v[6:7]
	global_store_b64 v[42:43], v[60:61], off
	s_wait_xcnt 0x0
	s_or_b32 exec_lo, exec_lo, s2
	s_and_saveexec_b32 s2, s3
	s_cbranch_execz .LBB104_32
.LBB104_38:                             ;   in Loop: Header=BB104_4 Depth=1
	s_wait_loadcnt 0x0
	v_add_nc_u64_e32 v[42:43], s[14:15], v[30:31]
	global_store_b64 v[42:43], v[36:37], off
	s_wait_xcnt 0x0
	s_or_b32 exec_lo, exec_lo, s2
	s_and_saveexec_b32 s2, s4
	s_cbranch_execz .LBB104_33
.LBB104_39:                             ;   in Loop: Header=BB104_4 Depth=1
	s_wait_loadcnt 0x0
	v_add_nc_u64_e32 v[36:37], s[14:15], v[18:19]
	global_store_b64 v[36:37], v[38:39], off
	s_wait_xcnt 0x0
	s_or_b32 exec_lo, exec_lo, s2
	s_and_saveexec_b32 s2, s5
	s_cbranch_execz .LBB104_3
.LBB104_40:                             ;   in Loop: Header=BB104_4 Depth=1
	s_wait_loadcnt 0x0
	v_add_nc_u64_e32 v[36:37], s[14:15], v[24:25]
	global_store_b64 v[36:37], v[40:41], off
	s_branch .LBB104_3
.LBB104_41:                             ;   in Loop: Header=BB104_4 Depth=1
                                        ; implicit-def: $vgpr36_vgpr37
	s_branch .LBB104_23
.LBB104_42:                             ;   in Loop: Header=BB104_4 Depth=1
                                        ; implicit-def: $vgpr38_vgpr39
	s_branch .LBB104_26
.LBB104_43:                             ;   in Loop: Header=BB104_4 Depth=1
                                        ; implicit-def: $vgpr40_vgpr41
	s_branch .LBB104_29
.LBB104_44:
	s_mov_b32 s20, 0
.LBB104_45:
	s_delay_alu instid0(SALU_CYCLE_1)
	s_and_not1_b32 vcc_lo, exec_lo, s20
	s_cbranch_vccnz .LBB104_65
; %bb.46:
	v_min_i64 v[30:31], 0x10000, s[16:17]
	v_dual_mov_b32 v33, 0 :: v_dual_lshlrev_b32 v32, 2, v0
	s_mov_b32 s2, exec_lo
	s_delay_alu instid0(VALU_DEP_1)
	v_cmpx_lt_i64_e64 v[32:33], v[30:31]
	s_cbranch_execz .LBB104_65
; %bb.47:
	v_cmp_neq_f64_e64 s4, s[6:7], 1.0
	s_load_b32 s0, s[0:1], 0xdd4
	v_dual_mov_b32 v1, v33 :: v_dual_lshlrev_b32 v32, 5, v0
	s_wait_xcnt 0x0
	s_mov_b32 s1, 0
	s_delay_alu instid0(SALU_CYCLE_1) | instskip(SKIP_3) | instid1(SALU_CYCLE_1)
	s_mov_b32 s3, s1
	s_mov_b32 s5, s1
	s_wait_kmcnt 0x0
	s_and_b32 s0, s0, 0xffff
	s_lshl_b32 s2, s0, 5
	s_branch .LBB104_49
.LBB104_48:                             ;   in Loop: Header=BB104_49 Depth=1
	v_add_nc_u64_e32 v[0:1], s[0:1], v[0:1]
	s_add_nc_u64 s[10:11], s[10:11], s[2:3]
	s_add_nc_u64 s[12:13], s[12:13], s[2:3]
	;; [unrolled: 1-line block ×3, first 2 shown]
	global_store_b128 v[34:35], v[2:5], off
	s_wait_loadcnt 0x4
	global_store_b128 v[34:35], v[18:21], off offset:16
	v_lshlrev_b64_e32 v[6:7], 2, v[0:1]
	s_delay_alu instid0(VALU_DEP_1)
	v_cmp_ge_i64_e32 vcc_lo, v[6:7], v[30:31]
	s_or_b32 s5, vcc_lo, s5
	s_wait_xcnt 0x0
	s_and_not1_b32 exec_lo, exec_lo, s5
	s_cbranch_execz .LBB104_65
.LBB104_49:                             ; =>This Inner Loop Header: Depth=1
	v_add_nc_u64_e32 v[34:35], s[12:13], v[32:33]
	v_add_nc_u64_e32 v[2:3], s[8:9], v[32:33]
	;; [unrolled: 1-line block ×3, first 2 shown]
	s_and_b32 vcc_lo, exec_lo, s4
	s_clause 0x1
	global_load_b128 v[6:9], v[34:35], off offset:16
	global_load_b128 v[18:21], v[34:35], off
	s_wait_loadcnt 0x5
	global_load_b128 v[10:13], v[2:3], off offset:16
	s_wait_loadcnt 0x5
	global_load_b128 v[22:25], v[2:3], off
	s_wait_loadcnt 0x5
	global_load_b128 v[14:17], v[4:5], off offset:16
	s_wait_loadcnt 0x5
	global_load_b128 v[26:29], v[4:5], off
	s_cbranch_vccz .LBB104_60
; %bb.50:                               ;   in Loop: Header=BB104_49 Depth=1
	s_wait_loadcnt 0x0
	s_wait_xcnt 0x2
	v_mul_f64_e32 v[2:3], v[22:23], v[26:27]
	s_delay_alu instid0(VALU_DEP_1)
	v_fma_f64 v[2:3], s[6:7], v[2:3], v[18:19]
	s_cbranch_execnz .LBB104_52
.LBB104_51:                             ;   in Loop: Header=BB104_49 Depth=1
	s_wait_loadcnt 0x0
	v_fmac_f64_e32 v[18:19], v[22:23], v[26:27]
	s_wait_xcnt 0x2
	s_delay_alu instid0(VALU_DEP_1)
	v_mov_b64_e32 v[2:3], v[18:19]
.LBB104_52:                             ;   in Loop: Header=BB104_49 Depth=1
	s_and_not1_b32 vcc_lo, exec_lo, s4
	s_cbranch_vccnz .LBB104_61
; %bb.53:                               ;   in Loop: Header=BB104_49 Depth=1
	s_wait_loadcnt 0x0
	v_mul_f64_e32 v[4:5], v[24:25], v[28:29]
	s_delay_alu instid0(VALU_DEP_1)
	v_fma_f64 v[4:5], s[6:7], v[4:5], v[20:21]
	s_cbranch_execnz .LBB104_55
.LBB104_54:                             ;   in Loop: Header=BB104_49 Depth=1
	s_wait_loadcnt 0x0
	v_fmac_f64_e32 v[20:21], v[24:25], v[28:29]
	s_wait_xcnt 0x0
	s_delay_alu instid0(VALU_DEP_1)
	v_mov_b64_e32 v[4:5], v[20:21]
.LBB104_55:                             ;   in Loop: Header=BB104_49 Depth=1
	s_and_not1_b32 vcc_lo, exec_lo, s4
	s_cbranch_vccnz .LBB104_62
; %bb.56:                               ;   in Loop: Header=BB104_49 Depth=1
	s_wait_loadcnt 0x1
	v_mul_f64_e32 v[18:19], v[10:11], v[14:15]
	s_delay_alu instid0(VALU_DEP_1)
	v_fma_f64 v[18:19], s[6:7], v[18:19], v[6:7]
	s_cbranch_execnz .LBB104_58
.LBB104_57:                             ;   in Loop: Header=BB104_49 Depth=1
	s_wait_loadcnt 0x1
	v_fmac_f64_e32 v[6:7], v[10:11], v[14:15]
	s_delay_alu instid0(VALU_DEP_1)
	v_mov_b64_e32 v[18:19], v[6:7]
.LBB104_58:                             ;   in Loop: Header=BB104_49 Depth=1
	s_and_not1_b32 vcc_lo, exec_lo, s4
	s_cbranch_vccnz .LBB104_63
; %bb.59:                               ;   in Loop: Header=BB104_49 Depth=1
	s_wait_loadcnt 0x1
	v_mul_f64_e32 v[6:7], v[12:13], v[16:17]
	s_delay_alu instid0(VALU_DEP_1)
	v_fma_f64 v[20:21], s[6:7], v[6:7], v[8:9]
	s_cbranch_execnz .LBB104_48
	s_branch .LBB104_64
.LBB104_60:                             ;   in Loop: Header=BB104_49 Depth=1
                                        ; implicit-def: $vgpr2_vgpr3
	s_branch .LBB104_51
.LBB104_61:                             ;   in Loop: Header=BB104_49 Depth=1
	s_branch .LBB104_54
.LBB104_62:                             ;   in Loop: Header=BB104_49 Depth=1
                                        ; implicit-def: $vgpr18_vgpr19
	s_branch .LBB104_57
.LBB104_63:                             ;   in Loop: Header=BB104_49 Depth=1
.LBB104_64:                             ;   in Loop: Header=BB104_49 Depth=1
	s_wait_loadcnt 0x1
	v_fmac_f64_e32 v[8:9], v[12:13], v[16:17]
	s_delay_alu instid0(VALU_DEP_1)
	v_mov_b64_e32 v[20:21], v[8:9]
	s_branch .LBB104_48
.LBB104_65:
	s_endpgm
	.section	.rodata,"a",@progbits
	.p2align	6, 0x0
	.amdhsa_kernel _ZN2at6native12_GLOBAL__N_125multi_tensor_apply_kernelINS1_28TensorListScalarListMetadataIdLi3EEENS1_28PointwiseOpScalarListFunctorIdLi3ELi3ELi0EEEJSt10multipliesIdEEEEvT_T0_DpT1_
		.amdhsa_group_segment_fixed_size 0
		.amdhsa_private_segment_fixed_size 0
		.amdhsa_kernarg_size 3784
		.amdhsa_user_sgpr_count 2
		.amdhsa_user_sgpr_dispatch_ptr 0
		.amdhsa_user_sgpr_queue_ptr 0
		.amdhsa_user_sgpr_kernarg_segment_ptr 1
		.amdhsa_user_sgpr_dispatch_id 0
		.amdhsa_user_sgpr_kernarg_preload_length 0
		.amdhsa_user_sgpr_kernarg_preload_offset 0
		.amdhsa_user_sgpr_private_segment_size 0
		.amdhsa_wavefront_size32 1
		.amdhsa_uses_dynamic_stack 0
		.amdhsa_enable_private_segment 0
		.amdhsa_system_sgpr_workgroup_id_x 1
		.amdhsa_system_sgpr_workgroup_id_y 0
		.amdhsa_system_sgpr_workgroup_id_z 0
		.amdhsa_system_sgpr_workgroup_info 0
		.amdhsa_system_vgpr_workitem_id 0
		.amdhsa_next_free_vgpr 64
		.amdhsa_next_free_sgpr 30
		.amdhsa_named_barrier_count 0
		.amdhsa_reserve_vcc 1
		.amdhsa_float_round_mode_32 0
		.amdhsa_float_round_mode_16_64 0
		.amdhsa_float_denorm_mode_32 3
		.amdhsa_float_denorm_mode_16_64 3
		.amdhsa_fp16_overflow 0
		.amdhsa_memory_ordered 1
		.amdhsa_forward_progress 1
		.amdhsa_inst_pref_size 15
		.amdhsa_round_robin_scheduling 0
		.amdhsa_exception_fp_ieee_invalid_op 0
		.amdhsa_exception_fp_denorm_src 0
		.amdhsa_exception_fp_ieee_div_zero 0
		.amdhsa_exception_fp_ieee_overflow 0
		.amdhsa_exception_fp_ieee_underflow 0
		.amdhsa_exception_fp_ieee_inexact 0
		.amdhsa_exception_int_div_zero 0
	.end_amdhsa_kernel
	.section	.text._ZN2at6native12_GLOBAL__N_125multi_tensor_apply_kernelINS1_28TensorListScalarListMetadataIdLi3EEENS1_28PointwiseOpScalarListFunctorIdLi3ELi3ELi0EEEJSt10multipliesIdEEEEvT_T0_DpT1_,"axG",@progbits,_ZN2at6native12_GLOBAL__N_125multi_tensor_apply_kernelINS1_28TensorListScalarListMetadataIdLi3EEENS1_28PointwiseOpScalarListFunctorIdLi3ELi3ELi0EEEJSt10multipliesIdEEEEvT_T0_DpT1_,comdat
.Lfunc_end104:
	.size	_ZN2at6native12_GLOBAL__N_125multi_tensor_apply_kernelINS1_28TensorListScalarListMetadataIdLi3EEENS1_28PointwiseOpScalarListFunctorIdLi3ELi3ELi0EEEJSt10multipliesIdEEEEvT_T0_DpT1_, .Lfunc_end104-_ZN2at6native12_GLOBAL__N_125multi_tensor_apply_kernelINS1_28TensorListScalarListMetadataIdLi3EEENS1_28PointwiseOpScalarListFunctorIdLi3ELi3ELi0EEEJSt10multipliesIdEEEEvT_T0_DpT1_
                                        ; -- End function
	.set _ZN2at6native12_GLOBAL__N_125multi_tensor_apply_kernelINS1_28TensorListScalarListMetadataIdLi3EEENS1_28PointwiseOpScalarListFunctorIdLi3ELi3ELi0EEEJSt10multipliesIdEEEEvT_T0_DpT1_.num_vgpr, 64
	.set _ZN2at6native12_GLOBAL__N_125multi_tensor_apply_kernelINS1_28TensorListScalarListMetadataIdLi3EEENS1_28PointwiseOpScalarListFunctorIdLi3ELi3ELi0EEEJSt10multipliesIdEEEEvT_T0_DpT1_.num_agpr, 0
	.set _ZN2at6native12_GLOBAL__N_125multi_tensor_apply_kernelINS1_28TensorListScalarListMetadataIdLi3EEENS1_28PointwiseOpScalarListFunctorIdLi3ELi3ELi0EEEJSt10multipliesIdEEEEvT_T0_DpT1_.numbered_sgpr, 30
	.set _ZN2at6native12_GLOBAL__N_125multi_tensor_apply_kernelINS1_28TensorListScalarListMetadataIdLi3EEENS1_28PointwiseOpScalarListFunctorIdLi3ELi3ELi0EEEJSt10multipliesIdEEEEvT_T0_DpT1_.num_named_barrier, 0
	.set _ZN2at6native12_GLOBAL__N_125multi_tensor_apply_kernelINS1_28TensorListScalarListMetadataIdLi3EEENS1_28PointwiseOpScalarListFunctorIdLi3ELi3ELi0EEEJSt10multipliesIdEEEEvT_T0_DpT1_.private_seg_size, 0
	.set _ZN2at6native12_GLOBAL__N_125multi_tensor_apply_kernelINS1_28TensorListScalarListMetadataIdLi3EEENS1_28PointwiseOpScalarListFunctorIdLi3ELi3ELi0EEEJSt10multipliesIdEEEEvT_T0_DpT1_.uses_vcc, 1
	.set _ZN2at6native12_GLOBAL__N_125multi_tensor_apply_kernelINS1_28TensorListScalarListMetadataIdLi3EEENS1_28PointwiseOpScalarListFunctorIdLi3ELi3ELi0EEEJSt10multipliesIdEEEEvT_T0_DpT1_.uses_flat_scratch, 0
	.set _ZN2at6native12_GLOBAL__N_125multi_tensor_apply_kernelINS1_28TensorListScalarListMetadataIdLi3EEENS1_28PointwiseOpScalarListFunctorIdLi3ELi3ELi0EEEJSt10multipliesIdEEEEvT_T0_DpT1_.has_dyn_sized_stack, 0
	.set _ZN2at6native12_GLOBAL__N_125multi_tensor_apply_kernelINS1_28TensorListScalarListMetadataIdLi3EEENS1_28PointwiseOpScalarListFunctorIdLi3ELi3ELi0EEEJSt10multipliesIdEEEEvT_T0_DpT1_.has_recursion, 0
	.set _ZN2at6native12_GLOBAL__N_125multi_tensor_apply_kernelINS1_28TensorListScalarListMetadataIdLi3EEENS1_28PointwiseOpScalarListFunctorIdLi3ELi3ELi0EEEJSt10multipliesIdEEEEvT_T0_DpT1_.has_indirect_call, 0
	.section	.AMDGPU.csdata,"",@progbits
; Kernel info:
; codeLenInByte = 1896
; TotalNumSgprs: 32
; NumVgprs: 64
; ScratchSize: 0
; MemoryBound: 1
; FloatMode: 240
; IeeeMode: 1
; LDSByteSize: 0 bytes/workgroup (compile time only)
; SGPRBlocks: 0
; VGPRBlocks: 3
; NumSGPRsForWavesPerEU: 32
; NumVGPRsForWavesPerEU: 64
; NamedBarCnt: 0
; Occupancy: 16
; WaveLimiterHint : 1
; COMPUTE_PGM_RSRC2:SCRATCH_EN: 0
; COMPUTE_PGM_RSRC2:USER_SGPR: 2
; COMPUTE_PGM_RSRC2:TRAP_HANDLER: 0
; COMPUTE_PGM_RSRC2:TGID_X_EN: 1
; COMPUTE_PGM_RSRC2:TGID_Y_EN: 0
; COMPUTE_PGM_RSRC2:TGID_Z_EN: 0
; COMPUTE_PGM_RSRC2:TIDIG_COMP_CNT: 0
	.section	.text._ZN2at6native12_GLOBAL__N_125multi_tensor_apply_kernelINS1_28TensorListScalarListMetadataIfLi3EEENS1_28PointwiseOpScalarListFunctorIfLi3ELi3ELi0EEEJSt10multipliesIfEEEEvT_T0_DpT1_,"axG",@progbits,_ZN2at6native12_GLOBAL__N_125multi_tensor_apply_kernelINS1_28TensorListScalarListMetadataIfLi3EEENS1_28PointwiseOpScalarListFunctorIfLi3ELi3ELi0EEEJSt10multipliesIfEEEEvT_T0_DpT1_,comdat
	.globl	_ZN2at6native12_GLOBAL__N_125multi_tensor_apply_kernelINS1_28TensorListScalarListMetadataIfLi3EEENS1_28PointwiseOpScalarListFunctorIfLi3ELi3ELi0EEEJSt10multipliesIfEEEEvT_T0_DpT1_ ; -- Begin function _ZN2at6native12_GLOBAL__N_125multi_tensor_apply_kernelINS1_28TensorListScalarListMetadataIfLi3EEENS1_28PointwiseOpScalarListFunctorIfLi3ELi3ELi0EEEJSt10multipliesIfEEEEvT_T0_DpT1_
	.p2align	8
	.type	_ZN2at6native12_GLOBAL__N_125multi_tensor_apply_kernelINS1_28TensorListScalarListMetadataIfLi3EEENS1_28PointwiseOpScalarListFunctorIfLi3ELi3ELi0EEEJSt10multipliesIfEEEEvT_T0_DpT1_,@function
_ZN2at6native12_GLOBAL__N_125multi_tensor_apply_kernelINS1_28TensorListScalarListMetadataIfLi3EEENS1_28PointwiseOpScalarListFunctorIfLi3ELi3ELi0EEEJSt10multipliesIfEEEEvT_T0_DpT1_: ; @_ZN2at6native12_GLOBAL__N_125multi_tensor_apply_kernelINS1_28TensorListScalarListMetadataIfLi3EEENS1_28PointwiseOpScalarListFunctorIfLi3ELi3ELi0EEEJSt10multipliesIfEEEEvT_T0_DpT1_
; %bb.0:
	s_bfe_u32 s2, ttmp6, 0x4000c
	s_and_b32 s3, ttmp6, 15
	s_add_co_i32 s2, s2, 1
	s_getreg_b32 s4, hwreg(HW_REG_IB_STS2, 6, 4)
	s_mul_i32 s2, ttmp9, s2
	s_delay_alu instid0(SALU_CYCLE_1)
	s_add_co_i32 s3, s3, s2
	s_cmp_eq_u32 s4, 0
	s_cselect_b32 s2, ttmp9, s3
	s_mov_b32 s3, 0
	s_load_u8 s20, s[0:1], s2 offset:0x6c0
	s_add_nc_u64 s[4:5], s[0:1], s[2:3]
	s_mul_u64 s[6:7], s[2:3], 3
	s_delay_alu instid0(SALU_CYCLE_1)
	s_add_nc_u64 s[4:5], s[4:5], s[6:7]
	s_load_b32 s16, s[4:5], 0x800
	s_wait_kmcnt 0x0
	s_clause 0x3
	s_load_b64 s[8:9], s[0:1], s20 offset:0x180 scale_offset
	s_load_b64 s[6:7], s[0:1], s20 offset:0x300 scale_offset
	;; [unrolled: 1-line block ×4, first 2 shown]
	s_lshl_b32 s2, s20, 3
	s_ashr_i32 s17, s16, 31
	s_delay_alu instid0(SALU_CYCLE_1) | instskip(SKIP_3) | instid1(SALU_CYCLE_1)
	s_lshl_b64 s[10:11], s[16:17], 18
	s_wait_kmcnt 0x0
	s_and_b64 s[18:19], s[12:13], 15
	s_add_nc_u64 s[14:15], s[8:9], s[10:11]
	s_or_b32 s14, s6, s14
	s_delay_alu instid0(SALU_CYCLE_1) | instskip(NEXT) | instid1(SALU_CYCLE_1)
	s_and_b32 s14, s14, 15
	s_cmp_eq_u32 s14, 0
	s_add_nc_u64 s[14:15], s[0:1], s[2:3]
	s_cselect_b32 s22, -1, 0
	s_lshl_b32 s2, s20, 2
	s_lshl_b64 s[16:17], s[16:17], 16
	s_sub_nc_u64 s[20:21], 0, s[2:3]
	s_and_b32 s2, s4, 3
	s_add_nc_u64 s[14:15], s[14:15], s[20:21]
	s_or_b64 s[2:3], s[18:19], s[2:3]
	s_load_b32 s14, s[14:15], 0x600
	s_cmp_eq_u64 s[2:3], 0
	s_sub_nc_u64 s[16:17], s[4:5], s[16:17]
	s_cselect_b32 s2, -1, 0
	s_delay_alu instid0(SALU_CYCLE_1) | instskip(NEXT) | instid1(SALU_CYCLE_1)
	s_and_b32 s2, s22, s2
	s_and_b32 vcc_lo, exec_lo, s2
	s_mov_b32 s2, -1
	s_cbranch_vccnz .LBB105_29
; %bb.1:
	v_cmp_lt_i64_e64 s2, s[16:17], 1
	s_and_b32 vcc_lo, exec_lo, s2
	s_cbranch_vccnz .LBB105_28
; %bb.2:
	s_load_b32 s2, s[0:1], 0xd14
	v_min_i64 v[2:3], 0x10000, s[16:17]
	v_min_u64 v[4:5], 0x10000, s[16:17]
	v_dual_mov_b32 v1, 0 :: v_dual_lshlrev_b32 v16, 2, v0
	s_mov_b32 s21, 0
	s_delay_alu instid0(SALU_CYCLE_1) | instskip(NEXT) | instid1(VALU_DEP_1)
	s_mov_b32 s23, s21
	v_dual_mov_b32 v17, v1 :: v_dual_mov_b32 v35, v1
	s_mov_b32 s5, s21
	s_mov_b32 s19, s21
	s_delay_alu instid0(VALU_DEP_1) | instskip(SKIP_4) | instid1(SALU_CYCLE_1)
	v_add_nc_u64_e32 v[6:7], s[12:13], v[16:17]
	v_add_nc_u64_e32 v[8:9], s[8:9], v[16:17]
	;; [unrolled: 1-line block ×3, first 2 shown]
	s_wait_kmcnt 0x0
	s_and_b32 s20, s2, 0xffff
	s_lshl_b32 s4, s20, 1
	s_cmp_eq_f32 s14, 1.0
	v_add_nc_u64_e32 v[10:11], s[20:21], v[0:1]
	v_mad_nc_u64_u32 v[22:23], s20, 12, v[16:17]
	s_mul_i32 s18, s20, 3
	s_cselect_b32 s2, -1, 0
	s_lshl_b32 s22, s20, 3
	v_add_nc_u64_e32 v[14:15], s[18:19], v[0:1]
	v_add_nc_u64_e32 v[32:33], s[22:23], v[16:17]
	v_lshlrev_b32_e32 v34, 2, v10
	v_add_nc_u64_e32 v[16:17], s[4:5], v[0:1]
	s_lshl_b32 s18, s20, 2
	s_lshl_b32 s20, s20, 4
	s_mov_b64 s[22:23], 0
	v_add_nc_u64_e32 v[18:19], s[12:13], v[22:23]
	v_add_nc_u64_e32 v[20:21], s[8:9], v[22:23]
	;; [unrolled: 1-line block ×9, first 2 shown]
	s_branch .LBB105_4
.LBB105_3:                              ;   in Loop: Header=BB105_4 Depth=1
	s_wait_xcnt 0x0
	s_or_b32 exec_lo, exec_lo, s3
	s_add_nc_u64 s[22:23], s[22:23], s[18:19]
	v_add_nc_u64_e32 v[6:7], s[20:21], v[6:7]
	v_cmp_lt_i64_e32 vcc_lo, s[22:23], v[2:3]
	v_add_nc_u64_e32 v[8:9], s[20:21], v[8:9]
	v_add_nc_u64_e32 v[12:13], s[20:21], v[12:13]
	;; [unrolled: 1-line block ×11, first 2 shown]
	s_cbranch_vccz .LBB105_28
.LBB105_4:                              ; =>This Inner Loop Header: Depth=1
	s_wait_loadcnt 0x0
	v_add_nc_u64_e32 v[36:37], s[22:23], v[0:1]
	s_delay_alu instid0(VALU_DEP_1)
	v_cmp_lt_u64_e32 vcc_lo, v[36:37], v[4:5]
	v_dual_mov_b32 v37, 0 :: v_dual_mov_b32 v36, 0
	s_and_saveexec_b32 s3, vcc_lo
	s_cbranch_execz .LBB105_6
; %bb.5:                                ;   in Loop: Header=BB105_4 Depth=1
	v_add_nc_u64_e32 v[38:39], s[10:11], v[6:7]
	v_add_nc_u64_e32 v[40:41], s[10:11], v[8:9]
	global_load_b32 v36, v[38:39], off
	global_load_b32 v37, v[40:41], off
.LBB105_6:                              ;   in Loop: Header=BB105_4 Depth=1
	s_wait_xcnt 0x0
	s_or_b32 exec_lo, exec_lo, s3
	v_dual_mov_b32 v38, 0 :: v_dual_mov_b32 v40, 0
	s_and_saveexec_b32 s3, vcc_lo
	s_cbranch_execz .LBB105_8
; %bb.7:                                ;   in Loop: Header=BB105_4 Depth=1
	v_add_nc_u64_e32 v[40:41], s[10:11], v[12:13]
	global_load_b32 v40, v[40:41], off
.LBB105_8:                              ;   in Loop: Header=BB105_4 Depth=1
	s_wait_xcnt 0x0
	s_or_b32 exec_lo, exec_lo, s3
	v_add_nc_u64_e32 v[42:43], s[22:23], v[10:11]
	v_mov_b32_e32 v39, 0
	s_delay_alu instid0(VALU_DEP_2)
	v_cmp_lt_u64_e64 s3, v[42:43], v[4:5]
	s_and_saveexec_b32 s4, s3
	s_cbranch_execz .LBB105_10
; %bb.9:                                ;   in Loop: Header=BB105_4 Depth=1
	v_add_nc_u64_e32 v[42:43], s[10:11], v[24:25]
	v_add_nc_u64_e32 v[44:45], s[10:11], v[26:27]
	global_load_b32 v39, v[42:43], off
	global_load_b32 v38, v[44:45], off
.LBB105_10:                             ;   in Loop: Header=BB105_4 Depth=1
	s_wait_xcnt 0x0
	s_or_b32 exec_lo, exec_lo, s4
	v_dual_mov_b32 v41, 0 :: v_dual_mov_b32 v43, 0
	s_and_saveexec_b32 s4, s3
	s_cbranch_execz .LBB105_12
; %bb.11:                               ;   in Loop: Header=BB105_4 Depth=1
	v_add_nc_u64_e32 v[42:43], s[10:11], v[34:35]
	global_load_b32 v43, v[42:43], off
.LBB105_12:                             ;   in Loop: Header=BB105_4 Depth=1
	s_wait_xcnt 0x0
	s_or_b32 exec_lo, exec_lo, s4
	v_add_nc_u64_e32 v[44:45], s[22:23], v[16:17]
	v_mov_b32_e32 v42, 0
	s_delay_alu instid0(VALU_DEP_2)
	v_cmp_lt_u64_e64 s4, v[44:45], v[4:5]
	s_and_saveexec_b32 s5, s4
	s_cbranch_execz .LBB105_14
; %bb.13:                               ;   in Loop: Header=BB105_4 Depth=1
	v_add_nc_u64_e32 v[44:45], s[10:11], v[28:29]
	v_add_nc_u64_e32 v[46:47], s[10:11], v[30:31]
	global_load_b32 v42, v[44:45], off
	global_load_b32 v41, v[46:47], off
.LBB105_14:                             ;   in Loop: Header=BB105_4 Depth=1
	s_wait_xcnt 0x0
	s_or_b32 exec_lo, exec_lo, s5
	v_dual_mov_b32 v44, 0 :: v_dual_mov_b32 v46, 0
	s_and_saveexec_b32 s5, s4
	s_cbranch_execz .LBB105_16
; %bb.15:                               ;   in Loop: Header=BB105_4 Depth=1
	v_add_nc_u64_e32 v[46:47], s[10:11], v[32:33]
	global_load_b32 v46, v[46:47], off
.LBB105_16:                             ;   in Loop: Header=BB105_4 Depth=1
	s_wait_xcnt 0x0
	s_or_b32 exec_lo, exec_lo, s5
	v_add_nc_u64_e32 v[48:49], s[22:23], v[14:15]
	v_mov_b32_e32 v45, 0
	s_delay_alu instid0(VALU_DEP_2)
	v_cmp_lt_u64_e64 s5, v[48:49], v[4:5]
	s_and_saveexec_b32 s15, s5
	s_cbranch_execnz .LBB105_22
; %bb.17:                               ;   in Loop: Header=BB105_4 Depth=1
	s_or_b32 exec_lo, exec_lo, s15
	v_mov_b32_e32 v47, 0
	s_and_saveexec_b32 s15, s5
	s_cbranch_execnz .LBB105_23
.LBB105_18:                             ;   in Loop: Header=BB105_4 Depth=1
	s_or_b32 exec_lo, exec_lo, s15
	s_and_saveexec_b32 s15, vcc_lo
	s_cbranch_execnz .LBB105_24
.LBB105_19:                             ;   in Loop: Header=BB105_4 Depth=1
	s_or_b32 exec_lo, exec_lo, s15
	s_and_saveexec_b32 s15, s3
	s_cbranch_execnz .LBB105_25
.LBB105_20:                             ;   in Loop: Header=BB105_4 Depth=1
	s_or_b32 exec_lo, exec_lo, s15
	s_and_saveexec_b32 s3, s4
	s_cbranch_execnz .LBB105_26
.LBB105_21:                             ;   in Loop: Header=BB105_4 Depth=1
	s_or_b32 exec_lo, exec_lo, s3
	s_and_saveexec_b32 s3, s5
	s_cbranch_execz .LBB105_3
	s_branch .LBB105_27
.LBB105_22:                             ;   in Loop: Header=BB105_4 Depth=1
	v_add_nc_u64_e32 v[48:49], s[10:11], v[18:19]
	v_add_nc_u64_e32 v[50:51], s[10:11], v[20:21]
	global_load_b32 v45, v[48:49], off
	global_load_b32 v44, v[50:51], off
	s_wait_xcnt 0x0
	s_or_b32 exec_lo, exec_lo, s15
	v_mov_b32_e32 v47, 0
	s_and_saveexec_b32 s15, s5
	s_cbranch_execz .LBB105_18
.LBB105_23:                             ;   in Loop: Header=BB105_4 Depth=1
	v_add_nc_u64_e32 v[48:49], s[10:11], v[22:23]
	global_load_b32 v47, v[48:49], off
	s_wait_xcnt 0x0
	s_or_b32 exec_lo, exec_lo, s15
	s_and_saveexec_b32 s15, vcc_lo
	s_cbranch_execz .LBB105_19
.LBB105_24:                             ;   in Loop: Header=BB105_4 Depth=1
	s_wait_loadcnt 0x0
	v_dual_mul_f32 v48, v37, v40 :: v_dual_fma_f32 v37, v37, v40, v36
	s_delay_alu instid0(VALU_DEP_1) | instskip(SKIP_1) | instid1(VALU_DEP_2)
	v_fmac_f32_e32 v36, s14, v48
	v_add_nc_u64_e32 v[48:49], s[10:11], v[6:7]
	v_cndmask_b32_e64 v36, v36, v37, s2
	global_store_b32 v[48:49], v36, off
	s_wait_xcnt 0x0
	s_or_b32 exec_lo, exec_lo, s15
	s_and_saveexec_b32 s15, s3
	s_cbranch_execz .LBB105_20
.LBB105_25:                             ;   in Loop: Header=BB105_4 Depth=1
	s_wait_loadcnt 0x0
	v_dual_mul_f32 v36, v38, v43 :: v_dual_fma_f32 v38, v38, v43, v39
	s_delay_alu instid0(VALU_DEP_1) | instskip(SKIP_1) | instid1(VALU_DEP_2)
	v_fmac_f32_e32 v39, s14, v36
	v_add_nc_u64_e32 v[36:37], s[10:11], v[24:25]
	v_cndmask_b32_e64 v38, v39, v38, s2
	global_store_b32 v[36:37], v38, off
	s_wait_xcnt 0x0
	s_or_b32 exec_lo, exec_lo, s15
	s_and_saveexec_b32 s3, s4
	s_cbranch_execz .LBB105_21
.LBB105_26:                             ;   in Loop: Header=BB105_4 Depth=1
	s_wait_loadcnt 0x0
	v_dual_mul_f32 v36, v41, v46 :: v_dual_fma_f32 v38, v41, v46, v42
	s_delay_alu instid0(VALU_DEP_1) | instskip(SKIP_1) | instid1(VALU_DEP_2)
	v_fmac_f32_e32 v42, s14, v36
	v_add_nc_u64_e32 v[36:37], s[10:11], v[28:29]
	v_cndmask_b32_e64 v38, v42, v38, s2
	global_store_b32 v[36:37], v38, off
	s_wait_xcnt 0x0
	s_or_b32 exec_lo, exec_lo, s3
	s_and_saveexec_b32 s3, s5
	s_cbranch_execz .LBB105_3
.LBB105_27:                             ;   in Loop: Header=BB105_4 Depth=1
	s_wait_loadcnt 0x0
	v_dual_mul_f32 v36, v44, v47 :: v_dual_fma_f32 v38, v44, v47, v45
	s_delay_alu instid0(VALU_DEP_1) | instskip(SKIP_1) | instid1(VALU_DEP_2)
	v_fmac_f32_e32 v45, s14, v36
	v_add_nc_u64_e32 v[36:37], s[10:11], v[18:19]
	v_cndmask_b32_e64 v38, v45, v38, s2
	global_store_b32 v[36:37], v38, off
	s_branch .LBB105_3
.LBB105_28:
	s_mov_b32 s2, 0
.LBB105_29:
	s_delay_alu instid0(SALU_CYCLE_1)
	s_and_not1_b32 vcc_lo, exec_lo, s2
	s_cbranch_vccnz .LBB105_33
; %bb.30:
	v_min_i64 v[2:3], 0x10000, s[16:17]
	v_dual_mov_b32 v7, 0 :: v_dual_lshlrev_b32 v6, 2, v0
	s_mov_b32 s2, exec_lo
	s_delay_alu instid0(VALU_DEP_1)
	v_cmpx_lt_i64_e64 v[6:7], v[2:3]
	s_cbranch_execz .LBB105_33
; %bb.31:
	s_load_b32 s0, s[0:1], 0xd14
	v_dual_mov_b32 v1, v7 :: v_dual_lshlrev_b32 v6, 4, v0
	s_wait_kmcnt 0x0
	s_mov_b32 s15, s14
	s_cmp_eq_f32 s14, 1.0
	v_mov_b64_e32 v[4:5], s[14:15]
	s_mov_b32 s3, 0
	v_add_nc_u64_e32 v[6:7], s[10:11], v[6:7]
	s_cselect_b32 vcc_lo, -1, 0
	s_add_nc_u64 s[4:5], s[12:13], 8
	s_add_nc_u64 s[8:9], s[8:9], 8
	s_mov_b32 s11, s3
	s_mov_b32 s1, s3
	s_and_b32 s2, s0, 0xffff
	s_delay_alu instid0(SALU_CYCLE_1)
	s_lshl_b32 s10, s2, 4
.LBB105_32:                             ; =>This Inner Loop Header: Depth=1
	v_add_nc_u64_e32 v[20:21], s[8:9], v[6:7]
	v_add_nc_u64_e32 v[22:23], s[6:7], v[6:7]
	;; [unrolled: 1-line block ×5, first 2 shown]
	global_load_b128 v[8:11], v[20:21], off offset:-8
	global_load_b128 v[12:15], v[22:23], off
	global_load_b128 v[16:19], v[24:25], off offset:-8
	s_wait_xcnt 0x2
	v_lshlrev_b64_e32 v[20:21], 2, v[0:1]
	s_delay_alu instid0(VALU_DEP_1)
	v_cmp_ge_i64_e64 s0, v[20:21], v[2:3]
	s_or_b32 s1, s0, s1
	s_wait_loadcnt 0x1
	s_wait_xcnt 0x1
	v_pk_mul_f32 v[22:23], v[8:9], v[12:13]
	v_pk_mul_f32 v[26:27], v[10:11], v[14:15]
	s_wait_loadcnt 0x0
	v_pk_fma_f32 v[8:9], v[8:9], v[12:13], v[16:17]
	v_pk_fma_f32 v[10:11], v[10:11], v[14:15], v[18:19]
	;; [unrolled: 1-line block ×4, first 2 shown]
	s_delay_alu instid0(VALU_DEP_2) | instskip(NEXT) | instid1(VALU_DEP_2)
	v_dual_cndmask_b32 v9, v13, v9 :: v_dual_cndmask_b32 v8, v12, v8
	v_dual_cndmask_b32 v11, v15, v11 :: v_dual_cndmask_b32 v10, v14, v10
	global_store_b128 v[24:25], v[8:11], off offset:-8
	s_wait_xcnt 0x0
	s_and_not1_b32 exec_lo, exec_lo, s1
	s_cbranch_execnz .LBB105_32
.LBB105_33:
	s_endpgm
	.section	.rodata,"a",@progbits
	.p2align	6, 0x0
	.amdhsa_kernel _ZN2at6native12_GLOBAL__N_125multi_tensor_apply_kernelINS1_28TensorListScalarListMetadataIfLi3EEENS1_28PointwiseOpScalarListFunctorIfLi3ELi3ELi0EEEJSt10multipliesIfEEEEvT_T0_DpT1_
		.amdhsa_group_segment_fixed_size 0
		.amdhsa_private_segment_fixed_size 0
		.amdhsa_kernarg_size 3592
		.amdhsa_user_sgpr_count 2
		.amdhsa_user_sgpr_dispatch_ptr 0
		.amdhsa_user_sgpr_queue_ptr 0
		.amdhsa_user_sgpr_kernarg_segment_ptr 1
		.amdhsa_user_sgpr_dispatch_id 0
		.amdhsa_user_sgpr_kernarg_preload_length 0
		.amdhsa_user_sgpr_kernarg_preload_offset 0
		.amdhsa_user_sgpr_private_segment_size 0
		.amdhsa_wavefront_size32 1
		.amdhsa_uses_dynamic_stack 0
		.amdhsa_enable_private_segment 0
		.amdhsa_system_sgpr_workgroup_id_x 1
		.amdhsa_system_sgpr_workgroup_id_y 0
		.amdhsa_system_sgpr_workgroup_id_z 0
		.amdhsa_system_sgpr_workgroup_info 0
		.amdhsa_system_vgpr_workitem_id 0
		.amdhsa_next_free_vgpr 52
		.amdhsa_next_free_sgpr 24
		.amdhsa_named_barrier_count 0
		.amdhsa_reserve_vcc 1
		.amdhsa_float_round_mode_32 0
		.amdhsa_float_round_mode_16_64 0
		.amdhsa_float_denorm_mode_32 3
		.amdhsa_float_denorm_mode_16_64 3
		.amdhsa_fp16_overflow 0
		.amdhsa_memory_ordered 1
		.amdhsa_forward_progress 1
		.amdhsa_inst_pref_size 13
		.amdhsa_round_robin_scheduling 0
		.amdhsa_exception_fp_ieee_invalid_op 0
		.amdhsa_exception_fp_denorm_src 0
		.amdhsa_exception_fp_ieee_div_zero 0
		.amdhsa_exception_fp_ieee_overflow 0
		.amdhsa_exception_fp_ieee_underflow 0
		.amdhsa_exception_fp_ieee_inexact 0
		.amdhsa_exception_int_div_zero 0
	.end_amdhsa_kernel
	.section	.text._ZN2at6native12_GLOBAL__N_125multi_tensor_apply_kernelINS1_28TensorListScalarListMetadataIfLi3EEENS1_28PointwiseOpScalarListFunctorIfLi3ELi3ELi0EEEJSt10multipliesIfEEEEvT_T0_DpT1_,"axG",@progbits,_ZN2at6native12_GLOBAL__N_125multi_tensor_apply_kernelINS1_28TensorListScalarListMetadataIfLi3EEENS1_28PointwiseOpScalarListFunctorIfLi3ELi3ELi0EEEJSt10multipliesIfEEEEvT_T0_DpT1_,comdat
.Lfunc_end105:
	.size	_ZN2at6native12_GLOBAL__N_125multi_tensor_apply_kernelINS1_28TensorListScalarListMetadataIfLi3EEENS1_28PointwiseOpScalarListFunctorIfLi3ELi3ELi0EEEJSt10multipliesIfEEEEvT_T0_DpT1_, .Lfunc_end105-_ZN2at6native12_GLOBAL__N_125multi_tensor_apply_kernelINS1_28TensorListScalarListMetadataIfLi3EEENS1_28PointwiseOpScalarListFunctorIfLi3ELi3ELi0EEEJSt10multipliesIfEEEEvT_T0_DpT1_
                                        ; -- End function
	.set _ZN2at6native12_GLOBAL__N_125multi_tensor_apply_kernelINS1_28TensorListScalarListMetadataIfLi3EEENS1_28PointwiseOpScalarListFunctorIfLi3ELi3ELi0EEEJSt10multipliesIfEEEEvT_T0_DpT1_.num_vgpr, 52
	.set _ZN2at6native12_GLOBAL__N_125multi_tensor_apply_kernelINS1_28TensorListScalarListMetadataIfLi3EEENS1_28PointwiseOpScalarListFunctorIfLi3ELi3ELi0EEEJSt10multipliesIfEEEEvT_T0_DpT1_.num_agpr, 0
	.set _ZN2at6native12_GLOBAL__N_125multi_tensor_apply_kernelINS1_28TensorListScalarListMetadataIfLi3EEENS1_28PointwiseOpScalarListFunctorIfLi3ELi3ELi0EEEJSt10multipliesIfEEEEvT_T0_DpT1_.numbered_sgpr, 24
	.set _ZN2at6native12_GLOBAL__N_125multi_tensor_apply_kernelINS1_28TensorListScalarListMetadataIfLi3EEENS1_28PointwiseOpScalarListFunctorIfLi3ELi3ELi0EEEJSt10multipliesIfEEEEvT_T0_DpT1_.num_named_barrier, 0
	.set _ZN2at6native12_GLOBAL__N_125multi_tensor_apply_kernelINS1_28TensorListScalarListMetadataIfLi3EEENS1_28PointwiseOpScalarListFunctorIfLi3ELi3ELi0EEEJSt10multipliesIfEEEEvT_T0_DpT1_.private_seg_size, 0
	.set _ZN2at6native12_GLOBAL__N_125multi_tensor_apply_kernelINS1_28TensorListScalarListMetadataIfLi3EEENS1_28PointwiseOpScalarListFunctorIfLi3ELi3ELi0EEEJSt10multipliesIfEEEEvT_T0_DpT1_.uses_vcc, 1
	.set _ZN2at6native12_GLOBAL__N_125multi_tensor_apply_kernelINS1_28TensorListScalarListMetadataIfLi3EEENS1_28PointwiseOpScalarListFunctorIfLi3ELi3ELi0EEEJSt10multipliesIfEEEEvT_T0_DpT1_.uses_flat_scratch, 0
	.set _ZN2at6native12_GLOBAL__N_125multi_tensor_apply_kernelINS1_28TensorListScalarListMetadataIfLi3EEENS1_28PointwiseOpScalarListFunctorIfLi3ELi3ELi0EEEJSt10multipliesIfEEEEvT_T0_DpT1_.has_dyn_sized_stack, 0
	.set _ZN2at6native12_GLOBAL__N_125multi_tensor_apply_kernelINS1_28TensorListScalarListMetadataIfLi3EEENS1_28PointwiseOpScalarListFunctorIfLi3ELi3ELi0EEEJSt10multipliesIfEEEEvT_T0_DpT1_.has_recursion, 0
	.set _ZN2at6native12_GLOBAL__N_125multi_tensor_apply_kernelINS1_28TensorListScalarListMetadataIfLi3EEENS1_28PointwiseOpScalarListFunctorIfLi3ELi3ELi0EEEJSt10multipliesIfEEEEvT_T0_DpT1_.has_indirect_call, 0
	.section	.AMDGPU.csdata,"",@progbits
; Kernel info:
; codeLenInByte = 1600
; TotalNumSgprs: 26
; NumVgprs: 52
; ScratchSize: 0
; MemoryBound: 0
; FloatMode: 240
; IeeeMode: 1
; LDSByteSize: 0 bytes/workgroup (compile time only)
; SGPRBlocks: 0
; VGPRBlocks: 3
; NumSGPRsForWavesPerEU: 26
; NumVGPRsForWavesPerEU: 52
; NamedBarCnt: 0
; Occupancy: 16
; WaveLimiterHint : 0
; COMPUTE_PGM_RSRC2:SCRATCH_EN: 0
; COMPUTE_PGM_RSRC2:USER_SGPR: 2
; COMPUTE_PGM_RSRC2:TRAP_HANDLER: 0
; COMPUTE_PGM_RSRC2:TGID_X_EN: 1
; COMPUTE_PGM_RSRC2:TGID_Y_EN: 0
; COMPUTE_PGM_RSRC2:TGID_Z_EN: 0
; COMPUTE_PGM_RSRC2:TIDIG_COMP_CNT: 0
	.section	.text._ZN2at6native12_GLOBAL__N_125multi_tensor_apply_kernelINS1_28TensorListScalarListMetadataIN3c107complexIdEELi3EEENS1_28PointwiseOpScalarListFunctorIS6_Li3ELi3ELi0EEEJSt10multipliesIS6_EEEEvT_T0_DpT1_,"axG",@progbits,_ZN2at6native12_GLOBAL__N_125multi_tensor_apply_kernelINS1_28TensorListScalarListMetadataIN3c107complexIdEELi3EEENS1_28PointwiseOpScalarListFunctorIS6_Li3ELi3ELi0EEEJSt10multipliesIS6_EEEEvT_T0_DpT1_,comdat
	.globl	_ZN2at6native12_GLOBAL__N_125multi_tensor_apply_kernelINS1_28TensorListScalarListMetadataIN3c107complexIdEELi3EEENS1_28PointwiseOpScalarListFunctorIS6_Li3ELi3ELi0EEEJSt10multipliesIS6_EEEEvT_T0_DpT1_ ; -- Begin function _ZN2at6native12_GLOBAL__N_125multi_tensor_apply_kernelINS1_28TensorListScalarListMetadataIN3c107complexIdEELi3EEENS1_28PointwiseOpScalarListFunctorIS6_Li3ELi3ELi0EEEJSt10multipliesIS6_EEEEvT_T0_DpT1_
	.p2align	8
	.type	_ZN2at6native12_GLOBAL__N_125multi_tensor_apply_kernelINS1_28TensorListScalarListMetadataIN3c107complexIdEELi3EEENS1_28PointwiseOpScalarListFunctorIS6_Li3ELi3ELi0EEEJSt10multipliesIS6_EEEEvT_T0_DpT1_,@function
_ZN2at6native12_GLOBAL__N_125multi_tensor_apply_kernelINS1_28TensorListScalarListMetadataIN3c107complexIdEELi3EEENS1_28PointwiseOpScalarListFunctorIS6_Li3ELi3ELi0EEEJSt10multipliesIS6_EEEEvT_T0_DpT1_: ; @_ZN2at6native12_GLOBAL__N_125multi_tensor_apply_kernelINS1_28TensorListScalarListMetadataIN3c107complexIdEELi3EEENS1_28PointwiseOpScalarListFunctorIS6_Li3ELi3ELi0EEEJSt10multipliesIS6_EEEEvT_T0_DpT1_
; %bb.0:
	s_bfe_u32 s2, ttmp6, 0x4000c
	s_and_b32 s3, ttmp6, 15
	s_add_co_i32 s2, s2, 1
	s_getreg_b32 s4, hwreg(HW_REG_IB_STS2, 6, 4)
	s_mul_i32 s2, ttmp9, s2
	s_delay_alu instid0(SALU_CYCLE_1)
	s_add_co_i32 s3, s3, s2
	s_cmp_eq_u32 s4, 0
	s_cselect_b32 s2, ttmp9, s3
	s_mov_b32 s3, 0
	s_load_u8 s10, s[0:1], s2 offset:0x900
	s_add_nc_u64 s[4:5], s[0:1], s[2:3]
	s_mul_u64 s[6:7], s[2:3], 3
	s_delay_alu instid0(SALU_CYCLE_1)
	s_add_nc_u64 s[4:5], s[4:5], s[6:7]
	s_load_b32 s16, s[4:5], 0xa40
	s_wait_kmcnt 0x0
	s_clause 0x3
	s_load_b64 s[6:7], s[0:1], s10 offset:0x180 scale_offset
	s_load_b64 s[8:9], s[0:1], s10 offset:0x300 scale_offset
	;; [unrolled: 1-line block ×4, first 2 shown]
	s_lshl_b32 s2, s10, 3
	s_wait_xcnt 0x0
	s_add_nc_u64 s[10:11], s[0:1], s[2:3]
	s_ashr_i32 s17, s16, 31
	s_delay_alu instid0(SALU_CYCLE_1)
	s_lshl_b64 s[4:5], s[16:17], 20
	s_wait_kmcnt 0x0
	s_add_nc_u64 s[6:7], s[6:7], s[4:5]
	s_add_nc_u64 s[12:13], s[8:9], s[4:5]
	s_load_b128 s[8:11], s[10:11], s2 offset:0x600
	s_wait_xcnt 0x0
	s_or_b32 s2, s12, s6
	s_add_nc_u64 s[14:15], s[14:15], s[4:5]
	s_and_b32 s2, s2, 63
	s_and_b64 s[4:5], s[14:15], 63
	s_cmp_eq_u32 s2, 0
	s_cselect_b32 s20, -1, 0
	s_and_b32 s2, s18, 3
	s_delay_alu instid0(SALU_CYCLE_1) | instskip(SKIP_4) | instid1(SALU_CYCLE_1)
	s_or_b64 s[2:3], s[4:5], s[2:3]
	s_lshl_b64 s[4:5], s[16:17], 16
	s_cmp_eq_u64 s[2:3], 0
	s_sub_nc_u64 s[16:17], s[18:19], s[4:5]
	s_cselect_b32 s2, -1, 0
	s_and_b32 s2, s20, s2
	s_delay_alu instid0(SALU_CYCLE_1)
	s_and_b32 vcc_lo, exec_lo, s2
	s_mov_b32 s2, -1
	s_cbranch_vccnz .LBB106_37
; %bb.1:
	v_cmp_lt_i64_e64 s2, s[16:17], 1
	s_and_b32 vcc_lo, exec_lo, s2
	s_cbranch_vccnz .LBB106_36
; %bb.2:
	s_wait_kmcnt 0x0
	v_cmp_neq_f64_e64 s2, s[8:9], 1.0
	v_cmp_neq_f64_e64 s3, s[10:11], 0
	v_min_u64 v[50:51], 0x10000, s[16:17]
	s_load_b32 s4, s[0:1], 0xf54
	v_mov_b32_e32 v1, 0
	s_mov_b32 s19, 0
	s_mov_b64 s[20:21], 0
	s_mov_b32 s23, s19
	s_mov_b32 s25, s19
	;; [unrolled: 1-line block ×3, first 2 shown]
	s_wait_kmcnt 0x0
	s_and_b32 s18, s4, 0xffff
	s_delay_alu instid0(SALU_CYCLE_1)
	s_lshl_b32 s22, s18, 1
	s_mul_i32 s24, s18, 3
	s_lshl_b32 s26, s18, 2
	s_or_b32 s28, s2, s3
	s_branch .LBB106_4
.LBB106_3:                              ;   in Loop: Header=BB106_4 Depth=1
	s_wait_xcnt 0x0
	s_or_b32 exec_lo, exec_lo, s2
	v_min_i64 v[2:3], 0x10000, s[16:17]
	s_add_nc_u64 s[20:21], s[20:21], s[26:27]
	s_delay_alu instid0(VALU_DEP_1) | instid1(SALU_CYCLE_1)
	v_cmp_ge_i64_e32 vcc_lo, s[20:21], v[2:3]
	s_cbranch_vccnz .LBB106_36
.LBB106_4:                              ; =>This Inner Loop Header: Depth=1
	v_add_nc_u64_e32 v[52:53], s[20:21], v[0:1]
	v_mov_b64_e32 v[12:13], 0
	v_mov_b64_e32 v[20:21], 0
	v_mov_b64_e32 v[18:19], 0
	v_mov_b64_e32 v[4:5], 0
	v_mov_b64_e32 v[2:3], 0
	v_cmp_lt_u64_e64 s2, v[52:53], v[50:51]
	s_and_saveexec_b32 s3, s2
	s_cbranch_execz .LBB106_6
; %bb.5:                                ;   in Loop: Header=BB106_4 Depth=1
	v_lshlrev_b64_e32 v[2:3], 4, v[52:53]
	s_delay_alu instid0(VALU_DEP_1)
	v_add_nc_u64_e32 v[6:7], s[14:15], v[2:3]
	v_add_nc_u64_e32 v[8:9], s[6:7], v[2:3]
	global_load_b128 v[2:5], v[6:7], off
	global_load_b128 v[18:21], v[8:9], off
.LBB106_6:                              ;   in Loop: Header=BB106_4 Depth=1
	s_wait_xcnt 0x0
	s_or_b32 exec_lo, exec_lo, s3
	v_mov_b64_e32 v[10:11], 0
	s_and_saveexec_b32 s3, s2
	s_cbranch_execz .LBB106_8
; %bb.7:                                ;   in Loop: Header=BB106_4 Depth=1
	v_lshl_add_u64 v[6:7], v[52:53], 4, s[12:13]
	global_load_b128 v[10:13], v[6:7], off
.LBB106_8:                              ;   in Loop: Header=BB106_4 Depth=1
	s_wait_xcnt 0x0
	s_or_b32 exec_lo, exec_lo, s3
	v_add_nc_u64_e32 v[54:55], s[18:19], v[52:53]
	v_mov_b64_e32 v[24:25], 0
	v_mov_b64_e32 v[28:29], 0
	;; [unrolled: 1-line block ×5, first 2 shown]
	v_cmp_lt_u64_e64 s3, v[54:55], v[50:51]
	s_and_saveexec_b32 s4, s3
	s_cbranch_execz .LBB106_10
; %bb.9:                                ;   in Loop: Header=BB106_4 Depth=1
	v_lshlrev_b64_e32 v[6:7], 4, v[54:55]
	s_delay_alu instid0(VALU_DEP_1)
	v_add_nc_u64_e32 v[14:15], s[14:15], v[6:7]
	v_add_nc_u64_e32 v[16:17], s[6:7], v[6:7]
	global_load_b128 v[6:9], v[14:15], off
	global_load_b128 v[26:29], v[16:17], off
.LBB106_10:                             ;   in Loop: Header=BB106_4 Depth=1
	s_wait_xcnt 0x0
	s_or_b32 exec_lo, exec_lo, s4
	v_mov_b64_e32 v[22:23], 0
	s_and_saveexec_b32 s4, s3
	s_cbranch_execz .LBB106_12
; %bb.11:                               ;   in Loop: Header=BB106_4 Depth=1
	v_lshl_add_u64 v[14:15], v[54:55], 4, s[12:13]
	global_load_b128 v[22:25], v[14:15], off
.LBB106_12:                             ;   in Loop: Header=BB106_4 Depth=1
	s_wait_xcnt 0x0
	s_or_b32 exec_lo, exec_lo, s4
	v_add_nc_u64_e32 v[56:57], s[22:23], v[52:53]
	v_mov_b64_e32 v[36:37], 0
	v_mov_b64_e32 v[40:41], 0
	;; [unrolled: 1-line block ×5, first 2 shown]
	v_cmp_lt_u64_e64 s4, v[56:57], v[50:51]
	s_and_saveexec_b32 s5, s4
	s_cbranch_execz .LBB106_14
; %bb.13:                               ;   in Loop: Header=BB106_4 Depth=1
	v_lshlrev_b64_e32 v[14:15], 4, v[56:57]
	s_delay_alu instid0(VALU_DEP_1)
	v_add_nc_u64_e32 v[30:31], s[14:15], v[14:15]
	v_add_nc_u64_e32 v[32:33], s[6:7], v[14:15]
	global_load_b128 v[14:17], v[30:31], off
	global_load_b128 v[38:41], v[32:33], off
.LBB106_14:                             ;   in Loop: Header=BB106_4 Depth=1
	s_wait_xcnt 0x0
	s_or_b32 exec_lo, exec_lo, s5
	v_mov_b64_e32 v[34:35], 0
	s_and_saveexec_b32 s5, s4
	s_cbranch_execz .LBB106_16
; %bb.15:                               ;   in Loop: Header=BB106_4 Depth=1
	v_lshl_add_u64 v[30:31], v[56:57], 4, s[12:13]
	global_load_b128 v[34:37], v[30:31], off
.LBB106_16:                             ;   in Loop: Header=BB106_4 Depth=1
	s_wait_xcnt 0x0
	s_or_b32 exec_lo, exec_lo, s5
	v_add_nc_u64_e32 v[58:59], s[24:25], v[52:53]
	v_mov_b64_e32 v[44:45], 0
	v_mov_b64_e32 v[48:49], 0
	;; [unrolled: 1-line block ×5, first 2 shown]
	v_cmp_lt_u64_e64 s5, v[58:59], v[50:51]
	s_and_saveexec_b32 s29, s5
	s_cbranch_execz .LBB106_18
; %bb.17:                               ;   in Loop: Header=BB106_4 Depth=1
	v_lshlrev_b64_e32 v[30:31], 4, v[58:59]
	s_delay_alu instid0(VALU_DEP_1)
	v_add_nc_u64_e32 v[42:43], s[14:15], v[30:31]
	v_add_nc_u64_e32 v[60:61], s[6:7], v[30:31]
	global_load_b128 v[30:33], v[42:43], off
	global_load_b128 v[46:49], v[60:61], off
.LBB106_18:                             ;   in Loop: Header=BB106_4 Depth=1
	s_wait_xcnt 0x0
	s_or_b32 exec_lo, exec_lo, s29
	v_mov_b64_e32 v[42:43], 0
	s_and_saveexec_b32 s29, s5
	s_cbranch_execz .LBB106_20
; %bb.19:                               ;   in Loop: Header=BB106_4 Depth=1
	v_lshl_add_u64 v[42:43], v[58:59], 4, s[12:13]
	global_load_b128 v[42:45], v[42:43], off
.LBB106_20:                             ;   in Loop: Header=BB106_4 Depth=1
	s_wait_xcnt 0x0
	s_or_b32 exec_lo, exec_lo, s29
	s_wait_loadcnt 0x0
	v_mul_f64_e32 v[60:61], v[20:21], v[12:13]
	v_mul_f64_e32 v[20:21], v[20:21], v[10:11]
	s_and_b32 vcc_lo, exec_lo, s28
	s_delay_alu instid0(VALU_DEP_2) | instskip(NEXT) | instid1(VALU_DEP_2)
	v_fma_f64 v[10:11], v[18:19], v[10:11], -v[60:61]
	v_fmac_f64_e32 v[20:21], v[18:19], v[12:13]
	s_cbranch_vccz .LBB106_22
; %bb.21:                               ;   in Loop: Header=BB106_4 Depth=1
	s_delay_alu instid0(VALU_DEP_2) | instskip(NEXT) | instid1(VALU_DEP_2)
	v_mul_f64_e32 v[18:19], s[10:11], v[10:11]
	v_mul_f64_e32 v[12:13], s[10:11], v[20:21]
	s_delay_alu instid0(VALU_DEP_2) | instskip(NEXT) | instid1(VALU_DEP_2)
	v_fmac_f64_e32 v[18:19], s[8:9], v[20:21]
	v_fma_f64 v[10:11], s[8:9], v[10:11], -v[12:13]
	s_delay_alu instid0(VALU_DEP_2)
	v_mov_b64_e32 v[20:21], v[18:19]
.LBB106_22:                             ;   in Loop: Header=BB106_4 Depth=1
	v_mul_f64_e32 v[18:19], v[28:29], v[24:25]
	v_mul_f64_e32 v[12:13], v[28:29], v[22:23]
	s_and_not1_b32 vcc_lo, exec_lo, s28
	s_delay_alu instid0(VALU_DEP_2) | instskip(NEXT) | instid1(VALU_DEP_2)
	v_fma_f64 v[18:19], v[26:27], v[22:23], -v[18:19]
	v_fmac_f64_e32 v[12:13], v[26:27], v[24:25]
	s_cbranch_vccnz .LBB106_24
; %bb.23:                               ;   in Loop: Header=BB106_4 Depth=1
	s_delay_alu instid0(VALU_DEP_2) | instskip(NEXT) | instid1(VALU_DEP_2)
	v_mul_f64_e32 v[24:25], s[10:11], v[18:19]
	v_mul_f64_e32 v[22:23], s[10:11], v[12:13]
	s_delay_alu instid0(VALU_DEP_2) | instskip(NEXT) | instid1(VALU_DEP_2)
	v_fmac_f64_e32 v[24:25], s[8:9], v[12:13]
	v_fma_f64 v[18:19], s[8:9], v[18:19], -v[22:23]
	s_delay_alu instid0(VALU_DEP_2)
	v_mov_b64_e32 v[12:13], v[24:25]
.LBB106_24:                             ;   in Loop: Header=BB106_4 Depth=1
	v_mul_f64_e32 v[24:25], v[40:41], v[36:37]
	v_mul_f64_e32 v[22:23], v[40:41], v[34:35]
	s_and_not1_b32 vcc_lo, exec_lo, s28
	s_delay_alu instid0(VALU_DEP_2) | instskip(NEXT) | instid1(VALU_DEP_2)
	v_fma_f64 v[24:25], v[38:39], v[34:35], -v[24:25]
	v_fmac_f64_e32 v[22:23], v[38:39], v[36:37]
	s_cbranch_vccnz .LBB106_26
; %bb.25:                               ;   in Loop: Header=BB106_4 Depth=1
	s_delay_alu instid0(VALU_DEP_2) | instskip(NEXT) | instid1(VALU_DEP_2)
	v_mul_f64_e32 v[28:29], s[10:11], v[24:25]
	v_mul_f64_e32 v[26:27], s[10:11], v[22:23]
	s_delay_alu instid0(VALU_DEP_2) | instskip(NEXT) | instid1(VALU_DEP_2)
	v_fmac_f64_e32 v[28:29], s[8:9], v[22:23]
	v_fma_f64 v[24:25], s[8:9], v[24:25], -v[26:27]
	s_delay_alu instid0(VALU_DEP_2)
	v_mov_b64_e32 v[22:23], v[28:29]
.LBB106_26:                             ;   in Loop: Header=BB106_4 Depth=1
	v_mul_f64_e32 v[28:29], v[48:49], v[44:45]
	v_mul_f64_e32 v[26:27], v[48:49], v[42:43]
	s_and_not1_b32 vcc_lo, exec_lo, s28
	s_delay_alu instid0(VALU_DEP_2) | instskip(NEXT) | instid1(VALU_DEP_2)
	v_fma_f64 v[28:29], v[46:47], v[42:43], -v[28:29]
	v_fmac_f64_e32 v[26:27], v[46:47], v[44:45]
	s_cbranch_vccz .LBB106_31
; %bb.27:                               ;   in Loop: Header=BB106_4 Depth=1
	s_and_saveexec_b32 s29, s2
	s_delay_alu instid0(SALU_CYCLE_1)
	s_xor_b32 s2, exec_lo, s29
	s_cbranch_execnz .LBB106_32
.LBB106_28:                             ;   in Loop: Header=BB106_4 Depth=1
	s_or_b32 exec_lo, exec_lo, s2
	s_and_saveexec_b32 s2, s3
	s_cbranch_execnz .LBB106_33
.LBB106_29:                             ;   in Loop: Header=BB106_4 Depth=1
	s_or_b32 exec_lo, exec_lo, s2
	s_and_saveexec_b32 s2, s4
	s_cbranch_execnz .LBB106_34
.LBB106_30:                             ;   in Loop: Header=BB106_4 Depth=1
	s_or_b32 exec_lo, exec_lo, s2
	s_and_saveexec_b32 s2, s5
	s_cbranch_execz .LBB106_3
	s_branch .LBB106_35
.LBB106_31:                             ;   in Loop: Header=BB106_4 Depth=1
	s_delay_alu instid0(VALU_DEP_2) | instskip(NEXT) | instid1(VALU_DEP_2)
	v_mul_f64_e32 v[36:37], s[10:11], v[28:29]
	v_mul_f64_e32 v[34:35], s[10:11], v[26:27]
	s_delay_alu instid0(VALU_DEP_2) | instskip(NEXT) | instid1(VALU_DEP_2)
	v_fmac_f64_e32 v[36:37], s[8:9], v[26:27]
	v_fma_f64 v[28:29], s[8:9], v[28:29], -v[34:35]
	s_delay_alu instid0(VALU_DEP_2) | instskip(SKIP_1) | instid1(SALU_CYCLE_1)
	v_mov_b64_e32 v[26:27], v[36:37]
	s_and_saveexec_b32 s29, s2
	s_xor_b32 s2, exec_lo, s29
	s_cbranch_execz .LBB106_28
.LBB106_32:                             ;   in Loop: Header=BB106_4 Depth=1
	v_add_f64_e32 v[4:5], v[4:5], v[20:21]
	v_add_f64_e32 v[2:3], v[2:3], v[10:11]
	v_lshl_add_u64 v[10:11], v[52:53], 4, s[14:15]
	global_store_b128 v[10:11], v[2:5], off
	s_wait_xcnt 0x0
	s_or_b32 exec_lo, exec_lo, s2
	s_and_saveexec_b32 s2, s3
	s_cbranch_execz .LBB106_29
.LBB106_33:                             ;   in Loop: Header=BB106_4 Depth=1
	v_add_f64_e32 v[4:5], v[8:9], v[12:13]
	v_add_f64_e32 v[2:3], v[6:7], v[18:19]
	v_lshl_add_u64 v[6:7], v[54:55], 4, s[14:15]
	global_store_b128 v[6:7], v[2:5], off
	s_wait_xcnt 0x0
	s_or_b32 exec_lo, exec_lo, s2
	s_and_saveexec_b32 s2, s4
	s_cbranch_execz .LBB106_30
.LBB106_34:                             ;   in Loop: Header=BB106_4 Depth=1
	v_add_f64_e32 v[4:5], v[16:17], v[22:23]
	v_add_f64_e32 v[2:3], v[14:15], v[24:25]
	v_lshl_add_u64 v[6:7], v[56:57], 4, s[14:15]
	global_store_b128 v[6:7], v[2:5], off
	s_wait_xcnt 0x0
	s_or_b32 exec_lo, exec_lo, s2
	s_and_saveexec_b32 s2, s5
	s_cbranch_execz .LBB106_3
.LBB106_35:                             ;   in Loop: Header=BB106_4 Depth=1
	s_delay_alu instid0(VALU_DEP_1) | instskip(NEXT) | instid1(VALU_DEP_3)
	v_add_f64_e32 v[4:5], v[32:33], v[26:27]
	v_add_f64_e32 v[2:3], v[30:31], v[28:29]
	v_lshl_add_u64 v[6:7], v[58:59], 4, s[14:15]
	global_store_b128 v[6:7], v[2:5], off
	s_branch .LBB106_3
.LBB106_36:
	s_mov_b32 s2, 0
.LBB106_37:
	s_delay_alu instid0(SALU_CYCLE_1)
	s_and_not1_b32 vcc_lo, exec_lo, s2
	s_cbranch_vccnz .LBB106_49
; %bb.38:
	v_min_i64 v[42:43], 0x10000, s[16:17]
	v_dual_mov_b32 v45, 0 :: v_dual_lshlrev_b32 v44, 2, v0
	s_mov_b32 s2, exec_lo
	s_delay_alu instid0(VALU_DEP_1)
	v_cmpx_lt_i64_e64 v[44:45], v[42:43]
	s_cbranch_execz .LBB106_49
; %bb.39:
	s_wait_kmcnt 0x0
	v_cmp_neq_f64_e64 s2, s[8:9], 1.0
	v_cmp_neq_f64_e64 s3, s[10:11], 0
	s_load_b32 s0, s[0:1], 0xf54
	v_dual_mov_b32 v1, v45 :: v_dual_lshlrev_b32 v44, 6, v0
	s_wait_xcnt 0x0
	s_mov_b32 s1, 0
	s_delay_alu instid0(SALU_CYCLE_1)
	s_mov_b32 s5, s1
	s_wait_kmcnt 0x0
	s_and_b32 s0, s0, 0xffff
	s_or_b32 s4, s2, s3
	s_lshl_b32 s2, s0, 6
	s_mov_b32 s3, s1
	s_branch .LBB106_41
.LBB106_40:                             ;   in Loop: Header=BB106_41 Depth=1
	v_add_f64_e32 v[12:13], v[12:13], v[48:49]
	v_add_f64_e32 v[10:11], v[10:11], v[50:51]
	;; [unrolled: 1-line block ×8, first 2 shown]
	v_add_nc_u64_e32 v[0:1], s[0:1], v[0:1]
	s_add_nc_u64 s[12:13], s[12:13], s[2:3]
	s_add_nc_u64 s[14:15], s[14:15], s[2:3]
	s_add_nc_u64 s[6:7], s[6:7], s[2:3]
	s_clause 0x3
	global_store_b128 v[46:47], v[10:13], off
	global_store_b128 v[46:47], v[6:9], off offset:16
	global_store_b128 v[46:47], v[14:17], off offset:32
	;; [unrolled: 1-line block ×3, first 2 shown]
	v_lshlrev_b64_e32 v[18:19], 2, v[0:1]
	s_delay_alu instid0(VALU_DEP_1)
	v_cmp_ge_i64_e32 vcc_lo, v[18:19], v[42:43]
	s_or_b32 s5, vcc_lo, s5
	s_wait_xcnt 0x0
	s_and_not1_b32 exec_lo, exec_lo, s5
	s_cbranch_execz .LBB106_49
.LBB106_41:                             ; =>This Inner Loop Header: Depth=1
	v_add_nc_u64_e32 v[48:49], s[6:7], v[44:45]
	v_add_nc_u64_e32 v[58:59], s[12:13], v[44:45]
	;; [unrolled: 1-line block ×3, first 2 shown]
	s_and_not1_b32 vcc_lo, exec_lo, s4
	global_load_b128 v[50:53], v[48:49], off
	global_load_b128 v[54:57], v[58:59], off
	global_load_b128 v[34:37], v[48:49], off offset:16
	global_load_b128 v[38:41], v[58:59], off offset:16
	s_clause 0x3
	global_load_b128 v[2:5], v[46:47], off offset:48
	global_load_b128 v[14:17], v[46:47], off offset:32
	;; [unrolled: 1-line block ×3, first 2 shown]
	global_load_b128 v[10:13], v[46:47], off
	s_clause 0x1
	global_load_b128 v[18:21], v[48:49], off offset:48
	global_load_b128 v[26:29], v[48:49], off offset:32
	s_clause 0x1
	global_load_b128 v[22:25], v[58:59], off offset:48
	global_load_b128 v[30:33], v[58:59], off offset:32
	s_wait_loadcnt 0xa
	s_wait_xcnt 0x0
	v_mul_f64_e32 v[58:59], v[52:53], v[56:57]
	v_mul_f64_e32 v[48:49], v[50:51], v[56:57]
	s_delay_alu instid0(VALU_DEP_2) | instskip(NEXT) | instid1(VALU_DEP_2)
	v_fma_f64 v[50:51], v[50:51], v[54:55], -v[58:59]
	v_fmac_f64_e32 v[48:49], v[52:53], v[54:55]
	s_cbranch_vccnz .LBB106_43
; %bb.42:                               ;   in Loop: Header=BB106_41 Depth=1
	s_delay_alu instid0(VALU_DEP_2) | instskip(NEXT) | instid1(VALU_DEP_2)
	v_mul_f64_e32 v[54:55], s[10:11], v[50:51]
	v_mul_f64_e32 v[52:53], s[10:11], v[48:49]
	s_delay_alu instid0(VALU_DEP_2) | instskip(NEXT) | instid1(VALU_DEP_2)
	v_fmac_f64_e32 v[54:55], s[8:9], v[48:49]
	v_fma_f64 v[50:51], s[8:9], v[50:51], -v[52:53]
	s_delay_alu instid0(VALU_DEP_2)
	v_mov_b64_e32 v[48:49], v[54:55]
.LBB106_43:                             ;   in Loop: Header=BB106_41 Depth=1
	s_wait_loadcnt 0x8
	v_mul_f64_e32 v[52:53], v[36:37], v[40:41]
	v_mul_f64_e32 v[40:41], v[34:35], v[40:41]
	s_and_not1_b32 vcc_lo, exec_lo, s4
	s_delay_alu instid0(VALU_DEP_2) | instskip(NEXT) | instid1(VALU_DEP_2)
	v_fma_f64 v[34:35], v[34:35], v[38:39], -v[52:53]
	v_fmac_f64_e32 v[40:41], v[36:37], v[38:39]
	s_cbranch_vccnz .LBB106_45
; %bb.44:                               ;   in Loop: Header=BB106_41 Depth=1
	s_delay_alu instid0(VALU_DEP_2) | instskip(NEXT) | instid1(VALU_DEP_2)
	v_mul_f64_e32 v[38:39], s[10:11], v[34:35]
	v_mul_f64_e32 v[36:37], s[10:11], v[40:41]
	s_delay_alu instid0(VALU_DEP_2) | instskip(NEXT) | instid1(VALU_DEP_2)
	v_fmac_f64_e32 v[38:39], s[8:9], v[40:41]
	v_fma_f64 v[34:35], s[8:9], v[34:35], -v[36:37]
	s_delay_alu instid0(VALU_DEP_2)
	v_mov_b64_e32 v[40:41], v[38:39]
.LBB106_45:                             ;   in Loop: Header=BB106_41 Depth=1
	s_wait_loadcnt 0x0
	v_mul_f64_e32 v[36:37], v[28:29], v[32:33]
	v_mul_f64_e32 v[32:33], v[26:27], v[32:33]
	s_and_not1_b32 vcc_lo, exec_lo, s4
	s_delay_alu instid0(VALU_DEP_2) | instskip(NEXT) | instid1(VALU_DEP_2)
	v_fma_f64 v[26:27], v[26:27], v[30:31], -v[36:37]
	v_fmac_f64_e32 v[32:33], v[28:29], v[30:31]
	s_cbranch_vccnz .LBB106_47
; %bb.46:                               ;   in Loop: Header=BB106_41 Depth=1
	s_delay_alu instid0(VALU_DEP_2) | instskip(NEXT) | instid1(VALU_DEP_2)
	v_mul_f64_e32 v[30:31], s[10:11], v[26:27]
	v_mul_f64_e32 v[28:29], s[10:11], v[32:33]
	s_delay_alu instid0(VALU_DEP_2) | instskip(NEXT) | instid1(VALU_DEP_2)
	v_fmac_f64_e32 v[30:31], s[8:9], v[32:33]
	v_fma_f64 v[26:27], s[8:9], v[26:27], -v[28:29]
	s_delay_alu instid0(VALU_DEP_2)
	v_mov_b64_e32 v[32:33], v[30:31]
.LBB106_47:                             ;   in Loop: Header=BB106_41 Depth=1
	v_mul_f64_e32 v[28:29], v[20:21], v[24:25]
	v_mul_f64_e32 v[24:25], v[18:19], v[24:25]
	s_and_not1_b32 vcc_lo, exec_lo, s4
	s_delay_alu instid0(VALU_DEP_2) | instskip(NEXT) | instid1(VALU_DEP_2)
	v_fma_f64 v[18:19], v[18:19], v[22:23], -v[28:29]
	v_fmac_f64_e32 v[24:25], v[20:21], v[22:23]
	s_cbranch_vccnz .LBB106_40
; %bb.48:                               ;   in Loop: Header=BB106_41 Depth=1
	s_delay_alu instid0(VALU_DEP_2) | instskip(NEXT) | instid1(VALU_DEP_2)
	v_mul_f64_e32 v[22:23], s[10:11], v[18:19]
	v_mul_f64_e32 v[20:21], s[10:11], v[24:25]
	s_delay_alu instid0(VALU_DEP_2) | instskip(NEXT) | instid1(VALU_DEP_2)
	v_fmac_f64_e32 v[22:23], s[8:9], v[24:25]
	v_fma_f64 v[18:19], s[8:9], v[18:19], -v[20:21]
	s_delay_alu instid0(VALU_DEP_2)
	v_mov_b64_e32 v[24:25], v[22:23]
	s_branch .LBB106_40
.LBB106_49:
	s_endpgm
	.section	.rodata,"a",@progbits
	.p2align	6, 0x0
	.amdhsa_kernel _ZN2at6native12_GLOBAL__N_125multi_tensor_apply_kernelINS1_28TensorListScalarListMetadataIN3c107complexIdEELi3EEENS1_28PointwiseOpScalarListFunctorIS6_Li3ELi3ELi0EEEJSt10multipliesIS6_EEEEvT_T0_DpT1_
		.amdhsa_group_segment_fixed_size 0
		.amdhsa_private_segment_fixed_size 0
		.amdhsa_kernarg_size 4168
		.amdhsa_user_sgpr_count 2
		.amdhsa_user_sgpr_dispatch_ptr 0
		.amdhsa_user_sgpr_queue_ptr 0
		.amdhsa_user_sgpr_kernarg_segment_ptr 1
		.amdhsa_user_sgpr_dispatch_id 0
		.amdhsa_user_sgpr_kernarg_preload_length 0
		.amdhsa_user_sgpr_kernarg_preload_offset 0
		.amdhsa_user_sgpr_private_segment_size 0
		.amdhsa_wavefront_size32 1
		.amdhsa_uses_dynamic_stack 0
		.amdhsa_enable_private_segment 0
		.amdhsa_system_sgpr_workgroup_id_x 1
		.amdhsa_system_sgpr_workgroup_id_y 0
		.amdhsa_system_sgpr_workgroup_id_z 0
		.amdhsa_system_sgpr_workgroup_info 0
		.amdhsa_system_vgpr_workitem_id 0
		.amdhsa_next_free_vgpr 62
		.amdhsa_next_free_sgpr 30
		.amdhsa_named_barrier_count 0
		.amdhsa_reserve_vcc 1
		.amdhsa_float_round_mode_32 0
		.amdhsa_float_round_mode_16_64 0
		.amdhsa_float_denorm_mode_32 3
		.amdhsa_float_denorm_mode_16_64 3
		.amdhsa_fp16_overflow 0
		.amdhsa_memory_ordered 1
		.amdhsa_forward_progress 1
		.amdhsa_inst_pref_size 17
		.amdhsa_round_robin_scheduling 0
		.amdhsa_exception_fp_ieee_invalid_op 0
		.amdhsa_exception_fp_denorm_src 0
		.amdhsa_exception_fp_ieee_div_zero 0
		.amdhsa_exception_fp_ieee_overflow 0
		.amdhsa_exception_fp_ieee_underflow 0
		.amdhsa_exception_fp_ieee_inexact 0
		.amdhsa_exception_int_div_zero 0
	.end_amdhsa_kernel
	.section	.text._ZN2at6native12_GLOBAL__N_125multi_tensor_apply_kernelINS1_28TensorListScalarListMetadataIN3c107complexIdEELi3EEENS1_28PointwiseOpScalarListFunctorIS6_Li3ELi3ELi0EEEJSt10multipliesIS6_EEEEvT_T0_DpT1_,"axG",@progbits,_ZN2at6native12_GLOBAL__N_125multi_tensor_apply_kernelINS1_28TensorListScalarListMetadataIN3c107complexIdEELi3EEENS1_28PointwiseOpScalarListFunctorIS6_Li3ELi3ELi0EEEJSt10multipliesIS6_EEEEvT_T0_DpT1_,comdat
.Lfunc_end106:
	.size	_ZN2at6native12_GLOBAL__N_125multi_tensor_apply_kernelINS1_28TensorListScalarListMetadataIN3c107complexIdEELi3EEENS1_28PointwiseOpScalarListFunctorIS6_Li3ELi3ELi0EEEJSt10multipliesIS6_EEEEvT_T0_DpT1_, .Lfunc_end106-_ZN2at6native12_GLOBAL__N_125multi_tensor_apply_kernelINS1_28TensorListScalarListMetadataIN3c107complexIdEELi3EEENS1_28PointwiseOpScalarListFunctorIS6_Li3ELi3ELi0EEEJSt10multipliesIS6_EEEEvT_T0_DpT1_
                                        ; -- End function
	.set _ZN2at6native12_GLOBAL__N_125multi_tensor_apply_kernelINS1_28TensorListScalarListMetadataIN3c107complexIdEELi3EEENS1_28PointwiseOpScalarListFunctorIS6_Li3ELi3ELi0EEEJSt10multipliesIS6_EEEEvT_T0_DpT1_.num_vgpr, 62
	.set _ZN2at6native12_GLOBAL__N_125multi_tensor_apply_kernelINS1_28TensorListScalarListMetadataIN3c107complexIdEELi3EEENS1_28PointwiseOpScalarListFunctorIS6_Li3ELi3ELi0EEEJSt10multipliesIS6_EEEEvT_T0_DpT1_.num_agpr, 0
	.set _ZN2at6native12_GLOBAL__N_125multi_tensor_apply_kernelINS1_28TensorListScalarListMetadataIN3c107complexIdEELi3EEENS1_28PointwiseOpScalarListFunctorIS6_Li3ELi3ELi0EEEJSt10multipliesIS6_EEEEvT_T0_DpT1_.numbered_sgpr, 30
	.set _ZN2at6native12_GLOBAL__N_125multi_tensor_apply_kernelINS1_28TensorListScalarListMetadataIN3c107complexIdEELi3EEENS1_28PointwiseOpScalarListFunctorIS6_Li3ELi3ELi0EEEJSt10multipliesIS6_EEEEvT_T0_DpT1_.num_named_barrier, 0
	.set _ZN2at6native12_GLOBAL__N_125multi_tensor_apply_kernelINS1_28TensorListScalarListMetadataIN3c107complexIdEELi3EEENS1_28PointwiseOpScalarListFunctorIS6_Li3ELi3ELi0EEEJSt10multipliesIS6_EEEEvT_T0_DpT1_.private_seg_size, 0
	.set _ZN2at6native12_GLOBAL__N_125multi_tensor_apply_kernelINS1_28TensorListScalarListMetadataIN3c107complexIdEELi3EEENS1_28PointwiseOpScalarListFunctorIS6_Li3ELi3ELi0EEEJSt10multipliesIS6_EEEEvT_T0_DpT1_.uses_vcc, 1
	.set _ZN2at6native12_GLOBAL__N_125multi_tensor_apply_kernelINS1_28TensorListScalarListMetadataIN3c107complexIdEELi3EEENS1_28PointwiseOpScalarListFunctorIS6_Li3ELi3ELi0EEEJSt10multipliesIS6_EEEEvT_T0_DpT1_.uses_flat_scratch, 0
	.set _ZN2at6native12_GLOBAL__N_125multi_tensor_apply_kernelINS1_28TensorListScalarListMetadataIN3c107complexIdEELi3EEENS1_28PointwiseOpScalarListFunctorIS6_Li3ELi3ELi0EEEJSt10multipliesIS6_EEEEvT_T0_DpT1_.has_dyn_sized_stack, 0
	.set _ZN2at6native12_GLOBAL__N_125multi_tensor_apply_kernelINS1_28TensorListScalarListMetadataIN3c107complexIdEELi3EEENS1_28PointwiseOpScalarListFunctorIS6_Li3ELi3ELi0EEEJSt10multipliesIS6_EEEEvT_T0_DpT1_.has_recursion, 0
	.set _ZN2at6native12_GLOBAL__N_125multi_tensor_apply_kernelINS1_28TensorListScalarListMetadataIN3c107complexIdEELi3EEENS1_28PointwiseOpScalarListFunctorIS6_Li3ELi3ELi0EEEJSt10multipliesIS6_EEEEvT_T0_DpT1_.has_indirect_call, 0
	.section	.AMDGPU.csdata,"",@progbits
; Kernel info:
; codeLenInByte = 2140
; TotalNumSgprs: 32
; NumVgprs: 62
; ScratchSize: 0
; MemoryBound: 1
; FloatMode: 240
; IeeeMode: 1
; LDSByteSize: 0 bytes/workgroup (compile time only)
; SGPRBlocks: 0
; VGPRBlocks: 3
; NumSGPRsForWavesPerEU: 32
; NumVGPRsForWavesPerEU: 62
; NamedBarCnt: 0
; Occupancy: 16
; WaveLimiterHint : 0
; COMPUTE_PGM_RSRC2:SCRATCH_EN: 0
; COMPUTE_PGM_RSRC2:USER_SGPR: 2
; COMPUTE_PGM_RSRC2:TRAP_HANDLER: 0
; COMPUTE_PGM_RSRC2:TGID_X_EN: 1
; COMPUTE_PGM_RSRC2:TGID_Y_EN: 0
; COMPUTE_PGM_RSRC2:TGID_Z_EN: 0
; COMPUTE_PGM_RSRC2:TIDIG_COMP_CNT: 0
	.section	.text._ZN2at6native12_GLOBAL__N_125multi_tensor_apply_kernelINS1_28TensorListScalarListMetadataIN3c107complexIfEELi3EEENS1_28PointwiseOpScalarListFunctorIS6_Li3ELi3ELi0EEEJSt10multipliesIS6_EEEEvT_T0_DpT1_,"axG",@progbits,_ZN2at6native12_GLOBAL__N_125multi_tensor_apply_kernelINS1_28TensorListScalarListMetadataIN3c107complexIfEELi3EEENS1_28PointwiseOpScalarListFunctorIS6_Li3ELi3ELi0EEEJSt10multipliesIS6_EEEEvT_T0_DpT1_,comdat
	.globl	_ZN2at6native12_GLOBAL__N_125multi_tensor_apply_kernelINS1_28TensorListScalarListMetadataIN3c107complexIfEELi3EEENS1_28PointwiseOpScalarListFunctorIS6_Li3ELi3ELi0EEEJSt10multipliesIS6_EEEEvT_T0_DpT1_ ; -- Begin function _ZN2at6native12_GLOBAL__N_125multi_tensor_apply_kernelINS1_28TensorListScalarListMetadataIN3c107complexIfEELi3EEENS1_28PointwiseOpScalarListFunctorIS6_Li3ELi3ELi0EEEJSt10multipliesIS6_EEEEvT_T0_DpT1_
	.p2align	8
	.type	_ZN2at6native12_GLOBAL__N_125multi_tensor_apply_kernelINS1_28TensorListScalarListMetadataIN3c107complexIfEELi3EEENS1_28PointwiseOpScalarListFunctorIS6_Li3ELi3ELi0EEEJSt10multipliesIS6_EEEEvT_T0_DpT1_,@function
_ZN2at6native12_GLOBAL__N_125multi_tensor_apply_kernelINS1_28TensorListScalarListMetadataIN3c107complexIfEELi3EEENS1_28PointwiseOpScalarListFunctorIS6_Li3ELi3ELi0EEEJSt10multipliesIS6_EEEEvT_T0_DpT1_: ; @_ZN2at6native12_GLOBAL__N_125multi_tensor_apply_kernelINS1_28TensorListScalarListMetadataIN3c107complexIfEELi3EEENS1_28PointwiseOpScalarListFunctorIS6_Li3ELi3ELi0EEEJSt10multipliesIS6_EEEEvT_T0_DpT1_
; %bb.0:
	s_bfe_u32 s2, ttmp6, 0x4000c
	s_and_b32 s3, ttmp6, 15
	s_add_co_i32 s2, s2, 1
	s_getreg_b32 s4, hwreg(HW_REG_IB_STS2, 6, 4)
	s_mul_i32 s2, ttmp9, s2
	s_delay_alu instid0(SALU_CYCLE_1)
	s_add_co_i32 s3, s3, s2
	s_cmp_eq_u32 s4, 0
	s_cselect_b32 s2, ttmp9, s3
	s_mov_b32 s3, 0
	s_load_u8 s8, s[0:1], s2 offset:0x780
	s_add_nc_u64 s[4:5], s[0:1], s[2:3]
	s_mul_u64 s[6:7], s[2:3], 3
	s_delay_alu instid0(SALU_CYCLE_1)
	s_add_nc_u64 s[6:7], s[4:5], s[6:7]
	s_load_b32 s16, s[6:7], 0x8c0
	s_wait_kmcnt 0x0
	s_clause 0x4
	s_load_b64 s[4:5], s[0:1], s8 offset:0x180 scale_offset
	s_load_b64 s[20:21], s[0:1], s8 offset:0x300 scale_offset
	;; [unrolled: 1-line block ×5, first 2 shown]
	s_ashr_i32 s17, s16, 31
	s_delay_alu instid0(SALU_CYCLE_1)
	s_lshl_b64 s[14:15], s[16:17], 19
	s_wait_kmcnt 0x0
	s_add_nc_u64 s[6:7], s[4:5], s[14:15]
	s_add_nc_u64 s[8:9], s[20:21], s[14:15]
	;; [unrolled: 1-line block ×3, first 2 shown]
	s_or_b32 s2, s8, s6
	s_and_b64 s[24:25], s[10:11], 31
	s_and_b32 s2, s2, 31
	s_delay_alu instid0(SALU_CYCLE_1)
	s_cmp_eq_u32 s2, 0
	s_cselect_b32 s26, -1, 0
	s_and_b32 s2, s18, 3
	s_lshl_b64 s[16:17], s[16:17], 16
	s_or_b64 s[2:3], s[24:25], s[2:3]
	s_sub_nc_u64 s[16:17], s[18:19], s[16:17]
	s_cmp_eq_u64 s[2:3], 0
	s_cselect_b32 s2, -1, 0
	s_delay_alu instid0(SALU_CYCLE_1) | instskip(NEXT) | instid1(SALU_CYCLE_1)
	s_and_b32 s2, s26, s2
	s_and_b32 vcc_lo, exec_lo, s2
	s_mov_b32 s2, -1
	s_cbranch_vccnz .LBB107_29
; %bb.1:
	v_cmp_lt_i64_e64 s2, s[16:17], 1
	s_and_b32 vcc_lo, exec_lo, s2
	s_cbranch_vccnz .LBB107_28
; %bb.2:
	s_load_b32 s2, s[0:1], 0xdd4
	v_min_i64 v[2:3], 0x10000, s[16:17]
	v_min_u64 v[4:5], 0x10000, s[16:17]
	v_dual_mov_b32 v1, 0 :: v_dual_lshlrev_b32 v18, 3, v0
	s_and_b32 s18, s13, 0x7fffffff
	s_mov_b32 s25, 0
	s_delay_alu instid0(VALU_DEP_1) | instskip(SKIP_3) | instid1(VALU_DEP_1)
	v_dual_mov_b32 v19, v1 :: v_dual_mov_b32 v35, v1
	s_mov_b32 s3, s25
	s_mov_b32 s29, s25
	;; [unrolled: 1-line block ×3, first 2 shown]
	v_add_nc_u64_e32 v[6:7], s[22:23], v[18:19]
	v_add_nc_u64_e32 v[8:9], s[4:5], v[18:19]
	;; [unrolled: 1-line block ×3, first 2 shown]
	s_mov_b32 s19, s25
	s_wait_kmcnt 0x0
	s_and_b32 s24, s2, 0xffff
	s_delay_alu instid0(SALU_CYCLE_1)
	s_lshl_b32 s2, s24, 1
	s_cmp_eq_u32 s18, 0
	v_add_nc_u64_e32 v[12:13], s[24:25], v[0:1]
	s_cselect_b32 s30, -1, 0
	s_cmp_eq_f32 s12, 1.0
	v_mad_nc_u64_u32 v[22:23], s24, 24, v[18:19]
	v_add_nc_u64_e32 v[16:17], s[2:3], v[0:1]
	s_mul_i32 s26, s24, 3
	s_cselect_b32 s2, -1, 0
	s_lshl_b32 s28, s24, 4
	v_lshlrev_b32_e32 v34, 3, v12
	v_add_nc_u64_e32 v[30:31], s[28:29], v[18:19]
	v_add_nc_u64_e32 v[14:15], s[26:27], v[0:1]
	s_lshl_b32 s18, s24, 2
	s_and_b32 s2, s2, s30
	v_add_nc_u64_e32 v[24:25], s[22:23], v[34:35]
	v_add_nc_u64_e32 v[18:19], s[22:23], v[22:23]
	;; [unrolled: 1-line block ×9, first 2 shown]
	s_mov_b32 s20, s13
	s_mov_b32 s21, s12
	s_lshl_b32 s22, s24, 5
	s_mov_b32 s23, s25
	s_mov_b64 s[24:25], 0
	s_branch .LBB107_4
.LBB107_3:                              ;   in Loop: Header=BB107_4 Depth=1
	s_wait_xcnt 0x0
	s_or_b32 exec_lo, exec_lo, s3
	s_add_nc_u64 s[24:25], s[24:25], s[18:19]
	v_add_nc_u64_e32 v[6:7], s[22:23], v[6:7]
	v_cmp_lt_i64_e32 vcc_lo, s[24:25], v[2:3]
	v_add_nc_u64_e32 v[8:9], s[22:23], v[8:9]
	v_add_nc_u64_e32 v[10:11], s[22:23], v[10:11]
	;; [unrolled: 1-line block ×11, first 2 shown]
	s_cbranch_vccz .LBB107_28
.LBB107_4:                              ; =>This Inner Loop Header: Depth=1
	s_wait_loadcnt 0x1
	v_add_nc_u64_e32 v[36:37], s[24:25], v[0:1]
	s_wait_loadcnt 0x0
	v_dual_mov_b32 v41, 0 :: v_dual_mov_b32 v40, 0
	s_delay_alu instid0(VALU_DEP_2)
	v_cmp_lt_u64_e32 vcc_lo, v[36:37], v[4:5]
	v_dual_mov_b32 v36, 0 :: v_dual_mov_b32 v37, 0
	s_and_saveexec_b32 s3, vcc_lo
	s_cbranch_execz .LBB107_6
; %bb.5:                                ;   in Loop: Header=BB107_4 Depth=1
	v_add_nc_u64_e32 v[38:39], s[14:15], v[6:7]
	v_add_nc_u64_e32 v[42:43], s[14:15], v[8:9]
	global_load_b64 v[36:37], v[38:39], off
	global_load_b64 v[40:41], v[42:43], off
.LBB107_6:                              ;   in Loop: Header=BB107_4 Depth=1
	s_wait_xcnt 0x0
	s_or_b32 exec_lo, exec_lo, s3
	v_dual_mov_b32 v39, 0 :: v_dual_mov_b32 v50, 0
	v_mov_b32_e32 v51, 0
	s_and_saveexec_b32 s3, vcc_lo
	s_cbranch_execz .LBB107_8
; %bb.7:                                ;   in Loop: Header=BB107_4 Depth=1
	v_add_nc_u64_e32 v[42:43], s[14:15], v[10:11]
	global_load_b64 v[50:51], v[42:43], off
.LBB107_8:                              ;   in Loop: Header=BB107_4 Depth=1
	s_wait_xcnt 0x0
	s_or_b32 exec_lo, exec_lo, s3
	v_add_nc_u64_e32 v[42:43], s[24:25], v[12:13]
	v_mov_b32_e32 v38, 0
	s_delay_alu instid0(VALU_DEP_2)
	v_cmp_lt_u64_e64 s3, v[42:43], v[4:5]
	v_dual_mov_b32 v42, 0 :: v_dual_mov_b32 v43, 0
	s_and_saveexec_b32 s4, s3
	s_cbranch_execz .LBB107_10
; %bb.9:                                ;   in Loop: Header=BB107_4 Depth=1
	v_add_nc_u64_e32 v[44:45], s[14:15], v[24:25]
	v_add_nc_u64_e32 v[46:47], s[14:15], v[32:33]
	global_load_b64 v[42:43], v[44:45], off
	global_load_b64 v[38:39], v[46:47], off
.LBB107_10:                             ;   in Loop: Header=BB107_4 Depth=1
	s_wait_xcnt 0x0
	s_or_b32 exec_lo, exec_lo, s4
	v_dual_mov_b32 v45, 0 :: v_dual_mov_b32 v54, 0
	v_mov_b32_e32 v55, 0
	s_and_saveexec_b32 s4, s3
	s_cbranch_execz .LBB107_12
; %bb.11:                               ;   in Loop: Header=BB107_4 Depth=1
	v_add_nc_u64_e32 v[46:47], s[14:15], v[34:35]
	global_load_b64 v[54:55], v[46:47], off
.LBB107_12:                             ;   in Loop: Header=BB107_4 Depth=1
	s_wait_xcnt 0x0
	s_or_b32 exec_lo, exec_lo, s4
	v_add_nc_u64_e32 v[46:47], s[24:25], v[16:17]
	v_mov_b32_e32 v44, 0
	s_delay_alu instid0(VALU_DEP_2)
	v_cmp_lt_u64_e64 s4, v[46:47], v[4:5]
	v_dual_mov_b32 v46, 0 :: v_dual_mov_b32 v47, 0
	s_and_saveexec_b32 s5, s4
	s_cbranch_execz .LBB107_14
; %bb.13:                               ;   in Loop: Header=BB107_4 Depth=1
	v_add_nc_u64_e32 v[48:49], s[14:15], v[26:27]
	v_add_nc_u64_e32 v[52:53], s[14:15], v[28:29]
	global_load_b64 v[46:47], v[48:49], off
	global_load_b64 v[44:45], v[52:53], off
.LBB107_14:                             ;   in Loop: Header=BB107_4 Depth=1
	s_wait_xcnt 0x0
	s_or_b32 exec_lo, exec_lo, s5
	v_dual_mov_b32 v49, 0 :: v_dual_mov_b32 v56, 0
	v_mov_b32_e32 v57, 0
	s_and_saveexec_b32 s5, s4
	s_cbranch_execz .LBB107_16
; %bb.15:                               ;   in Loop: Header=BB107_4 Depth=1
	v_add_nc_u64_e32 v[52:53], s[14:15], v[30:31]
	global_load_b64 v[56:57], v[52:53], off
.LBB107_16:                             ;   in Loop: Header=BB107_4 Depth=1
	s_wait_xcnt 0x0
	s_or_b32 exec_lo, exec_lo, s5
	v_add_nc_u64_e32 v[52:53], s[24:25], v[14:15]
	v_mov_b32_e32 v48, 0
	s_delay_alu instid0(VALU_DEP_2)
	v_cmp_lt_u64_e64 s5, v[52:53], v[4:5]
	v_dual_mov_b32 v52, 0 :: v_dual_mov_b32 v53, 0
	s_and_saveexec_b32 s26, s5
	s_cbranch_execz .LBB107_18
; %bb.17:                               ;   in Loop: Header=BB107_4 Depth=1
	v_add_nc_u64_e32 v[58:59], s[14:15], v[18:19]
	v_add_nc_u64_e32 v[60:61], s[14:15], v[20:21]
	global_load_b64 v[52:53], v[58:59], off
	global_load_b64 v[48:49], v[60:61], off
.LBB107_18:                             ;   in Loop: Header=BB107_4 Depth=1
	s_wait_xcnt 0x0
	s_or_b32 exec_lo, exec_lo, s26
	v_dual_mov_b32 v58, 0 :: v_dual_mov_b32 v59, 0
	s_and_saveexec_b32 s26, s5
	s_cbranch_execnz .LBB107_23
; %bb.19:                               ;   in Loop: Header=BB107_4 Depth=1
	s_or_b32 exec_lo, exec_lo, s26
	s_and_saveexec_b32 s26, vcc_lo
	s_cbranch_execnz .LBB107_24
.LBB107_20:                             ;   in Loop: Header=BB107_4 Depth=1
	s_or_b32 exec_lo, exec_lo, s26
	s_and_saveexec_b32 s26, s3
	s_cbranch_execnz .LBB107_25
.LBB107_21:                             ;   in Loop: Header=BB107_4 Depth=1
	s_or_b32 exec_lo, exec_lo, s26
	s_and_saveexec_b32 s3, s4
	s_cbranch_execnz .LBB107_26
.LBB107_22:                             ;   in Loop: Header=BB107_4 Depth=1
	s_or_b32 exec_lo, exec_lo, s3
	s_and_saveexec_b32 s3, s5
	s_cbranch_execz .LBB107_3
	s_branch .LBB107_27
.LBB107_23:                             ;   in Loop: Header=BB107_4 Depth=1
	v_add_nc_u64_e32 v[58:59], s[14:15], v[22:23]
	global_load_b64 v[58:59], v[58:59], off
	s_wait_xcnt 0x0
	s_or_b32 exec_lo, exec_lo, s26
	s_and_saveexec_b32 s26, vcc_lo
	s_cbranch_execz .LBB107_20
.LBB107_24:                             ;   in Loop: Header=BB107_4 Depth=1
	s_wait_loadcnt 0x0
	v_dual_mov_b32 v60, v41 :: v_dual_mov_b32 v62, v51
	v_mov_b32_e32 v63, v50
	v_mov_b64_e32 v[66:67], s[12:13]
	s_delay_alu instid0(VALU_DEP_2) | instskip(SKIP_1) | instid1(VALU_DEP_2)
	v_pk_mul_f32 v[60:61], v[60:61], v[62:63] op_sel_hi:[0,1]
	v_mov_b64_e32 v[62:63], s[20:21]
	v_pk_fma_f32 v[64:65], v[40:41], v[50:51], v[60:61] op_sel_hi:[0,1,1]
	v_pk_fma_f32 v[40:41], v[40:41], v[50:51], v[60:61] op_sel_hi:[0,1,1] neg_lo:[0,0,1] neg_hi:[0,0,1]
	s_delay_alu instid0(VALU_DEP_2) | instskip(NEXT) | instid1(VALU_DEP_1)
	v_pk_mul_f32 v[50:51], v[64:65], v[62:63] op_sel:[1,0]
	v_pk_fma_f32 v[60:61], v[40:41], v[66:67], v[50:51] op_sel_hi:[0,1,1]
	v_pk_fma_f32 v[50:51], v[40:41], v[66:67], v[50:51] neg_lo:[0,0,1] neg_hi:[0,0,1]
	s_delay_alu instid0(VALU_DEP_1) | instskip(SKIP_1) | instid1(VALU_DEP_2)
	v_dual_cndmask_b32 v41, v61, v65, s2 :: v_dual_cndmask_b32 v40, v50, v40, s2
	v_add_nc_u64_e32 v[50:51], s[14:15], v[6:7]
	v_pk_add_f32 v[36:37], v[36:37], v[40:41]
	global_store_b64 v[50:51], v[36:37], off
	s_wait_xcnt 0x0
	s_or_b32 exec_lo, exec_lo, s26
	s_and_saveexec_b32 s26, s3
	s_cbranch_execz .LBB107_21
.LBB107_25:                             ;   in Loop: Header=BB107_4 Depth=1
	s_wait_loadcnt 0x0
	v_dual_mov_b32 v36, v39 :: v_dual_mov_b32 v40, v55
	v_mov_b32_e32 v41, v54
	v_mov_b64_e32 v[60:61], s[12:13]
	s_delay_alu instid0(VALU_DEP_2) | instskip(SKIP_1) | instid1(VALU_DEP_2)
	v_pk_mul_f32 v[36:37], v[36:37], v[40:41] op_sel_hi:[0,1]
	v_mov_b64_e32 v[40:41], s[20:21]
	v_pk_fma_f32 v[50:51], v[38:39], v[54:55], v[36:37] op_sel_hi:[0,1,1]
	v_pk_fma_f32 v[36:37], v[38:39], v[54:55], v[36:37] op_sel_hi:[0,1,1] neg_lo:[0,0,1] neg_hi:[0,0,1]
	s_delay_alu instid0(VALU_DEP_2) | instskip(NEXT) | instid1(VALU_DEP_1)
	v_pk_mul_f32 v[38:39], v[50:51], v[40:41] op_sel:[1,0]
	v_pk_fma_f32 v[40:41], v[36:37], v[60:61], v[38:39] op_sel_hi:[0,1,1]
	v_pk_fma_f32 v[38:39], v[36:37], v[60:61], v[38:39] neg_lo:[0,0,1] neg_hi:[0,0,1]
	s_delay_alu instid0(VALU_DEP_1) | instskip(SKIP_1) | instid1(VALU_DEP_2)
	v_dual_cndmask_b32 v37, v41, v51, s2 :: v_dual_cndmask_b32 v36, v38, v36, s2
	v_add_nc_u64_e32 v[38:39], s[14:15], v[24:25]
	v_pk_add_f32 v[36:37], v[42:43], v[36:37]
	global_store_b64 v[38:39], v[36:37], off
	s_wait_xcnt 0x0
	s_or_b32 exec_lo, exec_lo, s26
	s_and_saveexec_b32 s3, s4
	s_cbranch_execz .LBB107_22
.LBB107_26:                             ;   in Loop: Header=BB107_4 Depth=1
	s_wait_loadcnt 0x0
	v_dual_mov_b32 v36, v45 :: v_dual_mov_b32 v38, v57
	v_mov_b32_e32 v39, v56
	v_mov_b64_e32 v[42:43], s[12:13]
	s_delay_alu instid0(VALU_DEP_2) | instskip(SKIP_1) | instid1(VALU_DEP_2)
	v_pk_mul_f32 v[36:37], v[36:37], v[38:39] op_sel_hi:[0,1]
	v_mov_b64_e32 v[38:39], s[20:21]
	v_pk_fma_f32 v[40:41], v[44:45], v[56:57], v[36:37] op_sel_hi:[0,1,1]
	v_pk_fma_f32 v[36:37], v[44:45], v[56:57], v[36:37] op_sel_hi:[0,1,1] neg_lo:[0,0,1] neg_hi:[0,0,1]
	s_delay_alu instid0(VALU_DEP_2) | instskip(NEXT) | instid1(VALU_DEP_1)
	v_pk_mul_f32 v[38:39], v[40:41], v[38:39] op_sel:[1,0]
	v_pk_fma_f32 v[44:45], v[36:37], v[42:43], v[38:39] op_sel_hi:[0,1,1]
	v_pk_fma_f32 v[38:39], v[36:37], v[42:43], v[38:39] neg_lo:[0,0,1] neg_hi:[0,0,1]
	s_delay_alu instid0(VALU_DEP_1) | instskip(SKIP_1) | instid1(VALU_DEP_2)
	v_dual_cndmask_b32 v37, v45, v41, s2 :: v_dual_cndmask_b32 v36, v38, v36, s2
	v_add_nc_u64_e32 v[38:39], s[14:15], v[26:27]
	v_pk_add_f32 v[36:37], v[46:47], v[36:37]
	global_store_b64 v[38:39], v[36:37], off
	s_wait_xcnt 0x0
	s_or_b32 exec_lo, exec_lo, s3
	s_and_saveexec_b32 s3, s5
	s_cbranch_execz .LBB107_3
.LBB107_27:                             ;   in Loop: Header=BB107_4 Depth=1
	s_wait_loadcnt 0x0
	v_dual_mov_b32 v36, v49 :: v_dual_mov_b32 v38, v59
	v_mov_b32_e32 v39, v58
	v_mov_b64_e32 v[42:43], s[12:13]
	s_delay_alu instid0(VALU_DEP_2) | instskip(SKIP_1) | instid1(VALU_DEP_2)
	v_pk_mul_f32 v[36:37], v[36:37], v[38:39] op_sel_hi:[0,1]
	v_mov_b64_e32 v[38:39], s[20:21]
	v_pk_fma_f32 v[40:41], v[48:49], v[58:59], v[36:37] op_sel_hi:[0,1,1]
	v_pk_fma_f32 v[36:37], v[48:49], v[58:59], v[36:37] op_sel_hi:[0,1,1] neg_lo:[0,0,1] neg_hi:[0,0,1]
	s_delay_alu instid0(VALU_DEP_2) | instskip(NEXT) | instid1(VALU_DEP_1)
	v_pk_mul_f32 v[38:39], v[40:41], v[38:39] op_sel:[1,0]
	v_pk_fma_f32 v[44:45], v[36:37], v[42:43], v[38:39] op_sel_hi:[0,1,1]
	v_pk_fma_f32 v[38:39], v[36:37], v[42:43], v[38:39] neg_lo:[0,0,1] neg_hi:[0,0,1]
	s_delay_alu instid0(VALU_DEP_1) | instskip(SKIP_1) | instid1(VALU_DEP_2)
	v_dual_cndmask_b32 v37, v45, v41, s2 :: v_dual_cndmask_b32 v36, v38, v36, s2
	v_add_nc_u64_e32 v[38:39], s[14:15], v[18:19]
	v_pk_add_f32 v[36:37], v[52:53], v[36:37]
	global_store_b64 v[38:39], v[36:37], off
	s_branch .LBB107_3
.LBB107_28:
	s_mov_b32 s2, 0
.LBB107_29:
	s_delay_alu instid0(SALU_CYCLE_1)
	s_and_not1_b32 vcc_lo, exec_lo, s2
	s_cbranch_vccnz .LBB107_33
; %bb.30:
	v_min_i64 v[2:3], 0x10000, s[16:17]
	v_dual_mov_b32 v5, 0 :: v_dual_lshlrev_b32 v4, 2, v0
	s_mov_b32 s2, exec_lo
	s_delay_alu instid0(VALU_DEP_1)
	v_cmpx_lt_i64_e64 v[4:5], v[2:3]
	s_cbranch_execz .LBB107_33
; %bb.31:
	s_load_b32 s2, s[0:1], 0xdd4
	s_cmp_eq_f32 s12, 1.0
	s_wait_xcnt 0x0
	s_mov_b32 s0, s13
	s_mov_b32 s1, s12
	v_mov_b64_e32 v[6:7], s[12:13]
	s_cselect_b32 s4, -1, 0
	s_and_b32 s12, s13, 0x7fffffff
	v_mov_b64_e32 v[8:9], s[0:1]
	s_cmp_eq_u32 s12, 0
	v_dual_mov_b32 v1, v5 :: v_dual_lshlrev_b32 v4, 5, v0
	s_mov_b32 s3, 0
	s_cselect_b32 s0, -1, 0
	s_mov_b32 s5, s3
	s_and_b32 vcc_lo, s4, s0
	s_mov_b32 s1, s3
	s_wait_kmcnt 0x0
	s_and_b32 s2, s2, 0xffff
	s_delay_alu instid0(SALU_CYCLE_1)
	s_lshl_b32 s4, s2, 5
.LBB107_32:                             ; =>This Inner Loop Header: Depth=1
	v_add_nc_u64_e32 v[26:27], s[6:7], v[4:5]
	v_add_nc_u64_e32 v[28:29], s[8:9], v[4:5]
	;; [unrolled: 1-line block ×4, first 2 shown]
	s_add_nc_u64 s[8:9], s[8:9], s[4:5]
	s_add_nc_u64 s[10:11], s[10:11], s[4:5]
	;; [unrolled: 1-line block ×3, first 2 shown]
	global_load_b128 v[10:13], v[26:27], off
	s_clause 0x1
	global_load_b128 v[14:17], v[28:29], off
	global_load_b128 v[18:21], v[28:29], off offset:16
	global_load_b128 v[22:25], v[26:27], off offset:16
	s_clause 0x1
	global_load_b128 v[26:29], v[34:35], off
	global_load_b128 v[30:33], v[34:35], off offset:16
	s_wait_loadcnt 0x7
	v_lshlrev_b64_e32 v[36:37], 2, v[0:1]
	s_delay_alu instid0(VALU_DEP_1)
	v_cmp_ge_i64_e64 s0, v[36:37], v[2:3]
	s_or_b32 s1, s0, s1
	s_wait_loadcnt 0x5
	v_dual_mov_b32 v40, v13 :: v_dual_mov_b32 v41, v12
	s_wait_loadcnt 0x4
	v_pk_mul_f32 v[38:39], v[10:11], v[14:15] op_sel:[1,1] op_sel_hi:[0,1]
	s_wait_loadcnt 0x2
	v_dual_mov_b32 v42, v17 :: v_dual_mov_b32 v46, v25
	v_pk_mul_f32 v[44:45], v[22:23], v[18:19] op_sel:[1,1] op_sel_hi:[0,1]
	v_dual_mov_b32 v47, v24 :: v_dual_mov_b32 v48, v21
	v_pk_fma_f32 v[50:51], v[10:11], v[14:15], v[38:39] op_sel_hi:[1,0,1] neg_lo:[0,0,1] neg_hi:[0,0,1]
	v_pk_fma_f32 v[10:11], v[10:11], v[14:15], v[38:39] op_sel_hi:[1,0,1]
	v_pk_mul_f32 v[14:15], v[40:41], v[42:43] op_sel_hi:[1,0]
	v_pk_fma_f32 v[38:39], v[22:23], v[18:19], v[44:45] op_sel_hi:[1,0,1] neg_lo:[0,0,1] neg_hi:[0,0,1]
	v_pk_fma_f32 v[18:19], v[22:23], v[18:19], v[44:45] op_sel_hi:[1,0,1]
	v_pk_mul_f32 v[22:23], v[46:47], v[48:49] op_sel_hi:[1,0]
	v_pk_mul_f32 v[40:41], v[10:11], v[8:9] op_sel:[1,0]
	v_pk_fma_f32 v[42:43], v[12:13], v[16:17], v[14:15] op_sel_hi:[1,0,1] neg_lo:[0,0,1] neg_hi:[0,0,1]
	v_pk_fma_f32 v[12:13], v[12:13], v[16:17], v[14:15] op_sel_hi:[1,0,1]
	v_pk_mul_f32 v[14:15], v[18:19], v[8:9] op_sel:[1,0]
	v_pk_fma_f32 v[16:17], v[24:25], v[20:21], v[22:23] op_sel_hi:[1,0,1] neg_lo:[0,0,1] neg_hi:[0,0,1]
	v_pk_fma_f32 v[20:21], v[24:25], v[20:21], v[22:23] op_sel_hi:[1,0,1]
	v_pk_fma_f32 v[22:23], v[50:51], v[6:7], v[40:41] neg_lo:[0,0,1] neg_hi:[0,0,1]
	v_pk_fma_f32 v[24:25], v[50:51], v[6:7], v[40:41] op_sel_hi:[0,1,1]
	v_pk_mul_f32 v[40:41], v[12:13], v[8:9] op_sel:[1,0]
	v_pk_fma_f32 v[44:45], v[38:39], v[6:7], v[14:15] neg_lo:[0,0,1] neg_hi:[0,0,1]
	v_pk_fma_f32 v[14:15], v[38:39], v[6:7], v[14:15] op_sel_hi:[0,1,1]
	v_pk_mul_f32 v[46:47], v[20:21], v[8:9] op_sel:[1,0]
	v_dual_cndmask_b32 v11, v25, v11 :: v_dual_cndmask_b32 v10, v22, v50
	v_pk_fma_f32 v[22:23], v[42:43], v[6:7], v[40:41] neg_lo:[0,0,1] neg_hi:[0,0,1]
	v_pk_fma_f32 v[24:25], v[42:43], v[6:7], v[40:41] op_sel_hi:[0,1,1]
	v_dual_cndmask_b32 v15, v15, v19 :: v_dual_cndmask_b32 v14, v44, v38
	v_pk_fma_f32 v[18:19], v[16:17], v[6:7], v[46:47] op_sel_hi:[0,1,1]
	v_pk_fma_f32 v[40:41], v[16:17], v[6:7], v[46:47] neg_lo:[0,0,1] neg_hi:[0,0,1]
	s_delay_alu instid0(VALU_DEP_4) | instskip(SKIP_2) | instid1(VALU_DEP_3)
	v_dual_cndmask_b32 v13, v25, v13 :: v_dual_cndmask_b32 v12, v22, v42
	s_wait_loadcnt 0x1
	v_pk_add_f32 v[10:11], v[26:27], v[10:11]
	v_dual_cndmask_b32 v17, v19, v21 :: v_dual_cndmask_b32 v16, v40, v16
	s_wait_loadcnt 0x0
	v_pk_add_f32 v[14:15], v[30:31], v[14:15]
	v_pk_add_f32 v[12:13], v[28:29], v[12:13]
	s_delay_alu instid0(VALU_DEP_3)
	v_pk_add_f32 v[16:17], v[32:33], v[16:17]
	s_clause 0x1
	global_store_b128 v[34:35], v[10:13], off
	global_store_b128 v[34:35], v[14:17], off offset:16
	s_wait_xcnt 0x0
	s_and_not1_b32 exec_lo, exec_lo, s1
	s_cbranch_execnz .LBB107_32
.LBB107_33:
	s_sendmsg sendmsg(MSG_DEALLOC_VGPRS)
	s_endpgm
	.section	.rodata,"a",@progbits
	.p2align	6, 0x0
	.amdhsa_kernel _ZN2at6native12_GLOBAL__N_125multi_tensor_apply_kernelINS1_28TensorListScalarListMetadataIN3c107complexIfEELi3EEENS1_28PointwiseOpScalarListFunctorIS6_Li3ELi3ELi0EEEJSt10multipliesIS6_EEEEvT_T0_DpT1_
		.amdhsa_group_segment_fixed_size 0
		.amdhsa_private_segment_fixed_size 0
		.amdhsa_kernarg_size 3784
		.amdhsa_user_sgpr_count 2
		.amdhsa_user_sgpr_dispatch_ptr 0
		.amdhsa_user_sgpr_queue_ptr 0
		.amdhsa_user_sgpr_kernarg_segment_ptr 1
		.amdhsa_user_sgpr_dispatch_id 0
		.amdhsa_user_sgpr_kernarg_preload_length 0
		.amdhsa_user_sgpr_kernarg_preload_offset 0
		.amdhsa_user_sgpr_private_segment_size 0
		.amdhsa_wavefront_size32 1
		.amdhsa_uses_dynamic_stack 0
		.amdhsa_enable_private_segment 0
		.amdhsa_system_sgpr_workgroup_id_x 1
		.amdhsa_system_sgpr_workgroup_id_y 0
		.amdhsa_system_sgpr_workgroup_id_z 0
		.amdhsa_system_sgpr_workgroup_info 0
		.amdhsa_system_vgpr_workitem_id 0
		.amdhsa_next_free_vgpr 68
		.amdhsa_next_free_sgpr 31
		.amdhsa_named_barrier_count 0
		.amdhsa_reserve_vcc 1
		.amdhsa_float_round_mode_32 0
		.amdhsa_float_round_mode_16_64 0
		.amdhsa_float_denorm_mode_32 3
		.amdhsa_float_denorm_mode_16_64 3
		.amdhsa_fp16_overflow 0
		.amdhsa_memory_ordered 1
		.amdhsa_forward_progress 1
		.amdhsa_inst_pref_size 18
		.amdhsa_round_robin_scheduling 0
		.amdhsa_exception_fp_ieee_invalid_op 0
		.amdhsa_exception_fp_denorm_src 0
		.amdhsa_exception_fp_ieee_div_zero 0
		.amdhsa_exception_fp_ieee_overflow 0
		.amdhsa_exception_fp_ieee_underflow 0
		.amdhsa_exception_fp_ieee_inexact 0
		.amdhsa_exception_int_div_zero 0
	.end_amdhsa_kernel
	.section	.text._ZN2at6native12_GLOBAL__N_125multi_tensor_apply_kernelINS1_28TensorListScalarListMetadataIN3c107complexIfEELi3EEENS1_28PointwiseOpScalarListFunctorIS6_Li3ELi3ELi0EEEJSt10multipliesIS6_EEEEvT_T0_DpT1_,"axG",@progbits,_ZN2at6native12_GLOBAL__N_125multi_tensor_apply_kernelINS1_28TensorListScalarListMetadataIN3c107complexIfEELi3EEENS1_28PointwiseOpScalarListFunctorIS6_Li3ELi3ELi0EEEJSt10multipliesIS6_EEEEvT_T0_DpT1_,comdat
.Lfunc_end107:
	.size	_ZN2at6native12_GLOBAL__N_125multi_tensor_apply_kernelINS1_28TensorListScalarListMetadataIN3c107complexIfEELi3EEENS1_28PointwiseOpScalarListFunctorIS6_Li3ELi3ELi0EEEJSt10multipliesIS6_EEEEvT_T0_DpT1_, .Lfunc_end107-_ZN2at6native12_GLOBAL__N_125multi_tensor_apply_kernelINS1_28TensorListScalarListMetadataIN3c107complexIfEELi3EEENS1_28PointwiseOpScalarListFunctorIS6_Li3ELi3ELi0EEEJSt10multipliesIS6_EEEEvT_T0_DpT1_
                                        ; -- End function
	.set _ZN2at6native12_GLOBAL__N_125multi_tensor_apply_kernelINS1_28TensorListScalarListMetadataIN3c107complexIfEELi3EEENS1_28PointwiseOpScalarListFunctorIS6_Li3ELi3ELi0EEEJSt10multipliesIS6_EEEEvT_T0_DpT1_.num_vgpr, 68
	.set _ZN2at6native12_GLOBAL__N_125multi_tensor_apply_kernelINS1_28TensorListScalarListMetadataIN3c107complexIfEELi3EEENS1_28PointwiseOpScalarListFunctorIS6_Li3ELi3ELi0EEEJSt10multipliesIS6_EEEEvT_T0_DpT1_.num_agpr, 0
	.set _ZN2at6native12_GLOBAL__N_125multi_tensor_apply_kernelINS1_28TensorListScalarListMetadataIN3c107complexIfEELi3EEENS1_28PointwiseOpScalarListFunctorIS6_Li3ELi3ELi0EEEJSt10multipliesIS6_EEEEvT_T0_DpT1_.numbered_sgpr, 31
	.set _ZN2at6native12_GLOBAL__N_125multi_tensor_apply_kernelINS1_28TensorListScalarListMetadataIN3c107complexIfEELi3EEENS1_28PointwiseOpScalarListFunctorIS6_Li3ELi3ELi0EEEJSt10multipliesIS6_EEEEvT_T0_DpT1_.num_named_barrier, 0
	.set _ZN2at6native12_GLOBAL__N_125multi_tensor_apply_kernelINS1_28TensorListScalarListMetadataIN3c107complexIfEELi3EEENS1_28PointwiseOpScalarListFunctorIS6_Li3ELi3ELi0EEEJSt10multipliesIS6_EEEEvT_T0_DpT1_.private_seg_size, 0
	.set _ZN2at6native12_GLOBAL__N_125multi_tensor_apply_kernelINS1_28TensorListScalarListMetadataIN3c107complexIfEELi3EEENS1_28PointwiseOpScalarListFunctorIS6_Li3ELi3ELi0EEEJSt10multipliesIS6_EEEEvT_T0_DpT1_.uses_vcc, 1
	.set _ZN2at6native12_GLOBAL__N_125multi_tensor_apply_kernelINS1_28TensorListScalarListMetadataIN3c107complexIfEELi3EEENS1_28PointwiseOpScalarListFunctorIS6_Li3ELi3ELi0EEEJSt10multipliesIS6_EEEEvT_T0_DpT1_.uses_flat_scratch, 0
	.set _ZN2at6native12_GLOBAL__N_125multi_tensor_apply_kernelINS1_28TensorListScalarListMetadataIN3c107complexIfEELi3EEENS1_28PointwiseOpScalarListFunctorIS6_Li3ELi3ELi0EEEJSt10multipliesIS6_EEEEvT_T0_DpT1_.has_dyn_sized_stack, 0
	.set _ZN2at6native12_GLOBAL__N_125multi_tensor_apply_kernelINS1_28TensorListScalarListMetadataIN3c107complexIfEELi3EEENS1_28PointwiseOpScalarListFunctorIS6_Li3ELi3ELi0EEEJSt10multipliesIS6_EEEEvT_T0_DpT1_.has_recursion, 0
	.set _ZN2at6native12_GLOBAL__N_125multi_tensor_apply_kernelINS1_28TensorListScalarListMetadataIN3c107complexIfEELi3EEENS1_28PointwiseOpScalarListFunctorIS6_Li3ELi3ELi0EEEJSt10multipliesIS6_EEEEvT_T0_DpT1_.has_indirect_call, 0
	.section	.AMDGPU.csdata,"",@progbits
; Kernel info:
; codeLenInByte = 2276
; TotalNumSgprs: 33
; NumVgprs: 68
; ScratchSize: 0
; MemoryBound: 0
; FloatMode: 240
; IeeeMode: 1
; LDSByteSize: 0 bytes/workgroup (compile time only)
; SGPRBlocks: 0
; VGPRBlocks: 4
; NumSGPRsForWavesPerEU: 33
; NumVGPRsForWavesPerEU: 68
; NamedBarCnt: 0
; Occupancy: 12
; WaveLimiterHint : 1
; COMPUTE_PGM_RSRC2:SCRATCH_EN: 0
; COMPUTE_PGM_RSRC2:USER_SGPR: 2
; COMPUTE_PGM_RSRC2:TRAP_HANDLER: 0
; COMPUTE_PGM_RSRC2:TGID_X_EN: 1
; COMPUTE_PGM_RSRC2:TGID_Y_EN: 0
; COMPUTE_PGM_RSRC2:TGID_Z_EN: 0
; COMPUTE_PGM_RSRC2:TIDIG_COMP_CNT: 0
	.section	.text._ZN2at6native12_GLOBAL__N_125multi_tensor_apply_kernelINS1_28TensorListScalarListMetadataIfLi3EEENS1_28PointwiseOpScalarListFunctorIN3c104HalfELi3ELi3ELi0EEEJSt10multipliesIfEEEEvT_T0_DpT1_,"axG",@progbits,_ZN2at6native12_GLOBAL__N_125multi_tensor_apply_kernelINS1_28TensorListScalarListMetadataIfLi3EEENS1_28PointwiseOpScalarListFunctorIN3c104HalfELi3ELi3ELi0EEEJSt10multipliesIfEEEEvT_T0_DpT1_,comdat
	.globl	_ZN2at6native12_GLOBAL__N_125multi_tensor_apply_kernelINS1_28TensorListScalarListMetadataIfLi3EEENS1_28PointwiseOpScalarListFunctorIN3c104HalfELi3ELi3ELi0EEEJSt10multipliesIfEEEEvT_T0_DpT1_ ; -- Begin function _ZN2at6native12_GLOBAL__N_125multi_tensor_apply_kernelINS1_28TensorListScalarListMetadataIfLi3EEENS1_28PointwiseOpScalarListFunctorIN3c104HalfELi3ELi3ELi0EEEJSt10multipliesIfEEEEvT_T0_DpT1_
	.p2align	8
	.type	_ZN2at6native12_GLOBAL__N_125multi_tensor_apply_kernelINS1_28TensorListScalarListMetadataIfLi3EEENS1_28PointwiseOpScalarListFunctorIN3c104HalfELi3ELi3ELi0EEEJSt10multipliesIfEEEEvT_T0_DpT1_,@function
_ZN2at6native12_GLOBAL__N_125multi_tensor_apply_kernelINS1_28TensorListScalarListMetadataIfLi3EEENS1_28PointwiseOpScalarListFunctorIN3c104HalfELi3ELi3ELi0EEEJSt10multipliesIfEEEEvT_T0_DpT1_: ; @_ZN2at6native12_GLOBAL__N_125multi_tensor_apply_kernelINS1_28TensorListScalarListMetadataIfLi3EEENS1_28PointwiseOpScalarListFunctorIN3c104HalfELi3ELi3ELi0EEEJSt10multipliesIfEEEEvT_T0_DpT1_
; %bb.0:
	s_bfe_u32 s2, ttmp6, 0x4000c
	s_and_b32 s3, ttmp6, 15
	s_add_co_i32 s2, s2, 1
	s_getreg_b32 s4, hwreg(HW_REG_IB_STS2, 6, 4)
	s_mul_i32 s2, ttmp9, s2
	s_delay_alu instid0(SALU_CYCLE_1)
	s_add_co_i32 s3, s3, s2
	s_cmp_eq_u32 s4, 0
	s_cselect_b32 s2, ttmp9, s3
	s_mov_b32 s3, 0
	s_load_u8 s20, s[0:1], s2 offset:0x6c0
	s_add_nc_u64 s[4:5], s[0:1], s[2:3]
	s_mul_u64 s[6:7], s[2:3], 3
	s_delay_alu instid0(SALU_CYCLE_1)
	s_add_nc_u64 s[4:5], s[4:5], s[6:7]
	s_load_b32 s16, s[4:5], 0x800
	s_wait_kmcnt 0x0
	s_clause 0x3
	s_load_b64 s[6:7], s[0:1], s20 offset:0x180 scale_offset
	s_load_b64 s[8:9], s[0:1], s20 offset:0x300 scale_offset
	;; [unrolled: 1-line block ×4, first 2 shown]
	s_lshl_b32 s2, s20, 3
	s_ashr_i32 s17, s16, 31
	s_delay_alu instid0(SALU_CYCLE_1) | instskip(SKIP_3) | instid1(SALU_CYCLE_1)
	s_lshl_b64 s[12:13], s[16:17], 17
	s_wait_kmcnt 0x0
	s_and_b64 s[18:19], s[10:11], 7
	s_add_nc_u64 s[14:15], s[6:7], s[12:13]
	s_or_b32 s14, s8, s14
	s_delay_alu instid0(SALU_CYCLE_1) | instskip(NEXT) | instid1(SALU_CYCLE_1)
	s_and_b32 s14, s14, 7
	s_cmp_eq_u32 s14, 0
	s_add_nc_u64 s[14:15], s[0:1], s[2:3]
	s_cselect_b32 s22, -1, 0
	s_lshl_b32 s2, s20, 2
	s_lshl_b64 s[16:17], s[16:17], 16
	s_sub_nc_u64 s[20:21], 0, s[2:3]
	s_and_b32 s2, s4, 3
	s_add_nc_u64 s[14:15], s[14:15], s[20:21]
	s_or_b64 s[2:3], s[18:19], s[2:3]
	s_load_b32 s14, s[14:15], 0x600
	s_cmp_eq_u64 s[2:3], 0
	s_sub_nc_u64 s[16:17], s[4:5], s[16:17]
	s_cselect_b32 s2, -1, 0
	s_delay_alu instid0(SALU_CYCLE_1) | instskip(NEXT) | instid1(SALU_CYCLE_1)
	s_and_b32 s2, s22, s2
	s_and_b32 vcc_lo, exec_lo, s2
	s_mov_b32 s2, -1
	s_cbranch_vccnz .LBB108_29
; %bb.1:
	v_cmp_lt_i64_e64 s2, s[16:17], 1
	s_and_b32 vcc_lo, exec_lo, s2
	s_cbranch_vccnz .LBB108_28
; %bb.2:
	s_load_b32 s2, s[0:1], 0xd14
	v_min_i64 v[2:3], 0x10000, s[16:17]
	v_min_u64 v[4:5], 0x10000, s[16:17]
	v_dual_mov_b32 v1, 0 :: v_dual_lshlrev_b32 v16, 1, v0
	s_mov_b32 s21, 0
	s_delay_alu instid0(SALU_CYCLE_1) | instskip(NEXT) | instid1(VALU_DEP_1)
	s_mov_b32 s19, s21
	v_dual_mov_b32 v17, v1 :: v_dual_mov_b32 v35, v1
	s_mov_b32 s5, s21
	s_mov_b32 s23, s21
	s_delay_alu instid0(VALU_DEP_1) | instskip(SKIP_4) | instid1(SALU_CYCLE_1)
	v_add_nc_u64_e32 v[6:7], s[10:11], v[16:17]
	v_add_nc_u64_e32 v[8:9], s[6:7], v[16:17]
	;; [unrolled: 1-line block ×3, first 2 shown]
	s_wait_kmcnt 0x0
	s_and_b32 s20, s2, 0xffff
	s_lshl_b32 s4, s20, 1
	s_cmp_eq_f32 s14, 1.0
	v_add_nc_u64_e32 v[10:11], s[20:21], v[0:1]
	v_mad_nc_u64_u32 v[22:23], s20, 6, v[16:17]
	s_mul_i32 s22, s20, 3
	s_cselect_b32 s2, -1, 0
	s_lshl_b32 s18, s20, 2
	v_add_nc_u64_e32 v[14:15], s[22:23], v[0:1]
	v_add_nc_u64_e32 v[32:33], s[18:19], v[16:17]
	v_lshlrev_b32_e32 v34, 1, v10
	v_add_nc_u64_e32 v[16:17], s[4:5], v[0:1]
	s_lshl_b32 s20, s20, 3
	s_mov_b64 s[22:23], 0
	v_add_nc_u64_e32 v[18:19], s[10:11], v[22:23]
	v_add_nc_u64_e32 v[20:21], s[6:7], v[22:23]
	;; [unrolled: 1-line block ×9, first 2 shown]
	s_branch .LBB108_4
.LBB108_3:                              ;   in Loop: Header=BB108_4 Depth=1
	s_wait_xcnt 0x0
	s_or_b32 exec_lo, exec_lo, s3
	s_add_nc_u64 s[22:23], s[22:23], s[18:19]
	v_add_nc_u64_e32 v[6:7], s[20:21], v[6:7]
	v_cmp_lt_i64_e32 vcc_lo, s[22:23], v[2:3]
	v_add_nc_u64_e32 v[8:9], s[20:21], v[8:9]
	v_add_nc_u64_e32 v[12:13], s[20:21], v[12:13]
	;; [unrolled: 1-line block ×11, first 2 shown]
	s_cbranch_vccz .LBB108_28
.LBB108_4:                              ; =>This Inner Loop Header: Depth=1
	v_add_nc_u64_e32 v[36:37], s[22:23], v[0:1]
	s_delay_alu instid0(VALU_DEP_1)
	v_cmp_lt_u64_e32 vcc_lo, v[36:37], v[4:5]
	v_dual_mov_b32 v37, 0 :: v_dual_mov_b32 v36, 0
	s_and_saveexec_b32 s3, vcc_lo
	s_cbranch_execz .LBB108_6
; %bb.5:                                ;   in Loop: Header=BB108_4 Depth=1
	v_add_nc_u64_e32 v[36:37], s[12:13], v[6:7]
	v_add_nc_u64_e32 v[38:39], s[12:13], v[8:9]
	global_load_u16 v40, v[36:37], off
	global_load_u16 v41, v[38:39], off
	s_wait_loadcnt 0x1
	s_wait_xcnt 0x1
	v_cvt_f32_f16_e32 v36, v40
	s_wait_loadcnt 0x0
	v_cvt_f32_f16_e32 v37, v41
.LBB108_6:                              ;   in Loop: Header=BB108_4 Depth=1
	s_wait_xcnt 0x0
	s_or_b32 exec_lo, exec_lo, s3
	v_dual_mov_b32 v38, 0 :: v_dual_mov_b32 v39, 0
	s_and_saveexec_b32 s3, vcc_lo
	s_cbranch_execz .LBB108_8
; %bb.7:                                ;   in Loop: Header=BB108_4 Depth=1
	v_add_nc_u64_e32 v[40:41], s[12:13], v[12:13]
	global_load_u16 v39, v[40:41], off
	s_wait_loadcnt 0x0
	v_cvt_f32_f16_e32 v39, v39
.LBB108_8:                              ;   in Loop: Header=BB108_4 Depth=1
	s_wait_xcnt 0x0
	s_or_b32 exec_lo, exec_lo, s3
	v_add_nc_u64_e32 v[40:41], s[22:23], v[10:11]
	s_delay_alu instid0(VALU_DEP_1)
	v_cmp_lt_u64_e64 s3, v[40:41], v[4:5]
	v_mov_b32_e32 v40, 0
	s_and_saveexec_b32 s4, s3
	s_cbranch_execz .LBB108_10
; %bb.9:                                ;   in Loop: Header=BB108_4 Depth=1
	v_add_nc_u64_e32 v[40:41], s[12:13], v[24:25]
	v_add_nc_u64_e32 v[42:43], s[12:13], v[26:27]
	global_load_u16 v38, v[40:41], off
	global_load_u16 v44, v[42:43], off
	s_wait_loadcnt 0x1
	s_wait_xcnt 0x1
	v_cvt_f32_f16_e32 v40, v38
	s_wait_loadcnt 0x0
	v_cvt_f32_f16_e32 v38, v44
.LBB108_10:                             ;   in Loop: Header=BB108_4 Depth=1
	s_wait_xcnt 0x0
	s_or_b32 exec_lo, exec_lo, s4
	v_dual_mov_b32 v41, 0 :: v_dual_mov_b32 v42, 0
	s_and_saveexec_b32 s4, s3
	s_cbranch_execz .LBB108_12
; %bb.11:                               ;   in Loop: Header=BB108_4 Depth=1
	v_add_nc_u64_e32 v[42:43], s[12:13], v[34:35]
	global_load_u16 v42, v[42:43], off
	s_wait_loadcnt 0x0
	s_wait_xcnt 0x0
	v_cvt_f32_f16_e32 v42, v42
.LBB108_12:                             ;   in Loop: Header=BB108_4 Depth=1
	s_or_b32 exec_lo, exec_lo, s4
	v_add_nc_u64_e32 v[44:45], s[22:23], v[16:17]
	v_mov_b32_e32 v43, 0
	s_delay_alu instid0(VALU_DEP_2)
	v_cmp_lt_u64_e64 s4, v[44:45], v[4:5]
	s_and_saveexec_b32 s5, s4
	s_cbranch_execz .LBB108_14
; %bb.13:                               ;   in Loop: Header=BB108_4 Depth=1
	v_add_nc_u64_e32 v[44:45], s[12:13], v[28:29]
	v_add_nc_u64_e32 v[46:47], s[12:13], v[30:31]
	global_load_u16 v41, v[44:45], off
	global_load_u16 v48, v[46:47], off
	s_wait_loadcnt 0x1
	v_cvt_f32_f16_e32 v43, v41
	s_wait_loadcnt 0x0
	v_cvt_f32_f16_e32 v41, v48
.LBB108_14:                             ;   in Loop: Header=BB108_4 Depth=1
	s_wait_xcnt 0x0
	s_or_b32 exec_lo, exec_lo, s5
	v_dual_mov_b32 v44, 0 :: v_dual_mov_b32 v45, 0
	s_and_saveexec_b32 s5, s4
	s_cbranch_execz .LBB108_16
; %bb.15:                               ;   in Loop: Header=BB108_4 Depth=1
	v_add_nc_u64_e32 v[46:47], s[12:13], v[32:33]
	global_load_u16 v45, v[46:47], off
	s_wait_loadcnt 0x0
	v_cvt_f32_f16_e32 v45, v45
.LBB108_16:                             ;   in Loop: Header=BB108_4 Depth=1
	s_wait_xcnt 0x0
	s_or_b32 exec_lo, exec_lo, s5
	v_add_nc_u64_e32 v[46:47], s[22:23], v[14:15]
	s_delay_alu instid0(VALU_DEP_1)
	v_cmp_lt_u64_e64 s5, v[46:47], v[4:5]
	v_mov_b32_e32 v46, 0
	s_and_saveexec_b32 s15, s5
	s_cbranch_execnz .LBB108_22
; %bb.17:                               ;   in Loop: Header=BB108_4 Depth=1
	s_or_b32 exec_lo, exec_lo, s15
	v_mov_b32_e32 v47, 0
	s_and_saveexec_b32 s15, s5
	s_cbranch_execnz .LBB108_23
.LBB108_18:                             ;   in Loop: Header=BB108_4 Depth=1
	s_or_b32 exec_lo, exec_lo, s15
	s_and_saveexec_b32 s15, vcc_lo
	s_cbranch_execnz .LBB108_24
.LBB108_19:                             ;   in Loop: Header=BB108_4 Depth=1
	s_or_b32 exec_lo, exec_lo, s15
	s_and_saveexec_b32 s15, s3
	s_cbranch_execnz .LBB108_25
.LBB108_20:                             ;   in Loop: Header=BB108_4 Depth=1
	s_or_b32 exec_lo, exec_lo, s15
	s_and_saveexec_b32 s3, s4
	s_cbranch_execnz .LBB108_26
.LBB108_21:                             ;   in Loop: Header=BB108_4 Depth=1
	s_or_b32 exec_lo, exec_lo, s3
	s_and_saveexec_b32 s3, s5
	s_cbranch_execz .LBB108_3
	s_branch .LBB108_27
.LBB108_22:                             ;   in Loop: Header=BB108_4 Depth=1
	v_add_nc_u64_e32 v[46:47], s[12:13], v[18:19]
	v_add_nc_u64_e32 v[48:49], s[12:13], v[20:21]
	global_load_u16 v44, v[46:47], off
	global_load_u16 v50, v[48:49], off
	s_wait_loadcnt 0x1
	s_wait_xcnt 0x1
	v_cvt_f32_f16_e32 v46, v44
	s_wait_loadcnt 0x0
	v_cvt_f32_f16_e32 v44, v50
	s_wait_xcnt 0x0
	s_or_b32 exec_lo, exec_lo, s15
	v_mov_b32_e32 v47, 0
	s_and_saveexec_b32 s15, s5
	s_cbranch_execz .LBB108_18
.LBB108_23:                             ;   in Loop: Header=BB108_4 Depth=1
	v_add_nc_u64_e32 v[48:49], s[12:13], v[22:23]
	global_load_u16 v47, v[48:49], off
	s_wait_loadcnt 0x0
	v_cvt_f32_f16_e32 v47, v47
	s_wait_xcnt 0x0
	s_or_b32 exec_lo, exec_lo, s15
	s_and_saveexec_b32 s15, vcc_lo
	s_cbranch_execz .LBB108_19
.LBB108_24:                             ;   in Loop: Header=BB108_4 Depth=1
	v_dual_mul_f32 v48, v37, v39 :: v_dual_fma_f32 v37, v37, v39, v36
	s_delay_alu instid0(VALU_DEP_1) | instskip(NEXT) | instid1(VALU_DEP_1)
	v_fmac_f32_e32 v36, s14, v48
	v_cndmask_b32_e64 v39, v36, v37, s2
	v_add_nc_u64_e32 v[36:37], s[12:13], v[6:7]
	s_delay_alu instid0(VALU_DEP_2)
	v_cvt_f16_f32_e32 v39, v39
	global_store_b16 v[36:37], v39, off
	s_wait_xcnt 0x0
	s_or_b32 exec_lo, exec_lo, s15
	s_and_saveexec_b32 s15, s3
	s_cbranch_execz .LBB108_20
.LBB108_25:                             ;   in Loop: Header=BB108_4 Depth=1
	v_dual_mul_f32 v36, v38, v42 :: v_dual_fma_f32 v37, v38, v42, v40
	s_delay_alu instid0(VALU_DEP_1) | instskip(NEXT) | instid1(VALU_DEP_1)
	v_fmac_f32_e32 v40, s14, v36
	v_cndmask_b32_e64 v38, v40, v37, s2
	v_add_nc_u64_e32 v[36:37], s[12:13], v[24:25]
	s_delay_alu instid0(VALU_DEP_2)
	v_cvt_f16_f32_e32 v38, v38
	global_store_b16 v[36:37], v38, off
	s_wait_xcnt 0x0
	s_or_b32 exec_lo, exec_lo, s15
	s_and_saveexec_b32 s3, s4
	s_cbranch_execz .LBB108_21
.LBB108_26:                             ;   in Loop: Header=BB108_4 Depth=1
	v_dual_mul_f32 v36, v41, v45 :: v_dual_fma_f32 v37, v41, v45, v43
	s_delay_alu instid0(VALU_DEP_1) | instskip(NEXT) | instid1(VALU_DEP_1)
	v_fmac_f32_e32 v43, s14, v36
	v_cndmask_b32_e64 v38, v43, v37, s2
	v_add_nc_u64_e32 v[36:37], s[12:13], v[28:29]
	s_delay_alu instid0(VALU_DEP_2)
	v_cvt_f16_f32_e32 v38, v38
	global_store_b16 v[36:37], v38, off
	s_wait_xcnt 0x0
	s_or_b32 exec_lo, exec_lo, s3
	s_and_saveexec_b32 s3, s5
	s_cbranch_execz .LBB108_3
.LBB108_27:                             ;   in Loop: Header=BB108_4 Depth=1
	v_dual_mul_f32 v36, v44, v47 :: v_dual_fma_f32 v37, v44, v47, v46
	s_delay_alu instid0(VALU_DEP_1) | instskip(NEXT) | instid1(VALU_DEP_1)
	v_fmac_f32_e32 v46, s14, v36
	v_cndmask_b32_e64 v38, v46, v37, s2
	v_add_nc_u64_e32 v[36:37], s[12:13], v[18:19]
	s_delay_alu instid0(VALU_DEP_2)
	v_cvt_f16_f32_e32 v38, v38
	global_store_b16 v[36:37], v38, off
	s_branch .LBB108_3
.LBB108_28:
	s_mov_b32 s2, 0
.LBB108_29:
	s_delay_alu instid0(SALU_CYCLE_1)
	s_and_not1_b32 vcc_lo, exec_lo, s2
	s_cbranch_vccnz .LBB108_33
; %bb.30:
	v_min_i64 v[2:3], 0x10000, s[16:17]
	v_dual_mov_b32 v9, 0 :: v_dual_lshlrev_b32 v8, 2, v0
	s_mov_b32 s2, exec_lo
	s_delay_alu instid0(VALU_DEP_1)
	v_cmpx_lt_i64_e64 v[8:9], v[2:3]
	s_cbranch_execz .LBB108_33
; %bb.31:
	s_load_b32 s0, s[0:1], 0xd14
	v_dual_mov_b32 v1, v9 :: v_dual_lshlrev_b32 v8, 3, v0
	s_wait_kmcnt 0x0
	s_mov_b32 s15, s14
	s_cmp_eq_f32 s14, 1.0
	v_mov_b64_e32 v[6:7], s[14:15]
	v_dual_mov_b32 v4, s14 :: v_dual_mov_b32 v5, s14
	v_add_nc_u64_e32 v[8:9], s[12:13], v[8:9]
	s_mov_b32 s3, 0
	s_cselect_b32 vcc_lo, -1, 0
	s_mov_b32 s5, s3
	s_mov_b32 s1, s3
	s_and_b32 s2, s0, 0xffff
	s_delay_alu instid0(SALU_CYCLE_1)
	s_lshl_b32 s4, s2, 3
.LBB108_32:                             ; =>This Inner Loop Header: Depth=1
	v_add_nc_u64_e32 v[10:11], s[6:7], v[8:9]
	v_add_nc_u64_e32 v[12:13], s[8:9], v[8:9]
	;; [unrolled: 1-line block ×5, first 2 shown]
	global_load_b64 v[16:17], v[10:11], off
	global_load_b64 v[18:19], v[12:13], off
	;; [unrolled: 1-line block ×3, first 2 shown]
	s_wait_xcnt 0x2
	v_lshlrev_b64_e32 v[10:11], 2, v[0:1]
	s_delay_alu instid0(VALU_DEP_1)
	v_cmp_ge_i64_e64 s0, v[10:11], v[2:3]
	s_or_b32 s1, s0, s1
	s_wait_loadcnt 0x2
	v_cvt_f32_f16_e32 v22, v16
	v_lshrrev_b32_e32 v23, 16, v16
	v_cvt_f32_f16_e32 v16, v17
	s_wait_loadcnt 0x1
	v_dual_lshrrev_b32 v17, 16, v17 :: v_dual_lshrrev_b32 v25, 16, v18
	v_lshrrev_b32_e32 v26, 16, v19
	s_wait_loadcnt 0x0
	s_wait_xcnt 0x1
	v_cvt_f32_f16_e32 v12, v20
	v_lshrrev_b32_e32 v13, 16, v20
	v_cvt_f32_f16_e32 v20, v21
	v_lshrrev_b32_e32 v21, 16, v21
	v_cvt_f32_f16_e32 v24, v18
	v_cvt_f32_f16_e32 v18, v19
	;; [unrolled: 1-line block ×8, first 2 shown]
	s_delay_alu instid0(VALU_DEP_4) | instskip(NEXT) | instid1(VALU_DEP_4)
	v_pk_mul_f32 v[26:27], v[22:23], v[24:25]
	v_pk_mul_f32 v[28:29], v[16:17], v[18:19]
	s_delay_alu instid0(VALU_DEP_4) | instskip(NEXT) | instid1(VALU_DEP_4)
	v_pk_fma_f32 v[16:17], v[16:17], v[18:19], v[20:21]
	v_pk_fma_f32 v[18:19], v[22:23], v[24:25], v[12:13]
	s_delay_alu instid0(VALU_DEP_4) | instskip(NEXT) | instid1(VALU_DEP_4)
	v_pk_fma_f32 v[12:13], v[6:7], v[26:27], v[12:13]
	v_pk_fma_f32 v[20:21], v[4:5], v[28:29], v[20:21]
	s_delay_alu instid0(VALU_DEP_1) | instskip(NEXT) | instid1(VALU_DEP_2)
	v_dual_cndmask_b32 v13, v13, v19 :: v_dual_cndmask_b32 v16, v20, v16
	v_dual_cndmask_b32 v17, v21, v17 :: v_dual_cndmask_b32 v12, v12, v18
	s_delay_alu instid0(VALU_DEP_1) | instskip(NEXT) | instid1(VALU_DEP_2)
	v_cvt_pk_f16_f32 v11, v16, v17
	v_cvt_pk_f16_f32 v10, v12, v13
	global_store_b64 v[14:15], v[10:11], off
	s_wait_xcnt 0x0
	s_and_not1_b32 exec_lo, exec_lo, s1
	s_cbranch_execnz .LBB108_32
.LBB108_33:
	s_endpgm
	.section	.rodata,"a",@progbits
	.p2align	6, 0x0
	.amdhsa_kernel _ZN2at6native12_GLOBAL__N_125multi_tensor_apply_kernelINS1_28TensorListScalarListMetadataIfLi3EEENS1_28PointwiseOpScalarListFunctorIN3c104HalfELi3ELi3ELi0EEEJSt10multipliesIfEEEEvT_T0_DpT1_
		.amdhsa_group_segment_fixed_size 0
		.amdhsa_private_segment_fixed_size 0
		.amdhsa_kernarg_size 3592
		.amdhsa_user_sgpr_count 2
		.amdhsa_user_sgpr_dispatch_ptr 0
		.amdhsa_user_sgpr_queue_ptr 0
		.amdhsa_user_sgpr_kernarg_segment_ptr 1
		.amdhsa_user_sgpr_dispatch_id 0
		.amdhsa_user_sgpr_kernarg_preload_length 0
		.amdhsa_user_sgpr_kernarg_preload_offset 0
		.amdhsa_user_sgpr_private_segment_size 0
		.amdhsa_wavefront_size32 1
		.amdhsa_uses_dynamic_stack 0
		.amdhsa_enable_private_segment 0
		.amdhsa_system_sgpr_workgroup_id_x 1
		.amdhsa_system_sgpr_workgroup_id_y 0
		.amdhsa_system_sgpr_workgroup_id_z 0
		.amdhsa_system_sgpr_workgroup_info 0
		.amdhsa_system_vgpr_workitem_id 0
		.amdhsa_next_free_vgpr 51
		.amdhsa_next_free_sgpr 24
		.amdhsa_named_barrier_count 0
		.amdhsa_reserve_vcc 1
		.amdhsa_float_round_mode_32 0
		.amdhsa_float_round_mode_16_64 0
		.amdhsa_float_denorm_mode_32 3
		.amdhsa_float_denorm_mode_16_64 3
		.amdhsa_fp16_overflow 0
		.amdhsa_memory_ordered 1
		.amdhsa_forward_progress 1
		.amdhsa_inst_pref_size 15
		.amdhsa_round_robin_scheduling 0
		.amdhsa_exception_fp_ieee_invalid_op 0
		.amdhsa_exception_fp_denorm_src 0
		.amdhsa_exception_fp_ieee_div_zero 0
		.amdhsa_exception_fp_ieee_overflow 0
		.amdhsa_exception_fp_ieee_underflow 0
		.amdhsa_exception_fp_ieee_inexact 0
		.amdhsa_exception_int_div_zero 0
	.end_amdhsa_kernel
	.section	.text._ZN2at6native12_GLOBAL__N_125multi_tensor_apply_kernelINS1_28TensorListScalarListMetadataIfLi3EEENS1_28PointwiseOpScalarListFunctorIN3c104HalfELi3ELi3ELi0EEEJSt10multipliesIfEEEEvT_T0_DpT1_,"axG",@progbits,_ZN2at6native12_GLOBAL__N_125multi_tensor_apply_kernelINS1_28TensorListScalarListMetadataIfLi3EEENS1_28PointwiseOpScalarListFunctorIN3c104HalfELi3ELi3ELi0EEEJSt10multipliesIfEEEEvT_T0_DpT1_,comdat
.Lfunc_end108:
	.size	_ZN2at6native12_GLOBAL__N_125multi_tensor_apply_kernelINS1_28TensorListScalarListMetadataIfLi3EEENS1_28PointwiseOpScalarListFunctorIN3c104HalfELi3ELi3ELi0EEEJSt10multipliesIfEEEEvT_T0_DpT1_, .Lfunc_end108-_ZN2at6native12_GLOBAL__N_125multi_tensor_apply_kernelINS1_28TensorListScalarListMetadataIfLi3EEENS1_28PointwiseOpScalarListFunctorIN3c104HalfELi3ELi3ELi0EEEJSt10multipliesIfEEEEvT_T0_DpT1_
                                        ; -- End function
	.set _ZN2at6native12_GLOBAL__N_125multi_tensor_apply_kernelINS1_28TensorListScalarListMetadataIfLi3EEENS1_28PointwiseOpScalarListFunctorIN3c104HalfELi3ELi3ELi0EEEJSt10multipliesIfEEEEvT_T0_DpT1_.num_vgpr, 51
	.set _ZN2at6native12_GLOBAL__N_125multi_tensor_apply_kernelINS1_28TensorListScalarListMetadataIfLi3EEENS1_28PointwiseOpScalarListFunctorIN3c104HalfELi3ELi3ELi0EEEJSt10multipliesIfEEEEvT_T0_DpT1_.num_agpr, 0
	.set _ZN2at6native12_GLOBAL__N_125multi_tensor_apply_kernelINS1_28TensorListScalarListMetadataIfLi3EEENS1_28PointwiseOpScalarListFunctorIN3c104HalfELi3ELi3ELi0EEEJSt10multipliesIfEEEEvT_T0_DpT1_.numbered_sgpr, 24
	.set _ZN2at6native12_GLOBAL__N_125multi_tensor_apply_kernelINS1_28TensorListScalarListMetadataIfLi3EEENS1_28PointwiseOpScalarListFunctorIN3c104HalfELi3ELi3ELi0EEEJSt10multipliesIfEEEEvT_T0_DpT1_.num_named_barrier, 0
	.set _ZN2at6native12_GLOBAL__N_125multi_tensor_apply_kernelINS1_28TensorListScalarListMetadataIfLi3EEENS1_28PointwiseOpScalarListFunctorIN3c104HalfELi3ELi3ELi0EEEJSt10multipliesIfEEEEvT_T0_DpT1_.private_seg_size, 0
	.set _ZN2at6native12_GLOBAL__N_125multi_tensor_apply_kernelINS1_28TensorListScalarListMetadataIfLi3EEENS1_28PointwiseOpScalarListFunctorIN3c104HalfELi3ELi3ELi0EEEJSt10multipliesIfEEEEvT_T0_DpT1_.uses_vcc, 1
	.set _ZN2at6native12_GLOBAL__N_125multi_tensor_apply_kernelINS1_28TensorListScalarListMetadataIfLi3EEENS1_28PointwiseOpScalarListFunctorIN3c104HalfELi3ELi3ELi0EEEJSt10multipliesIfEEEEvT_T0_DpT1_.uses_flat_scratch, 0
	.set _ZN2at6native12_GLOBAL__N_125multi_tensor_apply_kernelINS1_28TensorListScalarListMetadataIfLi3EEENS1_28PointwiseOpScalarListFunctorIN3c104HalfELi3ELi3ELi0EEEJSt10multipliesIfEEEEvT_T0_DpT1_.has_dyn_sized_stack, 0
	.set _ZN2at6native12_GLOBAL__N_125multi_tensor_apply_kernelINS1_28TensorListScalarListMetadataIfLi3EEENS1_28PointwiseOpScalarListFunctorIN3c104HalfELi3ELi3ELi0EEEJSt10multipliesIfEEEEvT_T0_DpT1_.has_recursion, 0
	.set _ZN2at6native12_GLOBAL__N_125multi_tensor_apply_kernelINS1_28TensorListScalarListMetadataIfLi3EEENS1_28PointwiseOpScalarListFunctorIN3c104HalfELi3ELi3ELi0EEEJSt10multipliesIfEEEEvT_T0_DpT1_.has_indirect_call, 0
	.section	.AMDGPU.csdata,"",@progbits
; Kernel info:
; codeLenInByte = 1816
; TotalNumSgprs: 26
; NumVgprs: 51
; ScratchSize: 0
; MemoryBound: 0
; FloatMode: 240
; IeeeMode: 1
; LDSByteSize: 0 bytes/workgroup (compile time only)
; SGPRBlocks: 0
; VGPRBlocks: 3
; NumSGPRsForWavesPerEU: 26
; NumVGPRsForWavesPerEU: 51
; NamedBarCnt: 0
; Occupancy: 16
; WaveLimiterHint : 0
; COMPUTE_PGM_RSRC2:SCRATCH_EN: 0
; COMPUTE_PGM_RSRC2:USER_SGPR: 2
; COMPUTE_PGM_RSRC2:TRAP_HANDLER: 0
; COMPUTE_PGM_RSRC2:TGID_X_EN: 1
; COMPUTE_PGM_RSRC2:TGID_Y_EN: 0
; COMPUTE_PGM_RSRC2:TGID_Z_EN: 0
; COMPUTE_PGM_RSRC2:TIDIG_COMP_CNT: 0
	.section	.text._ZN2at6native12_GLOBAL__N_125multi_tensor_apply_kernelINS1_28TensorListScalarListMetadataIfLi3EEENS1_28PointwiseOpScalarListFunctorIN3c108BFloat16ELi3ELi3ELi0EEEJSt10multipliesIfEEEEvT_T0_DpT1_,"axG",@progbits,_ZN2at6native12_GLOBAL__N_125multi_tensor_apply_kernelINS1_28TensorListScalarListMetadataIfLi3EEENS1_28PointwiseOpScalarListFunctorIN3c108BFloat16ELi3ELi3ELi0EEEJSt10multipliesIfEEEEvT_T0_DpT1_,comdat
	.globl	_ZN2at6native12_GLOBAL__N_125multi_tensor_apply_kernelINS1_28TensorListScalarListMetadataIfLi3EEENS1_28PointwiseOpScalarListFunctorIN3c108BFloat16ELi3ELi3ELi0EEEJSt10multipliesIfEEEEvT_T0_DpT1_ ; -- Begin function _ZN2at6native12_GLOBAL__N_125multi_tensor_apply_kernelINS1_28TensorListScalarListMetadataIfLi3EEENS1_28PointwiseOpScalarListFunctorIN3c108BFloat16ELi3ELi3ELi0EEEJSt10multipliesIfEEEEvT_T0_DpT1_
	.p2align	8
	.type	_ZN2at6native12_GLOBAL__N_125multi_tensor_apply_kernelINS1_28TensorListScalarListMetadataIfLi3EEENS1_28PointwiseOpScalarListFunctorIN3c108BFloat16ELi3ELi3ELi0EEEJSt10multipliesIfEEEEvT_T0_DpT1_,@function
_ZN2at6native12_GLOBAL__N_125multi_tensor_apply_kernelINS1_28TensorListScalarListMetadataIfLi3EEENS1_28PointwiseOpScalarListFunctorIN3c108BFloat16ELi3ELi3ELi0EEEJSt10multipliesIfEEEEvT_T0_DpT1_: ; @_ZN2at6native12_GLOBAL__N_125multi_tensor_apply_kernelINS1_28TensorListScalarListMetadataIfLi3EEENS1_28PointwiseOpScalarListFunctorIN3c108BFloat16ELi3ELi3ELi0EEEJSt10multipliesIfEEEEvT_T0_DpT1_
; %bb.0:
	s_bfe_u32 s2, ttmp6, 0x4000c
	s_and_b32 s3, ttmp6, 15
	s_add_co_i32 s2, s2, 1
	s_getreg_b32 s4, hwreg(HW_REG_IB_STS2, 6, 4)
	s_mul_i32 s2, ttmp9, s2
	s_delay_alu instid0(SALU_CYCLE_1)
	s_add_co_i32 s3, s3, s2
	s_cmp_eq_u32 s4, 0
	s_cselect_b32 s2, ttmp9, s3
	s_mov_b32 s3, 0
	s_load_u8 s20, s[0:1], s2 offset:0x6c0
	s_add_nc_u64 s[4:5], s[0:1], s[2:3]
	s_mul_u64 s[6:7], s[2:3], 3
	s_delay_alu instid0(SALU_CYCLE_1)
	s_add_nc_u64 s[4:5], s[4:5], s[6:7]
	s_load_b32 s16, s[4:5], 0x800
	s_wait_kmcnt 0x0
	s_clause 0x3
	s_load_b64 s[6:7], s[0:1], s20 offset:0x180 scale_offset
	s_load_b64 s[8:9], s[0:1], s20 offset:0x300 scale_offset
	;; [unrolled: 1-line block ×4, first 2 shown]
	s_lshl_b32 s2, s20, 3
	s_ashr_i32 s17, s16, 31
	s_delay_alu instid0(SALU_CYCLE_1) | instskip(SKIP_3) | instid1(SALU_CYCLE_1)
	s_lshl_b64 s[12:13], s[16:17], 17
	s_wait_kmcnt 0x0
	s_and_b64 s[18:19], s[10:11], 7
	s_add_nc_u64 s[14:15], s[6:7], s[12:13]
	s_or_b32 s14, s8, s14
	s_delay_alu instid0(SALU_CYCLE_1) | instskip(NEXT) | instid1(SALU_CYCLE_1)
	s_and_b32 s14, s14, 7
	s_cmp_eq_u32 s14, 0
	s_add_nc_u64 s[14:15], s[0:1], s[2:3]
	s_cselect_b32 s22, -1, 0
	s_lshl_b32 s2, s20, 2
	s_lshl_b64 s[16:17], s[16:17], 16
	s_sub_nc_u64 s[20:21], 0, s[2:3]
	s_and_b32 s2, s4, 3
	s_add_nc_u64 s[14:15], s[14:15], s[20:21]
	s_or_b64 s[2:3], s[18:19], s[2:3]
	s_load_b32 s14, s[14:15], 0x600
	s_cmp_eq_u64 s[2:3], 0
	s_sub_nc_u64 s[16:17], s[4:5], s[16:17]
	s_cselect_b32 s2, -1, 0
	s_delay_alu instid0(SALU_CYCLE_1) | instskip(NEXT) | instid1(SALU_CYCLE_1)
	s_and_b32 s2, s22, s2
	s_and_b32 vcc_lo, exec_lo, s2
	s_mov_b32 s2, -1
	s_cbranch_vccnz .LBB109_29
; %bb.1:
	v_cmp_lt_i64_e64 s2, s[16:17], 1
	s_and_b32 vcc_lo, exec_lo, s2
	s_cbranch_vccnz .LBB109_28
; %bb.2:
	s_load_b32 s2, s[0:1], 0xd14
	v_min_i64 v[2:3], 0x10000, s[16:17]
	v_min_u64 v[4:5], 0x10000, s[16:17]
	v_dual_mov_b32 v1, 0 :: v_dual_lshlrev_b32 v16, 1, v0
	s_mov_b32 s21, 0
	s_delay_alu instid0(SALU_CYCLE_1) | instskip(NEXT) | instid1(VALU_DEP_1)
	s_mov_b32 s19, s21
	v_dual_mov_b32 v17, v1 :: v_dual_mov_b32 v35, v1
	s_mov_b32 s5, s21
	s_mov_b32 s23, s21
	s_delay_alu instid0(VALU_DEP_1) | instskip(SKIP_4) | instid1(SALU_CYCLE_1)
	v_add_nc_u64_e32 v[6:7], s[10:11], v[16:17]
	v_add_nc_u64_e32 v[8:9], s[6:7], v[16:17]
	v_add_nc_u64_e32 v[12:13], s[8:9], v[16:17]
	s_wait_kmcnt 0x0
	s_and_b32 s20, s2, 0xffff
	s_lshl_b32 s4, s20, 1
	s_cmp_eq_f32 s14, 1.0
	v_add_nc_u64_e32 v[10:11], s[20:21], v[0:1]
	v_mad_nc_u64_u32 v[22:23], s20, 6, v[16:17]
	s_mul_i32 s22, s20, 3
	s_cselect_b32 s2, -1, 0
	s_lshl_b32 s18, s20, 2
	v_add_nc_u64_e32 v[14:15], s[22:23], v[0:1]
	v_add_nc_u64_e32 v[32:33], s[18:19], v[16:17]
	v_lshlrev_b32_e32 v34, 1, v10
	v_add_nc_u64_e32 v[16:17], s[4:5], v[0:1]
	s_lshl_b32 s20, s20, 3
	s_mov_b64 s[22:23], 0
	v_add_nc_u64_e32 v[18:19], s[10:11], v[22:23]
	v_add_nc_u64_e32 v[20:21], s[6:7], v[22:23]
	;; [unrolled: 1-line block ×9, first 2 shown]
	s_branch .LBB109_4
.LBB109_3:                              ;   in Loop: Header=BB109_4 Depth=1
	s_wait_xcnt 0x0
	s_or_b32 exec_lo, exec_lo, s3
	s_add_nc_u64 s[22:23], s[22:23], s[18:19]
	v_add_nc_u64_e32 v[6:7], s[20:21], v[6:7]
	v_cmp_lt_i64_e32 vcc_lo, s[22:23], v[2:3]
	v_add_nc_u64_e32 v[8:9], s[20:21], v[8:9]
	v_add_nc_u64_e32 v[12:13], s[20:21], v[12:13]
	;; [unrolled: 1-line block ×11, first 2 shown]
	s_cbranch_vccz .LBB109_28
.LBB109_4:                              ; =>This Inner Loop Header: Depth=1
	v_add_nc_u64_e32 v[36:37], s[22:23], v[0:1]
	s_delay_alu instid0(VALU_DEP_1)
	v_cmp_lt_u64_e32 vcc_lo, v[36:37], v[4:5]
	v_dual_mov_b32 v37, 0 :: v_dual_mov_b32 v36, 0
	s_and_saveexec_b32 s3, vcc_lo
	s_cbranch_execz .LBB109_6
; %bb.5:                                ;   in Loop: Header=BB109_4 Depth=1
	v_add_nc_u64_e32 v[36:37], s[12:13], v[8:9]
	v_add_nc_u64_e32 v[38:39], s[12:13], v[6:7]
	global_load_u16 v40, v[36:37], off
	global_load_u16 v41, v[38:39], off
	s_wait_loadcnt 0x0
	s_wait_xcnt 0x1
	v_dual_lshlrev_b32 v37, 16, v40 :: v_dual_lshlrev_b32 v36, 16, v41
.LBB109_6:                              ;   in Loop: Header=BB109_4 Depth=1
	s_wait_xcnt 0x0
	s_or_b32 exec_lo, exec_lo, s3
	v_dual_mov_b32 v38, 0 :: v_dual_mov_b32 v40, 0
	s_and_saveexec_b32 s3, vcc_lo
	s_cbranch_execz .LBB109_8
; %bb.7:                                ;   in Loop: Header=BB109_4 Depth=1
	v_add_nc_u64_e32 v[40:41], s[12:13], v[12:13]
	global_load_u16 v39, v[40:41], off
	s_wait_loadcnt 0x0
	s_wait_xcnt 0x0
	v_lshlrev_b32_e32 v40, 16, v39
.LBB109_8:                              ;   in Loop: Header=BB109_4 Depth=1
	s_or_b32 exec_lo, exec_lo, s3
	v_add_nc_u64_e32 v[42:43], s[22:23], v[10:11]
	v_mov_b32_e32 v39, 0
	s_delay_alu instid0(VALU_DEP_2)
	v_cmp_lt_u64_e64 s3, v[42:43], v[4:5]
	s_and_saveexec_b32 s4, s3
	s_cbranch_execz .LBB109_10
; %bb.9:                                ;   in Loop: Header=BB109_4 Depth=1
	v_add_nc_u64_e32 v[38:39], s[12:13], v[26:27]
	v_add_nc_u64_e32 v[42:43], s[12:13], v[24:25]
	global_load_u16 v41, v[38:39], off
	global_load_u16 v44, v[42:43], off
	s_wait_loadcnt 0x0
	s_wait_xcnt 0x1
	v_dual_lshlrev_b32 v38, 16, v41 :: v_dual_lshlrev_b32 v39, 16, v44
.LBB109_10:                             ;   in Loop: Header=BB109_4 Depth=1
	s_wait_xcnt 0x0
	s_or_b32 exec_lo, exec_lo, s4
	v_dual_mov_b32 v41, 0 :: v_dual_mov_b32 v43, 0
	s_and_saveexec_b32 s4, s3
	s_cbranch_execz .LBB109_12
; %bb.11:                               ;   in Loop: Header=BB109_4 Depth=1
	v_add_nc_u64_e32 v[42:43], s[12:13], v[34:35]
	global_load_u16 v42, v[42:43], off
	s_wait_loadcnt 0x0
	s_wait_xcnt 0x0
	v_lshlrev_b32_e32 v43, 16, v42
.LBB109_12:                             ;   in Loop: Header=BB109_4 Depth=1
	s_or_b32 exec_lo, exec_lo, s4
	v_add_nc_u64_e32 v[44:45], s[22:23], v[16:17]
	v_mov_b32_e32 v42, 0
	s_delay_alu instid0(VALU_DEP_2)
	v_cmp_lt_u64_e64 s4, v[44:45], v[4:5]
	s_and_saveexec_b32 s5, s4
	s_cbranch_execz .LBB109_14
; %bb.13:                               ;   in Loop: Header=BB109_4 Depth=1
	v_add_nc_u64_e32 v[44:45], s[12:13], v[30:31]
	v_add_nc_u64_e32 v[46:47], s[12:13], v[28:29]
	global_load_u16 v41, v[44:45], off
	global_load_u16 v42, v[46:47], off
	s_wait_loadcnt 0x0
	v_dual_lshlrev_b32 v41, 16, v41 :: v_dual_lshlrev_b32 v42, 16, v42
.LBB109_14:                             ;   in Loop: Header=BB109_4 Depth=1
	s_wait_xcnt 0x0
	s_or_b32 exec_lo, exec_lo, s5
	v_dual_mov_b32 v44, 0 :: v_dual_mov_b32 v45, 0
	s_and_saveexec_b32 s5, s4
	s_cbranch_execz .LBB109_16
; %bb.15:                               ;   in Loop: Header=BB109_4 Depth=1
	v_add_nc_u64_e32 v[46:47], s[12:13], v[32:33]
	global_load_u16 v45, v[46:47], off
	s_wait_loadcnt 0x0
	v_lshlrev_b32_e32 v45, 16, v45
.LBB109_16:                             ;   in Loop: Header=BB109_4 Depth=1
	s_wait_xcnt 0x0
	s_or_b32 exec_lo, exec_lo, s5
	v_add_nc_u64_e32 v[46:47], s[22:23], v[14:15]
	s_delay_alu instid0(VALU_DEP_1)
	v_cmp_lt_u64_e64 s5, v[46:47], v[4:5]
	v_mov_b32_e32 v46, 0
	s_and_saveexec_b32 s15, s5
	s_cbranch_execnz .LBB109_22
; %bb.17:                               ;   in Loop: Header=BB109_4 Depth=1
	s_or_b32 exec_lo, exec_lo, s15
	v_mov_b32_e32 v47, 0
	s_and_saveexec_b32 s15, s5
	s_cbranch_execnz .LBB109_23
.LBB109_18:                             ;   in Loop: Header=BB109_4 Depth=1
	s_or_b32 exec_lo, exec_lo, s15
	s_and_saveexec_b32 s15, vcc_lo
	s_cbranch_execnz .LBB109_24
.LBB109_19:                             ;   in Loop: Header=BB109_4 Depth=1
	s_or_b32 exec_lo, exec_lo, s15
	s_and_saveexec_b32 s15, s3
	s_cbranch_execnz .LBB109_25
.LBB109_20:                             ;   in Loop: Header=BB109_4 Depth=1
	s_or_b32 exec_lo, exec_lo, s15
	s_and_saveexec_b32 s3, s4
	s_cbranch_execnz .LBB109_26
.LBB109_21:                             ;   in Loop: Header=BB109_4 Depth=1
	s_or_b32 exec_lo, exec_lo, s3
	s_and_saveexec_b32 s3, s5
	s_cbranch_execz .LBB109_3
	s_branch .LBB109_27
.LBB109_22:                             ;   in Loop: Header=BB109_4 Depth=1
	v_add_nc_u64_e32 v[46:47], s[12:13], v[20:21]
	v_add_nc_u64_e32 v[48:49], s[12:13], v[18:19]
	global_load_u16 v44, v[46:47], off
	global_load_u16 v50, v[48:49], off
	s_wait_loadcnt 0x0
	s_wait_xcnt 0x1
	v_dual_lshlrev_b32 v44, 16, v44 :: v_dual_lshlrev_b32 v46, 16, v50
	s_wait_xcnt 0x0
	s_or_b32 exec_lo, exec_lo, s15
	v_mov_b32_e32 v47, 0
	s_and_saveexec_b32 s15, s5
	s_cbranch_execz .LBB109_18
.LBB109_23:                             ;   in Loop: Header=BB109_4 Depth=1
	v_add_nc_u64_e32 v[48:49], s[12:13], v[22:23]
	global_load_u16 v47, v[48:49], off
	s_wait_loadcnt 0x0
	v_lshlrev_b32_e32 v47, 16, v47
	s_wait_xcnt 0x0
	s_or_b32 exec_lo, exec_lo, s15
	s_and_saveexec_b32 s15, vcc_lo
	s_cbranch_execz .LBB109_19
.LBB109_24:                             ;   in Loop: Header=BB109_4 Depth=1
	v_dual_mul_f32 v48, v37, v40 :: v_dual_fma_f32 v37, v37, v40, v36
	s_delay_alu instid0(VALU_DEP_1) | instskip(NEXT) | instid1(VALU_DEP_1)
	v_fmac_f32_e32 v36, s14, v48
	v_cndmask_b32_e64 v40, v36, v37, s2
	s_delay_alu instid0(VALU_DEP_1) | instskip(NEXT) | instid1(VALU_DEP_1)
	v_bfe_u32 v36, v40, 16, 1
	v_add3_u32 v36, v40, v36, 0x7fff
	s_delay_alu instid0(VALU_DEP_1) | instskip(SKIP_2) | instid1(VALU_DEP_3)
	v_lshrrev_b32_e32 v48, 16, v36
	v_cmp_o_f32_e32 vcc_lo, v40, v40
	v_add_nc_u64_e32 v[36:37], s[12:13], v[6:7]
	v_cndmask_b32_e32 v40, 0x7fc0, v48, vcc_lo
	global_store_b16 v[36:37], v40, off
	s_wait_xcnt 0x0
	s_or_b32 exec_lo, exec_lo, s15
	s_and_saveexec_b32 s15, s3
	s_cbranch_execz .LBB109_20
.LBB109_25:                             ;   in Loop: Header=BB109_4 Depth=1
	v_dual_mul_f32 v36, v38, v43 :: v_dual_fma_f32 v37, v38, v43, v39
	s_delay_alu instid0(VALU_DEP_1) | instskip(NEXT) | instid1(VALU_DEP_1)
	v_fmac_f32_e32 v39, s14, v36
	v_cndmask_b32_e64 v38, v39, v37, s2
	s_delay_alu instid0(VALU_DEP_1) | instskip(NEXT) | instid1(VALU_DEP_1)
	v_bfe_u32 v36, v38, 16, 1
	v_add3_u32 v36, v38, v36, 0x7fff
	s_delay_alu instid0(VALU_DEP_1) | instskip(SKIP_2) | instid1(VALU_DEP_3)
	v_lshrrev_b32_e32 v39, 16, v36
	v_cmp_o_f32_e32 vcc_lo, v38, v38
	v_add_nc_u64_e32 v[36:37], s[12:13], v[24:25]
	v_cndmask_b32_e32 v38, 0x7fc0, v39, vcc_lo
	global_store_b16 v[36:37], v38, off
	s_wait_xcnt 0x0
	s_or_b32 exec_lo, exec_lo, s15
	s_and_saveexec_b32 s3, s4
	s_cbranch_execz .LBB109_21
.LBB109_26:                             ;   in Loop: Header=BB109_4 Depth=1
	v_dual_mul_f32 v36, v41, v45 :: v_dual_fma_f32 v37, v41, v45, v42
	s_delay_alu instid0(VALU_DEP_1) | instskip(NEXT) | instid1(VALU_DEP_1)
	v_fmac_f32_e32 v42, s14, v36
	v_cndmask_b32_e64 v38, v42, v37, s2
	s_delay_alu instid0(VALU_DEP_1) | instskip(SKIP_1) | instid1(VALU_DEP_2)
	v_bfe_u32 v36, v38, 16, 1
	v_cmp_o_f32_e32 vcc_lo, v38, v38
	v_add3_u32 v36, v38, v36, 0x7fff
	s_delay_alu instid0(VALU_DEP_1) | instskip(SKIP_1) | instid1(VALU_DEP_2)
	v_lshrrev_b32_e32 v39, 16, v36
	v_add_nc_u64_e32 v[36:37], s[12:13], v[28:29]
	v_cndmask_b32_e32 v38, 0x7fc0, v39, vcc_lo
	global_store_b16 v[36:37], v38, off
	s_wait_xcnt 0x0
	s_or_b32 exec_lo, exec_lo, s3
	s_and_saveexec_b32 s3, s5
	s_cbranch_execz .LBB109_3
.LBB109_27:                             ;   in Loop: Header=BB109_4 Depth=1
	v_dual_mul_f32 v36, v44, v47 :: v_dual_fma_f32 v37, v44, v47, v46
	s_delay_alu instid0(VALU_DEP_1) | instskip(NEXT) | instid1(VALU_DEP_1)
	v_fmac_f32_e32 v46, s14, v36
	v_cndmask_b32_e64 v38, v46, v37, s2
	s_delay_alu instid0(VALU_DEP_1) | instskip(SKIP_1) | instid1(VALU_DEP_2)
	v_bfe_u32 v36, v38, 16, 1
	v_cmp_o_f32_e32 vcc_lo, v38, v38
	v_add3_u32 v36, v38, v36, 0x7fff
	s_delay_alu instid0(VALU_DEP_1) | instskip(SKIP_1) | instid1(VALU_DEP_2)
	v_lshrrev_b32_e32 v39, 16, v36
	v_add_nc_u64_e32 v[36:37], s[12:13], v[18:19]
	v_cndmask_b32_e32 v38, 0x7fc0, v39, vcc_lo
	global_store_b16 v[36:37], v38, off
	s_branch .LBB109_3
.LBB109_28:
	s_mov_b32 s2, 0
.LBB109_29:
	s_delay_alu instid0(SALU_CYCLE_1)
	s_and_not1_b32 vcc_lo, exec_lo, s2
	s_cbranch_vccnz .LBB109_33
; %bb.30:
	v_min_i64 v[2:3], 0x10000, s[16:17]
	v_dual_mov_b32 v7, 0 :: v_dual_lshlrev_b32 v6, 2, v0
	s_mov_b32 s2, exec_lo
	s_delay_alu instid0(VALU_DEP_1)
	v_cmpx_lt_i64_e64 v[6:7], v[2:3]
	s_cbranch_execz .LBB109_33
; %bb.31:
	s_load_b32 s0, s[0:1], 0xd14
	v_dual_mov_b32 v1, v7 :: v_dual_lshlrev_b32 v6, 3, v0
	s_wait_kmcnt 0x0
	s_mov_b32 s15, s14
	s_cmp_eq_f32 s14, 1.0
	v_mov_b64_e32 v[4:5], s[14:15]
	s_mov_b32 s3, 0
	v_add_nc_u64_e32 v[6:7], s[12:13], v[6:7]
	s_cselect_b32 vcc_lo, -1, 0
	s_mov_b32 s5, s3
	s_mov_b32 s12, s3
	s_and_b32 s2, s0, 0xffff
	s_delay_alu instid0(SALU_CYCLE_1)
	s_lshl_b32 s4, s2, 3
.LBB109_32:                             ; =>This Inner Loop Header: Depth=1
	s_delay_alu instid0(VALU_DEP_1)
	v_add_nc_u64_e32 v[8:9], s[6:7], v[6:7]
	v_add_nc_u64_e32 v[10:11], s[8:9], v[6:7]
	;; [unrolled: 1-line block ×5, first 2 shown]
	global_load_b64 v[14:15], v[8:9], off
	global_load_b64 v[16:17], v[10:11], off
	;; [unrolled: 1-line block ×3, first 2 shown]
	s_wait_xcnt 0x2
	v_lshlrev_b64_e32 v[8:9], 2, v[0:1]
	s_wait_loadcnt 0x2
	v_lshlrev_b32_e32 v21, 16, v14
	v_and_b32_e32 v20, 0xffff0000, v14
	s_wait_loadcnt 0x0
	s_wait_xcnt 0x1
	v_dual_lshlrev_b32 v11, 16, v18 :: v_dual_lshlrev_b32 v23, 16, v16
	v_and_b32_e32 v10, 0xffff0000, v18
	v_and_b32_e32 v22, 0xffff0000, v16
	v_alignbit_b32 v26, v19, v18, 16
	v_and_b32_e32 v18, 0xffff0000, v19
	v_alignbit_b32 v19, v15, v14, 16
	v_alignbit_b32 v27, v17, v16, 16
	v_and_b32_e32 v14, 0xffff0000, v15
	v_and_b32_e32 v16, 0xffff0000, v17
	v_pk_mul_f32 v[24:25], v[20:21], v[22:23]
	v_and_b32_e32 v15, 0xffff0000, v19
	v_and_b32_e32 v17, 0xffff0000, v27
	v_pk_fma_f32 v[20:21], v[20:21], v[22:23], v[10:11]
	v_and_b32_e32 v19, 0xffff0000, v26
	v_pk_fma_f32 v[10:11], v[4:5], v[24:25], v[10:11]
	s_delay_alu instid0(VALU_DEP_4) | instskip(NEXT) | instid1(VALU_DEP_3)
	v_pk_mul_f32 v[22:23], v[14:15], v[16:17]
	v_pk_fma_f32 v[14:15], v[14:15], v[16:17], v[18:19]
	s_delay_alu instid0(VALU_DEP_3) | instskip(NEXT) | instid1(VALU_DEP_3)
	v_dual_cndmask_b32 v16, v11, v21 :: v_dual_cndmask_b32 v17, v10, v20
	v_pk_fma_f32 v[10:11], v[4:5], v[22:23], v[18:19]
	s_delay_alu instid0(VALU_DEP_2) | instskip(NEXT) | instid1(VALU_DEP_2)
	v_bfe_u32 v19, v17, 16, 1
	v_cndmask_b32_e32 v11, v11, v15, vcc_lo
	s_delay_alu instid0(VALU_DEP_4) | instskip(NEXT) | instid1(VALU_DEP_4)
	v_bfe_u32 v18, v16, 16, 1
	v_cndmask_b32_e32 v10, v10, v14, vcc_lo
	v_cmp_o_f32_e64 s0, v17, v17
	v_add3_u32 v15, v17, v19, 0x7fff
	v_cmp_o_f32_e64 s1, v16, v16
	v_add3_u32 v14, v16, v18, 0x7fff
	v_bfe_u32 v18, v11, 16, 1
	s_delay_alu instid0(VALU_DEP_4) | instskip(NEXT) | instid1(VALU_DEP_3)
	v_and_b32_e32 v15, 0xffff0000, v15
	v_lshrrev_b32_e32 v14, 16, v14
	v_bfe_u32 v19, v10, 16, 1
	s_delay_alu instid0(VALU_DEP_4) | instskip(NEXT) | instid1(VALU_DEP_4)
	v_add3_u32 v18, v11, v18, 0x7fff
	v_cndmask_b32_e64 v15, 0x7fc00000, v15, s0
	v_cmp_o_f32_e64 s0, v10, v10
	v_cndmask_b32_e64 v14, 0x7fc0, v14, s1
	v_add3_u32 v19, v10, v19, 0x7fff
	v_lshrrev_b32_e32 v16, 16, v18
	v_cmp_o_f32_e64 s1, v11, v11
	s_delay_alu instid0(VALU_DEP_4) | instskip(NEXT) | instid1(VALU_DEP_4)
	v_or_b32_e32 v14, v14, v15
	v_and_b32_e32 v17, 0xffff0000, v19
	s_delay_alu instid0(VALU_DEP_3) | instskip(NEXT) | instid1(VALU_DEP_2)
	v_cndmask_b32_e64 v10, 0x7fc0, v16, s1
	v_cndmask_b32_e64 v11, 0x7fc00000, v17, s0
	v_cmp_ge_i64_e64 s0, v[8:9], v[2:3]
	v_or3_b32 v8, v14, 0, 0
	s_delay_alu instid0(VALU_DEP_3)
	v_or3_b32 v9, 0, v10, v11
	s_or_b32 s12, s0, s12
	global_store_b64 v[12:13], v[8:9], off
	s_wait_xcnt 0x0
	s_and_not1_b32 exec_lo, exec_lo, s12
	s_cbranch_execnz .LBB109_32
.LBB109_33:
	s_endpgm
	.section	.rodata,"a",@progbits
	.p2align	6, 0x0
	.amdhsa_kernel _ZN2at6native12_GLOBAL__N_125multi_tensor_apply_kernelINS1_28TensorListScalarListMetadataIfLi3EEENS1_28PointwiseOpScalarListFunctorIN3c108BFloat16ELi3ELi3ELi0EEEJSt10multipliesIfEEEEvT_T0_DpT1_
		.amdhsa_group_segment_fixed_size 0
		.amdhsa_private_segment_fixed_size 0
		.amdhsa_kernarg_size 3592
		.amdhsa_user_sgpr_count 2
		.amdhsa_user_sgpr_dispatch_ptr 0
		.amdhsa_user_sgpr_queue_ptr 0
		.amdhsa_user_sgpr_kernarg_segment_ptr 1
		.amdhsa_user_sgpr_dispatch_id 0
		.amdhsa_user_sgpr_kernarg_preload_length 0
		.amdhsa_user_sgpr_kernarg_preload_offset 0
		.amdhsa_user_sgpr_private_segment_size 0
		.amdhsa_wavefront_size32 1
		.amdhsa_uses_dynamic_stack 0
		.amdhsa_enable_private_segment 0
		.amdhsa_system_sgpr_workgroup_id_x 1
		.amdhsa_system_sgpr_workgroup_id_y 0
		.amdhsa_system_sgpr_workgroup_id_z 0
		.amdhsa_system_sgpr_workgroup_info 0
		.amdhsa_system_vgpr_workitem_id 0
		.amdhsa_next_free_vgpr 51
		.amdhsa_next_free_sgpr 24
		.amdhsa_named_barrier_count 0
		.amdhsa_reserve_vcc 1
		.amdhsa_float_round_mode_32 0
		.amdhsa_float_round_mode_16_64 0
		.amdhsa_float_denorm_mode_32 3
		.amdhsa_float_denorm_mode_16_64 3
		.amdhsa_fp16_overflow 0
		.amdhsa_memory_ordered 1
		.amdhsa_forward_progress 1
		.amdhsa_inst_pref_size 18
		.amdhsa_round_robin_scheduling 0
		.amdhsa_exception_fp_ieee_invalid_op 0
		.amdhsa_exception_fp_denorm_src 0
		.amdhsa_exception_fp_ieee_div_zero 0
		.amdhsa_exception_fp_ieee_overflow 0
		.amdhsa_exception_fp_ieee_underflow 0
		.amdhsa_exception_fp_ieee_inexact 0
		.amdhsa_exception_int_div_zero 0
	.end_amdhsa_kernel
	.section	.text._ZN2at6native12_GLOBAL__N_125multi_tensor_apply_kernelINS1_28TensorListScalarListMetadataIfLi3EEENS1_28PointwiseOpScalarListFunctorIN3c108BFloat16ELi3ELi3ELi0EEEJSt10multipliesIfEEEEvT_T0_DpT1_,"axG",@progbits,_ZN2at6native12_GLOBAL__N_125multi_tensor_apply_kernelINS1_28TensorListScalarListMetadataIfLi3EEENS1_28PointwiseOpScalarListFunctorIN3c108BFloat16ELi3ELi3ELi0EEEJSt10multipliesIfEEEEvT_T0_DpT1_,comdat
.Lfunc_end109:
	.size	_ZN2at6native12_GLOBAL__N_125multi_tensor_apply_kernelINS1_28TensorListScalarListMetadataIfLi3EEENS1_28PointwiseOpScalarListFunctorIN3c108BFloat16ELi3ELi3ELi0EEEJSt10multipliesIfEEEEvT_T0_DpT1_, .Lfunc_end109-_ZN2at6native12_GLOBAL__N_125multi_tensor_apply_kernelINS1_28TensorListScalarListMetadataIfLi3EEENS1_28PointwiseOpScalarListFunctorIN3c108BFloat16ELi3ELi3ELi0EEEJSt10multipliesIfEEEEvT_T0_DpT1_
                                        ; -- End function
	.set _ZN2at6native12_GLOBAL__N_125multi_tensor_apply_kernelINS1_28TensorListScalarListMetadataIfLi3EEENS1_28PointwiseOpScalarListFunctorIN3c108BFloat16ELi3ELi3ELi0EEEJSt10multipliesIfEEEEvT_T0_DpT1_.num_vgpr, 51
	.set _ZN2at6native12_GLOBAL__N_125multi_tensor_apply_kernelINS1_28TensorListScalarListMetadataIfLi3EEENS1_28PointwiseOpScalarListFunctorIN3c108BFloat16ELi3ELi3ELi0EEEJSt10multipliesIfEEEEvT_T0_DpT1_.num_agpr, 0
	.set _ZN2at6native12_GLOBAL__N_125multi_tensor_apply_kernelINS1_28TensorListScalarListMetadataIfLi3EEENS1_28PointwiseOpScalarListFunctorIN3c108BFloat16ELi3ELi3ELi0EEEJSt10multipliesIfEEEEvT_T0_DpT1_.numbered_sgpr, 24
	.set _ZN2at6native12_GLOBAL__N_125multi_tensor_apply_kernelINS1_28TensorListScalarListMetadataIfLi3EEENS1_28PointwiseOpScalarListFunctorIN3c108BFloat16ELi3ELi3ELi0EEEJSt10multipliesIfEEEEvT_T0_DpT1_.num_named_barrier, 0
	.set _ZN2at6native12_GLOBAL__N_125multi_tensor_apply_kernelINS1_28TensorListScalarListMetadataIfLi3EEENS1_28PointwiseOpScalarListFunctorIN3c108BFloat16ELi3ELi3ELi0EEEJSt10multipliesIfEEEEvT_T0_DpT1_.private_seg_size, 0
	.set _ZN2at6native12_GLOBAL__N_125multi_tensor_apply_kernelINS1_28TensorListScalarListMetadataIfLi3EEENS1_28PointwiseOpScalarListFunctorIN3c108BFloat16ELi3ELi3ELi0EEEJSt10multipliesIfEEEEvT_T0_DpT1_.uses_vcc, 1
	.set _ZN2at6native12_GLOBAL__N_125multi_tensor_apply_kernelINS1_28TensorListScalarListMetadataIfLi3EEENS1_28PointwiseOpScalarListFunctorIN3c108BFloat16ELi3ELi3ELi0EEEJSt10multipliesIfEEEEvT_T0_DpT1_.uses_flat_scratch, 0
	.set _ZN2at6native12_GLOBAL__N_125multi_tensor_apply_kernelINS1_28TensorListScalarListMetadataIfLi3EEENS1_28PointwiseOpScalarListFunctorIN3c108BFloat16ELi3ELi3ELi0EEEJSt10multipliesIfEEEEvT_T0_DpT1_.has_dyn_sized_stack, 0
	.set _ZN2at6native12_GLOBAL__N_125multi_tensor_apply_kernelINS1_28TensorListScalarListMetadataIfLi3EEENS1_28PointwiseOpScalarListFunctorIN3c108BFloat16ELi3ELi3ELi0EEEJSt10multipliesIfEEEEvT_T0_DpT1_.has_recursion, 0
	.set _ZN2at6native12_GLOBAL__N_125multi_tensor_apply_kernelINS1_28TensorListScalarListMetadataIfLi3EEENS1_28PointwiseOpScalarListFunctorIN3c108BFloat16ELi3ELi3ELi0EEEJSt10multipliesIfEEEEvT_T0_DpT1_.has_indirect_call, 0
	.section	.AMDGPU.csdata,"",@progbits
; Kernel info:
; codeLenInByte = 2196
; TotalNumSgprs: 26
; NumVgprs: 51
; ScratchSize: 0
; MemoryBound: 0
; FloatMode: 240
; IeeeMode: 1
; LDSByteSize: 0 bytes/workgroup (compile time only)
; SGPRBlocks: 0
; VGPRBlocks: 3
; NumSGPRsForWavesPerEU: 26
; NumVGPRsForWavesPerEU: 51
; NamedBarCnt: 0
; Occupancy: 16
; WaveLimiterHint : 0
; COMPUTE_PGM_RSRC2:SCRATCH_EN: 0
; COMPUTE_PGM_RSRC2:USER_SGPR: 2
; COMPUTE_PGM_RSRC2:TRAP_HANDLER: 0
; COMPUTE_PGM_RSRC2:TGID_X_EN: 1
; COMPUTE_PGM_RSRC2:TGID_Y_EN: 0
; COMPUTE_PGM_RSRC2:TGID_Z_EN: 0
; COMPUTE_PGM_RSRC2:TIDIG_COMP_CNT: 0
	.section	.text._ZN2at6native12_GLOBAL__N_125multi_tensor_apply_kernelINS1_28TensorListScalarListMetadataIhLi4EEENS1_28PointwiseOpScalarListFunctorIhLi4ELi3ELi3EEEJSt7dividesIhEEEEvT_T0_DpT1_,"axG",@progbits,_ZN2at6native12_GLOBAL__N_125multi_tensor_apply_kernelINS1_28TensorListScalarListMetadataIhLi4EEENS1_28PointwiseOpScalarListFunctorIhLi4ELi3ELi3EEEJSt7dividesIhEEEEvT_T0_DpT1_,comdat
	.globl	_ZN2at6native12_GLOBAL__N_125multi_tensor_apply_kernelINS1_28TensorListScalarListMetadataIhLi4EEENS1_28PointwiseOpScalarListFunctorIhLi4ELi3ELi3EEEJSt7dividesIhEEEEvT_T0_DpT1_ ; -- Begin function _ZN2at6native12_GLOBAL__N_125multi_tensor_apply_kernelINS1_28TensorListScalarListMetadataIhLi4EEENS1_28PointwiseOpScalarListFunctorIhLi4ELi3ELi3EEEJSt7dividesIhEEEEvT_T0_DpT1_
	.p2align	8
	.type	_ZN2at6native12_GLOBAL__N_125multi_tensor_apply_kernelINS1_28TensorListScalarListMetadataIhLi4EEENS1_28PointwiseOpScalarListFunctorIhLi4ELi3ELi3EEEJSt7dividesIhEEEEvT_T0_DpT1_,@function
_ZN2at6native12_GLOBAL__N_125multi_tensor_apply_kernelINS1_28TensorListScalarListMetadataIhLi4EEENS1_28PointwiseOpScalarListFunctorIhLi4ELi3ELi3EEEJSt7dividesIhEEEEvT_T0_DpT1_: ; @_ZN2at6native12_GLOBAL__N_125multi_tensor_apply_kernelINS1_28TensorListScalarListMetadataIhLi4EEENS1_28PointwiseOpScalarListFunctorIhLi4ELi3ELi3EEEJSt7dividesIhEEEEvT_T0_DpT1_
; %bb.0:
	s_bfe_u32 s2, ttmp6, 0x4000c
	s_and_b32 s3, ttmp6, 15
	s_add_co_i32 s2, s2, 1
	s_getreg_b32 s4, hwreg(HW_REG_IB_STS2, 6, 4)
	s_mul_i32 s2, ttmp9, s2
	s_mov_b32 s13, 0
	s_add_co_i32 s3, s3, s2
	s_cmp_eq_u32 s4, 0
	v_mov_b32_e32 v3, 0
	s_cselect_b32 s12, ttmp9, s3
	s_delay_alu instid0(SALU_CYCLE_1) | instskip(SKIP_2) | instid1(SALU_CYCLE_1)
	v_mov_b32_e32 v1, s12
	s_add_nc_u64 s[2:3], s[0:1], s[12:13]
	s_mul_u64 s[4:5], s[12:13], 3
	s_add_nc_u64 s[2:3], s[2:3], s[4:5]
	global_load_u8 v1, v1, s[0:1] offset:1476
	s_load_b32 s10, s[2:3], 0x704
	s_wait_loadcnt 0x0
	v_readfirstlane_b32 s6, v1
	s_delay_alu instid0(VALU_DEP_1) | instskip(SKIP_1) | instid1(VALU_DEP_1)
	v_mov_b32_e32 v2, s6
	s_and_b32 s11, s6, 0xff
	v_and_b32_e32 v2, 0xff, v2
	s_delay_alu instid0(VALU_DEP_1)
	v_add_nc_u64_e32 v[2:3], s[0:1], v[2:3]
	global_load_u8 v44, v[2:3], off offset:1440
	s_clause 0x4
	s_load_b64 s[2:3], s[0:1], s11 offset:0x120 scale_offset
	s_load_b64 s[4:5], s[0:1], s11 offset:0x240 scale_offset
	;; [unrolled: 1-line block ×5, first 2 shown]
	s_wait_kmcnt 0x0
	s_ashr_i32 s11, s10, 31
	s_delay_alu instid0(SALU_CYCLE_1) | instskip(NEXT) | instid1(SALU_CYCLE_1)
	s_lshl_b64 s[10:11], s[10:11], 16
	s_add_nc_u64 s[16:17], s[2:3], s[10:11]
	s_delay_alu instid0(SALU_CYCLE_1)
	s_and_b32 s12, s16, 3
	s_add_nc_u64 s[16:17], s[4:5], s[10:11]
	s_cmp_eq_u64 s[12:13], 0
	s_cselect_b32 s18, -1, 0
	s_or_b32 s12, s6, s16
	s_add_nc_u64 s[16:17], s[8:9], s[10:11]
	s_and_b32 s12, s12, 3
	s_delay_alu instid0(SALU_CYCLE_1) | instskip(SKIP_2) | instid1(SALU_CYCLE_1)
	s_cmp_eq_u32 s12, 0
	s_cselect_b32 s19, -1, 0
	s_or_b64 s[16:17], s[14:15], s[16:17]
	s_and_b32 s12, s16, 3
	s_and_b32 s16, s19, s18
	s_cmp_eq_u64 s[12:13], 0
	s_cselect_b32 s12, -1, 0
	s_delay_alu instid0(SALU_CYCLE_1)
	s_and_b32 s16, s16, s12
	s_sub_nc_u64 s[12:13], s[14:15], s[10:11]
	s_and_b32 vcc_lo, exec_lo, s16
	s_mov_b32 s14, -1
	s_cbranch_vccnz .LBB110_19
; %bb.1:
	v_cmp_lt_i64_e64 s14, s[12:13], 1
	s_and_b32 vcc_lo, exec_lo, s14
	s_cbranch_vccnz .LBB110_18
; %bb.2:
	s_load_b32 s14, s[0:1], 0xc1c
	v_min_i64 v[2:3], 0x10000, s[12:13]
	v_min_u64 v[4:5], 0x10000, s[12:13]
	v_mov_b32_e32 v1, 0
	s_mov_b32 s15, 0
	s_delay_alu instid0(SALU_CYCLE_1) | instskip(SKIP_1) | instid1(VALU_DEP_1)
	s_mov_b32 s17, s15
	s_mov_b32 s19, s15
	v_add_nc_u64_e32 v[14:15], s[10:11], v[0:1]
	s_delay_alu instid0(VALU_DEP_1)
	v_add_nc_u64_e32 v[6:7], s[8:9], v[14:15]
	v_add_nc_u64_e32 v[8:9], s[2:3], v[14:15]
	;; [unrolled: 1-line block ×4, first 2 shown]
	s_wait_kmcnt 0x0
	s_and_b32 s14, s14, 0xffff
	s_delay_alu instid0(SALU_CYCLE_1)
	s_lshl_b32 s16, s14, 1
	s_mul_i32 s18, s14, 3
	s_add_nc_u64 s[22:23], s[10:11], s[16:17]
	s_add_nc_u64 s[20:21], s[10:11], s[18:19]
	v_add_nc_u64_e32 v[24:25], s[14:15], v[14:15]
	v_add_nc_u64_e32 v[34:35], s[20:21], v[0:1]
	;; [unrolled: 1-line block ×6, first 2 shown]
	s_lshl_b32 s14, s14, 2
	v_add_nc_u64_e32 v[18:19], s[6:7], v[24:25]
	v_add_nc_u64_e32 v[20:21], s[8:9], v[24:25]
	;; [unrolled: 1-line block ×12, first 2 shown]
	s_mov_b64 s[16:17], 0
	s_branch .LBB110_4
.LBB110_3:                              ;   in Loop: Header=BB110_4 Depth=1
	s_wait_xcnt 0x0
	s_or_b32 exec_lo, exec_lo, s18
	v_add_nc_u64_e32 v[56:57], s[16:17], v[34:35]
	s_wait_loadcnt 0x0
	v_cvt_f32_ubyte0_e32 v52, v52
	v_cvt_f32_ubyte0_e32 v48, v48
	;; [unrolled: 1-line block ×4, first 2 shown]
	global_load_u8 v56, v[56:57], off
	s_wait_xcnt 0x0
	v_rcp_iflag_f32_e32 v57, v52
	v_nop
	s_delay_alu instid0(TRANS32_DEP_1) | instskip(NEXT) | instid1(VALU_DEP_1)
	v_mul_f32_e32 v57, v48, v57
	v_trunc_f32_e32 v57, v57
	s_delay_alu instid0(VALU_DEP_1) | instskip(SKIP_1) | instid1(VALU_DEP_2)
	v_fma_f32 v48, -v57, v52, v48
	v_cvt_u32_f32_e32 v57, v57
	v_cmp_ge_f32_e64 vcc_lo, |v48|, v52
	s_delay_alu instid0(VALU_DEP_1) | instskip(NEXT) | instid1(VALU_DEP_1)
	v_add_co_ci_u32_e64 v48, null, 0, v57, vcc_lo
	v_mad_u16 v48, v48, v44, v49
	v_cvt_f32_ubyte0_e32 v49, v50
	v_cvt_f32_ubyte0_e32 v50, v54
	s_delay_alu instid0(VALU_DEP_1) | instskip(SKIP_1) | instid1(TRANS32_DEP_1)
	v_rcp_iflag_f32_e32 v52, v50
	v_nop
	v_mul_f32_e32 v52, v49, v52
	s_delay_alu instid0(VALU_DEP_1) | instskip(NEXT) | instid1(VALU_DEP_1)
	v_trunc_f32_e32 v52, v52
	v_fma_f32 v49, -v52, v50, v49
	v_cvt_u32_f32_e32 v52, v52
	s_delay_alu instid0(VALU_DEP_2) | instskip(SKIP_1) | instid1(VALU_DEP_2)
	v_cmp_ge_f32_e64 vcc_lo, |v49|, v50
	v_cvt_f32_ubyte0_e32 v50, v53
	v_add_co_ci_u32_e64 v49, null, 0, v52, vcc_lo
	s_delay_alu instid0(VALU_DEP_1) | instskip(SKIP_2) | instid1(VALU_DEP_1)
	v_mad_u16 v49, v49, v44, v51
	s_wait_loadcnt 0x0
	v_cvt_f32_ubyte0_e32 v51, v56
	v_rcp_iflag_f32_e32 v52, v51
	v_nop
	s_delay_alu instid0(TRANS32_DEP_1) | instskip(NEXT) | instid1(VALU_DEP_1)
	v_mul_f32_e32 v52, v50, v52
	v_trunc_f32_e32 v52, v52
	s_delay_alu instid0(VALU_DEP_1) | instskip(SKIP_1) | instid1(VALU_DEP_2)
	v_fma_f32 v50, -v52, v51, v50
	v_cvt_u32_f32_e32 v52, v52
	v_cmp_ge_f32_e64 vcc_lo, |v50|, v51
	v_rcp_iflag_f32_e32 v51, v47
	s_delay_alu instid0(VALU_DEP_1) | instskip(NEXT) | instid1(TRANS32_DEP_1)
	v_add_co_ci_u32_e64 v50, null, 0, v52, vcc_lo
	v_mul_f32_e32 v51, v46, v51
	s_delay_alu instid0(VALU_DEP_2) | instskip(NEXT) | instid1(VALU_DEP_2)
	v_mad_u16 v50, v50, v44, v55
	v_trunc_f32_e32 v51, v51
	s_delay_alu instid0(VALU_DEP_1) | instskip(SKIP_1) | instid1(VALU_DEP_2)
	v_fma_f32 v46, -v51, v47, v46
	v_cvt_u32_f32_e32 v51, v51
	v_cmp_ge_f32_e64 vcc_lo, |v46|, v47
	s_delay_alu instid0(VALU_DEP_1) | instskip(NEXT) | instid1(VALU_DEP_1)
	v_add_co_ci_u32_e64 v46, null, 0, v51, vcc_lo
	v_mad_u16 v45, v46, v44, v45
	v_add_nc_u64_e32 v[46:47], s[16:17], v[12:13]
	global_store_b8 v[46:47], v45, off
	s_wait_xcnt 0x0
	v_add_nc_u64_e32 v[46:47], s[16:17], v[18:19]
	global_store_b8 v[46:47], v48, off
	s_wait_xcnt 0x0
	;; [unrolled: 3-line block ×3, first 2 shown]
	v_add_nc_u64_e32 v[46:47], s[16:17], v[26:27]
	s_add_nc_u64 s[16:17], s[16:17], s[14:15]
	s_delay_alu instid0(SALU_CYCLE_1)
	v_cmp_lt_i64_e32 vcc_lo, s[16:17], v[2:3]
	global_store_b8 v[46:47], v50, off
	s_cbranch_vccz .LBB110_18
.LBB110_4:                              ; =>This Inner Loop Header: Depth=1
	s_wait_xcnt 0x0
	v_add_nc_u64_e32 v[46:47], s[16:17], v[0:1]
	v_mov_b32_e32 v45, 0
	s_delay_alu instid0(VALU_DEP_2)
	v_cmp_lt_u64_e32 vcc_lo, v[46:47], v[4:5]
	v_mov_b32_e32 v46, 0
	s_and_saveexec_b32 s18, vcc_lo
	s_cbranch_execz .LBB110_6
; %bb.5:                                ;   in Loop: Header=BB110_4 Depth=1
	v_add_nc_u64_e32 v[48:49], s[16:17], v[6:7]
	v_add_nc_u64_e32 v[50:51], s[16:17], v[8:9]
	global_load_u8 v45, v[48:49], off
	global_load_u8 v46, v[50:51], off
.LBB110_6:                              ;   in Loop: Header=BB110_4 Depth=1
	s_wait_xcnt 0x0
	s_or_b32 exec_lo, exec_lo, s18
	v_dual_mov_b32 v48, 0 :: v_dual_mov_b32 v47, 0
	s_and_saveexec_b32 s18, vcc_lo
	s_cbranch_execz .LBB110_8
; %bb.7:                                ;   in Loop: Header=BB110_4 Depth=1
	v_add_nc_u64_e32 v[50:51], s[16:17], v[10:11]
	global_load_u8 v47, v[50:51], off
.LBB110_8:                              ;   in Loop: Header=BB110_4 Depth=1
	s_wait_xcnt 0x0
	s_or_b32 exec_lo, exec_lo, s18
	v_add_nc_u64_e32 v[50:51], s[16:17], v[42:43]
	v_mov_b32_e32 v49, 0
	s_delay_alu instid0(VALU_DEP_2)
	v_cmp_lt_u64_e32 vcc_lo, v[50:51], v[4:5]
	s_and_saveexec_b32 s18, vcc_lo
	s_cbranch_execz .LBB110_10
; %bb.9:                                ;   in Loop: Header=BB110_4 Depth=1
	v_add_nc_u64_e32 v[50:51], s[16:17], v[20:21]
	v_add_nc_u64_e32 v[52:53], s[16:17], v[22:23]
	global_load_u8 v49, v[50:51], off
	global_load_u8 v48, v[52:53], off
.LBB110_10:                             ;   in Loop: Header=BB110_4 Depth=1
	s_wait_xcnt 0x0
	s_or_b32 exec_lo, exec_lo, s18
	v_dual_mov_b32 v50, 0 :: v_dual_mov_b32 v52, 0
	s_and_saveexec_b32 s18, vcc_lo
	s_cbranch_execz .LBB110_12
; %bb.11:                               ;   in Loop: Header=BB110_4 Depth=1
	v_add_nc_u64_e32 v[52:53], s[16:17], v[24:25]
	global_load_u8 v52, v[52:53], off
.LBB110_12:                             ;   in Loop: Header=BB110_4 Depth=1
	s_wait_xcnt 0x0
	s_or_b32 exec_lo, exec_lo, s18
	v_add_nc_u64_e32 v[54:55], s[16:17], v[16:17]
	v_mov_b32_e32 v51, 0
	s_delay_alu instid0(VALU_DEP_2)
	v_cmp_lt_u64_e32 vcc_lo, v[54:55], v[4:5]
	s_and_saveexec_b32 s18, vcc_lo
	s_cbranch_execz .LBB110_14
; %bb.13:                               ;   in Loop: Header=BB110_4 Depth=1
	v_add_nc_u64_e32 v[54:55], s[16:17], v[36:37]
	v_add_nc_u64_e32 v[56:57], s[16:17], v[38:39]
	global_load_u8 v51, v[54:55], off
	global_load_u8 v50, v[56:57], off
.LBB110_14:                             ;   in Loop: Header=BB110_4 Depth=1
	s_wait_xcnt 0x0
	s_or_b32 exec_lo, exec_lo, s18
	v_dual_mov_b32 v53, 0 :: v_dual_mov_b32 v54, 0
	s_and_saveexec_b32 s18, vcc_lo
	s_cbranch_execz .LBB110_16
; %bb.15:                               ;   in Loop: Header=BB110_4 Depth=1
	v_add_nc_u64_e32 v[54:55], s[16:17], v[40:41]
	global_load_u8 v54, v[54:55], off
.LBB110_16:                             ;   in Loop: Header=BB110_4 Depth=1
	s_wait_xcnt 0x0
	s_or_b32 exec_lo, exec_lo, s18
	v_add_nc_u64_e32 v[56:57], s[16:17], v[14:15]
	v_mov_b32_e32 v55, 0
	s_mov_b32 s18, exec_lo
	s_delay_alu instid0(VALU_DEP_2)
	v_cmpx_lt_u64_e64 v[56:57], v[4:5]
	s_cbranch_execz .LBB110_3
; %bb.17:                               ;   in Loop: Header=BB110_4 Depth=1
	v_add_nc_u64_e32 v[56:57], s[16:17], v[30:31]
	v_add_nc_u64_e32 v[58:59], s[16:17], v[32:33]
	global_load_u8 v55, v[56:57], off
	global_load_u8 v53, v[58:59], off
	s_branch .LBB110_3
.LBB110_18:
	s_mov_b32 s14, 0
.LBB110_19:
	s_delay_alu instid0(SALU_CYCLE_1)
	s_and_not1_b32 vcc_lo, exec_lo, s14
	s_cbranch_vccnz .LBB110_23
; %bb.20:
	v_min_i64 v[2:3], 0x10000, s[12:13]
	v_dual_mov_b32 v5, 0 :: v_dual_lshlrev_b32 v4, 2, v0
	s_mov_b32 s12, exec_lo
	s_wait_xcnt 0x0
	s_delay_alu instid0(VALU_DEP_1)
	v_cmpx_lt_i64_e64 v[4:5], v[2:3]
	s_cbranch_execz .LBB110_23
; %bb.21:
	s_load_b32 s0, s[0:1], 0xc1c
	v_mov_b32_e32 v1, v5
	v_add_nc_u64_e32 v[4:5], s[10:11], v[4:5]
	s_wait_xcnt 0x0
	s_mov_b32 s1, 0
	s_delay_alu instid0(SALU_CYCLE_1) | instskip(SKIP_3) | instid1(SALU_CYCLE_1)
	s_mov_b32 s11, s1
	s_mov_b32 s12, s1
	s_wait_kmcnt 0x0
	s_and_b32 s0, s0, 0xffff
	s_lshl_b32 s10, s0, 2
.LBB110_22:                             ; =>This Inner Loop Header: Depth=1
	v_add_nc_u64_e32 v[6:7], s[2:3], v[4:5]
	v_add_nc_u64_e32 v[8:9], s[4:5], v[4:5]
	;; [unrolled: 1-line block ×4, first 2 shown]
	global_load_b32 v12, v[6:7], off
	global_load_b32 v13, v[8:9], off
	;; [unrolled: 1-line block ×3, first 2 shown]
	s_wait_loadcnt 0x2
	s_wait_xcnt 0x2
	v_cvt_f32_ubyte0_e32 v6, v12
	s_wait_loadcnt 0x1
	v_cvt_f32_ubyte0_e32 v7, v13
	s_wait_xcnt 0x0
	v_cvt_f32_ubyte1_e32 v10, v13
	v_cvt_f32_ubyte2_e32 v16, v13
	v_cvt_f32_ubyte3_e32 v13, v13
	v_cvt_f32_ubyte1_e32 v9, v12
	v_rcp_iflag_f32_e32 v18, v7
	v_rcp_iflag_f32_e32 v19, v10
	;; [unrolled: 1-line block ×3, first 2 shown]
	v_cvt_f32_ubyte2_e32 v15, v12
	v_rcp_iflag_f32_e32 v21, v13
	s_wait_loadcnt 0x0
	v_lshrrev_b32_e32 v17, 24, v14
	v_cvt_f32_ubyte3_e32 v12, v12
	v_dual_mul_f32 v18, v6, v18 :: v_dual_mul_f32 v19, v9, v19
	v_dual_mul_f32 v20, v15, v20 :: v_dual_lshrrev_b32 v8, 8, v14
	v_lshrrev_b32_e32 v11, 16, v14
	s_delay_alu instid0(VALU_DEP_3) | instskip(SKIP_3) | instid1(VALU_DEP_4)
	v_trunc_f32_e32 v18, v18
	v_mul_f32_e32 v21, v12, v21
	v_trunc_f32_e32 v19, v19
	v_trunc_f32_e32 v20, v20
	v_fma_f32 v6, -v18, v7, v6
	v_cvt_u32_f32_e32 v18, v18
	s_delay_alu instid0(VALU_DEP_3) | instskip(SKIP_1) | instid1(VALU_DEP_4)
	v_dual_fma_f32 v9, -v19, v10, v9 :: v_dual_fma_f32 v15, -v20, v16, v15
	v_cvt_u32_f32_e32 v19, v19
	v_cmp_ge_f32_e64 vcc_lo, |v6|, v7
	v_cvt_u32_f32_e32 v20, v20
	v_trunc_f32_e32 v21, v21
	s_delay_alu instid0(VALU_DEP_3) | instskip(SKIP_1) | instid1(VALU_DEP_1)
	v_add_co_ci_u32_e64 v18, null, 0, v18, vcc_lo
	v_cmp_ge_f32_e64 vcc_lo, |v9|, v10
	v_add_co_ci_u32_e64 v6, null, 0, v19, vcc_lo
	v_cmp_ge_f32_e64 vcc_lo, |v15|, v16
	s_delay_alu instid0(VALU_DEP_2) | instskip(NEXT) | instid1(VALU_DEP_2)
	v_mad_u16 v8, v6, v44, v8
	v_add_co_ci_u32_e64 v7, null, 0, v20, vcc_lo
	s_delay_alu instid0(VALU_DEP_2) | instskip(NEXT) | instid1(VALU_DEP_2)
	v_and_b32_e32 v8, 0xff, v8
	v_mad_u16 v10, v7, v44, v11
	v_lshlrev_b64_e32 v[6:7], 2, v[0:1]
	v_mad_u16 v11, v18, v44, v14
	s_delay_alu instid0(VALU_DEP_3) | instskip(SKIP_2) | instid1(VALU_DEP_4)
	v_and_b32_e32 v10, 0xff, v10
	v_fma_f32 v12, -v21, v13, v12
	v_cvt_u32_f32_e32 v21, v21
	v_perm_b32 v8, v8, v11, 0x6050400
	s_delay_alu instid0(VALU_DEP_4) | instskip(NEXT) | instid1(VALU_DEP_4)
	v_lshlrev_b32_e32 v10, 16, v10
	v_cmp_ge_f32_e64 vcc_lo, |v12|, v13
	s_delay_alu instid0(VALU_DEP_1) | instskip(SKIP_3) | instid1(VALU_DEP_4)
	v_add_co_ci_u32_e64 v9, null, 0, v21, vcc_lo
	v_cmp_ge_i64_e32 vcc_lo, v[6:7], v[2:3]
	v_add_nc_u64_e32 v[6:7], s[6:7], v[4:5]
	v_add_nc_u64_e32 v[4:5], s[10:11], v[4:5]
	v_mad_u16 v9, v9, v44, v17
	s_or_b32 s12, vcc_lo, s12
	s_delay_alu instid0(VALU_DEP_1) | instskip(NEXT) | instid1(VALU_DEP_1)
	v_lshlrev_b32_e32 v9, 24, v9
	v_or3_b32 v8, v8, v10, v9
	global_store_b32 v[6:7], v8, off
	s_wait_xcnt 0x0
	s_and_not1_b32 exec_lo, exec_lo, s12
	s_cbranch_execnz .LBB110_22
.LBB110_23:
	s_endpgm
	.section	.rodata,"a",@progbits
	.p2align	6, 0x0
	.amdhsa_kernel _ZN2at6native12_GLOBAL__N_125multi_tensor_apply_kernelINS1_28TensorListScalarListMetadataIhLi4EEENS1_28PointwiseOpScalarListFunctorIhLi4ELi3ELi3EEEJSt7dividesIhEEEEvT_T0_DpT1_
		.amdhsa_group_segment_fixed_size 0
		.amdhsa_private_segment_fixed_size 0
		.amdhsa_kernarg_size 3344
		.amdhsa_user_sgpr_count 2
		.amdhsa_user_sgpr_dispatch_ptr 0
		.amdhsa_user_sgpr_queue_ptr 0
		.amdhsa_user_sgpr_kernarg_segment_ptr 1
		.amdhsa_user_sgpr_dispatch_id 0
		.amdhsa_user_sgpr_kernarg_preload_length 0
		.amdhsa_user_sgpr_kernarg_preload_offset 0
		.amdhsa_user_sgpr_private_segment_size 0
		.amdhsa_wavefront_size32 1
		.amdhsa_uses_dynamic_stack 0
		.amdhsa_enable_private_segment 0
		.amdhsa_system_sgpr_workgroup_id_x 1
		.amdhsa_system_sgpr_workgroup_id_y 0
		.amdhsa_system_sgpr_workgroup_id_z 0
		.amdhsa_system_sgpr_workgroup_info 0
		.amdhsa_system_vgpr_workitem_id 0
		.amdhsa_next_free_vgpr 60
		.amdhsa_next_free_sgpr 24
		.amdhsa_named_barrier_count 0
		.amdhsa_reserve_vcc 1
		.amdhsa_float_round_mode_32 0
		.amdhsa_float_round_mode_16_64 0
		.amdhsa_float_denorm_mode_32 3
		.amdhsa_float_denorm_mode_16_64 3
		.amdhsa_fp16_overflow 0
		.amdhsa_memory_ordered 1
		.amdhsa_forward_progress 1
		.amdhsa_inst_pref_size 15
		.amdhsa_round_robin_scheduling 0
		.amdhsa_exception_fp_ieee_invalid_op 0
		.amdhsa_exception_fp_denorm_src 0
		.amdhsa_exception_fp_ieee_div_zero 0
		.amdhsa_exception_fp_ieee_overflow 0
		.amdhsa_exception_fp_ieee_underflow 0
		.amdhsa_exception_fp_ieee_inexact 0
		.amdhsa_exception_int_div_zero 0
	.end_amdhsa_kernel
	.section	.text._ZN2at6native12_GLOBAL__N_125multi_tensor_apply_kernelINS1_28TensorListScalarListMetadataIhLi4EEENS1_28PointwiseOpScalarListFunctorIhLi4ELi3ELi3EEEJSt7dividesIhEEEEvT_T0_DpT1_,"axG",@progbits,_ZN2at6native12_GLOBAL__N_125multi_tensor_apply_kernelINS1_28TensorListScalarListMetadataIhLi4EEENS1_28PointwiseOpScalarListFunctorIhLi4ELi3ELi3EEEJSt7dividesIhEEEEvT_T0_DpT1_,comdat
.Lfunc_end110:
	.size	_ZN2at6native12_GLOBAL__N_125multi_tensor_apply_kernelINS1_28TensorListScalarListMetadataIhLi4EEENS1_28PointwiseOpScalarListFunctorIhLi4ELi3ELi3EEEJSt7dividesIhEEEEvT_T0_DpT1_, .Lfunc_end110-_ZN2at6native12_GLOBAL__N_125multi_tensor_apply_kernelINS1_28TensorListScalarListMetadataIhLi4EEENS1_28PointwiseOpScalarListFunctorIhLi4ELi3ELi3EEEJSt7dividesIhEEEEvT_T0_DpT1_
                                        ; -- End function
	.set _ZN2at6native12_GLOBAL__N_125multi_tensor_apply_kernelINS1_28TensorListScalarListMetadataIhLi4EEENS1_28PointwiseOpScalarListFunctorIhLi4ELi3ELi3EEEJSt7dividesIhEEEEvT_T0_DpT1_.num_vgpr, 60
	.set _ZN2at6native12_GLOBAL__N_125multi_tensor_apply_kernelINS1_28TensorListScalarListMetadataIhLi4EEENS1_28PointwiseOpScalarListFunctorIhLi4ELi3ELi3EEEJSt7dividesIhEEEEvT_T0_DpT1_.num_agpr, 0
	.set _ZN2at6native12_GLOBAL__N_125multi_tensor_apply_kernelINS1_28TensorListScalarListMetadataIhLi4EEENS1_28PointwiseOpScalarListFunctorIhLi4ELi3ELi3EEEJSt7dividesIhEEEEvT_T0_DpT1_.numbered_sgpr, 24
	.set _ZN2at6native12_GLOBAL__N_125multi_tensor_apply_kernelINS1_28TensorListScalarListMetadataIhLi4EEENS1_28PointwiseOpScalarListFunctorIhLi4ELi3ELi3EEEJSt7dividesIhEEEEvT_T0_DpT1_.num_named_barrier, 0
	.set _ZN2at6native12_GLOBAL__N_125multi_tensor_apply_kernelINS1_28TensorListScalarListMetadataIhLi4EEENS1_28PointwiseOpScalarListFunctorIhLi4ELi3ELi3EEEJSt7dividesIhEEEEvT_T0_DpT1_.private_seg_size, 0
	.set _ZN2at6native12_GLOBAL__N_125multi_tensor_apply_kernelINS1_28TensorListScalarListMetadataIhLi4EEENS1_28PointwiseOpScalarListFunctorIhLi4ELi3ELi3EEEJSt7dividesIhEEEEvT_T0_DpT1_.uses_vcc, 1
	.set _ZN2at6native12_GLOBAL__N_125multi_tensor_apply_kernelINS1_28TensorListScalarListMetadataIhLi4EEENS1_28PointwiseOpScalarListFunctorIhLi4ELi3ELi3EEEJSt7dividesIhEEEEvT_T0_DpT1_.uses_flat_scratch, 0
	.set _ZN2at6native12_GLOBAL__N_125multi_tensor_apply_kernelINS1_28TensorListScalarListMetadataIhLi4EEENS1_28PointwiseOpScalarListFunctorIhLi4ELi3ELi3EEEJSt7dividesIhEEEEvT_T0_DpT1_.has_dyn_sized_stack, 0
	.set _ZN2at6native12_GLOBAL__N_125multi_tensor_apply_kernelINS1_28TensorListScalarListMetadataIhLi4EEENS1_28PointwiseOpScalarListFunctorIhLi4ELi3ELi3EEEJSt7dividesIhEEEEvT_T0_DpT1_.has_recursion, 0
	.set _ZN2at6native12_GLOBAL__N_125multi_tensor_apply_kernelINS1_28TensorListScalarListMetadataIhLi4EEENS1_28PointwiseOpScalarListFunctorIhLi4ELi3ELi3EEEJSt7dividesIhEEEEvT_T0_DpT1_.has_indirect_call, 0
	.section	.AMDGPU.csdata,"",@progbits
; Kernel info:
; codeLenInByte = 1848
; TotalNumSgprs: 26
; NumVgprs: 60
; ScratchSize: 0
; MemoryBound: 0
; FloatMode: 240
; IeeeMode: 1
; LDSByteSize: 0 bytes/workgroup (compile time only)
; SGPRBlocks: 0
; VGPRBlocks: 3
; NumSGPRsForWavesPerEU: 26
; NumVGPRsForWavesPerEU: 60
; NamedBarCnt: 0
; Occupancy: 16
; WaveLimiterHint : 0
; COMPUTE_PGM_RSRC2:SCRATCH_EN: 0
; COMPUTE_PGM_RSRC2:USER_SGPR: 2
; COMPUTE_PGM_RSRC2:TRAP_HANDLER: 0
; COMPUTE_PGM_RSRC2:TGID_X_EN: 1
; COMPUTE_PGM_RSRC2:TGID_Y_EN: 0
; COMPUTE_PGM_RSRC2:TGID_Z_EN: 0
; COMPUTE_PGM_RSRC2:TIDIG_COMP_CNT: 0
	.section	.text._ZN2at6native12_GLOBAL__N_125multi_tensor_apply_kernelINS1_28TensorListScalarListMetadataIaLi4EEENS1_28PointwiseOpScalarListFunctorIaLi4ELi3ELi3EEEJSt7dividesIaEEEEvT_T0_DpT1_,"axG",@progbits,_ZN2at6native12_GLOBAL__N_125multi_tensor_apply_kernelINS1_28TensorListScalarListMetadataIaLi4EEENS1_28PointwiseOpScalarListFunctorIaLi4ELi3ELi3EEEJSt7dividesIaEEEEvT_T0_DpT1_,comdat
	.globl	_ZN2at6native12_GLOBAL__N_125multi_tensor_apply_kernelINS1_28TensorListScalarListMetadataIaLi4EEENS1_28PointwiseOpScalarListFunctorIaLi4ELi3ELi3EEEJSt7dividesIaEEEEvT_T0_DpT1_ ; -- Begin function _ZN2at6native12_GLOBAL__N_125multi_tensor_apply_kernelINS1_28TensorListScalarListMetadataIaLi4EEENS1_28PointwiseOpScalarListFunctorIaLi4ELi3ELi3EEEJSt7dividesIaEEEEvT_T0_DpT1_
	.p2align	8
	.type	_ZN2at6native12_GLOBAL__N_125multi_tensor_apply_kernelINS1_28TensorListScalarListMetadataIaLi4EEENS1_28PointwiseOpScalarListFunctorIaLi4ELi3ELi3EEEJSt7dividesIaEEEEvT_T0_DpT1_,@function
_ZN2at6native12_GLOBAL__N_125multi_tensor_apply_kernelINS1_28TensorListScalarListMetadataIaLi4EEENS1_28PointwiseOpScalarListFunctorIaLi4ELi3ELi3EEEJSt7dividesIaEEEEvT_T0_DpT1_: ; @_ZN2at6native12_GLOBAL__N_125multi_tensor_apply_kernelINS1_28TensorListScalarListMetadataIaLi4EEENS1_28PointwiseOpScalarListFunctorIaLi4ELi3ELi3EEEJSt7dividesIaEEEEvT_T0_DpT1_
; %bb.0:
	s_bfe_u32 s2, ttmp6, 0x4000c
	s_and_b32 s3, ttmp6, 15
	s_add_co_i32 s2, s2, 1
	s_getreg_b32 s4, hwreg(HW_REG_IB_STS2, 6, 4)
	s_mul_i32 s2, ttmp9, s2
	v_mov_b32_e32 v3, 0
	s_add_co_i32 s3, s3, s2
	s_cmp_eq_u32 s4, 0
	s_cselect_b32 s2, ttmp9, s3
	s_mov_b32 s3, 0
	v_mov_b32_e32 v1, s2
	s_add_nc_u64 s[4:5], s[0:1], s[2:3]
	s_mul_u64 s[6:7], s[2:3], 3
	s_delay_alu instid0(SALU_CYCLE_1) | instskip(SKIP_4) | instid1(SALU_CYCLE_1)
	s_add_nc_u64 s[4:5], s[4:5], s[6:7]
	global_load_u8 v1, v1, s[0:1] offset:1476
	s_load_b32 s4, s[4:5], 0x704
	s_wait_kmcnt 0x0
	s_ashr_i32 s5, s4, 31
	s_lshl_b64 s[16:17], s[4:5], 16
	s_wait_loadcnt 0x0
	v_readfirstlane_b32 s8, v1
	s_delay_alu instid0(VALU_DEP_1) | instskip(SKIP_1) | instid1(VALU_DEP_1)
	v_mov_b32_e32 v2, s8
	s_and_b32 s2, s8, 0xff
	v_and_b32_e32 v2, 0xff, v2
	s_delay_alu instid0(VALU_DEP_1)
	v_add_nc_u64_e32 v[2:3], s[0:1], v[2:3]
	global_load_u8 v44, v[2:3], off offset:1440
	s_clause 0x4
	s_load_b64 s[8:9], s[0:1], s2 offset:0x120 scale_offset
	s_load_b64 s[10:11], s[0:1], s2 offset:0x240 scale_offset
	;; [unrolled: 1-line block ×5, first 2 shown]
	s_wait_kmcnt 0x0
	s_add_nc_u64 s[4:5], s[8:9], s[16:17]
	s_delay_alu instid0(SALU_CYCLE_1)
	s_and_b32 s2, s4, 3
	s_add_nc_u64 s[4:5], s[10:11], s[16:17]
	s_cmp_eq_u64 s[2:3], 0
	s_cselect_b32 s18, -1, 0
	s_or_b32 s2, s12, s4
	s_add_nc_u64 s[4:5], s[14:15], s[16:17]
	s_and_b32 s2, s2, 3
	s_delay_alu instid0(SALU_CYCLE_1) | instskip(SKIP_2) | instid1(SALU_CYCLE_1)
	s_cmp_eq_u32 s2, 0
	s_cselect_b32 s19, -1, 0
	s_or_b64 s[4:5], s[6:7], s[4:5]
	s_and_b32 s2, s4, 3
	s_and_b32 s4, s19, s18
	s_cmp_eq_u64 s[2:3], 0
	s_sub_nc_u64 s[18:19], s[6:7], s[16:17]
	s_cselect_b32 s2, -1, 0
	s_delay_alu instid0(SALU_CYCLE_1) | instskip(NEXT) | instid1(SALU_CYCLE_1)
	s_and_b32 s2, s4, s2
	s_and_b32 vcc_lo, exec_lo, s2
	s_mov_b32 s2, -1
	s_cbranch_vccnz .LBB111_45
; %bb.1:
	v_cmp_lt_i64_e64 s2, s[18:19], 1
	s_and_b32 vcc_lo, exec_lo, s2
	s_cbranch_vccnz .LBB111_44
; %bb.2:
	s_load_b32 s2, s[0:1], 0xc1c
	v_min_i64 v[2:3], 0x10000, s[18:19]
	v_min_u64 v[4:5], 0x10000, s[18:19]
	v_mov_b32_e32 v1, 0
	s_mov_b32 s21, 0
	s_wait_loadcnt 0x0
	v_and_b32_e32 v45, 0xff, v44
	s_mov_b32 s3, s21
	s_mov_b32 s5, s21
	v_add_nc_u64_e32 v[14:15], s[16:17], v[0:1]
	s_mov_b64 s[22:23], 0
	s_delay_alu instid0(VALU_DEP_1)
	v_add_nc_u64_e32 v[6:7], s[14:15], v[14:15]
	v_add_nc_u64_e32 v[8:9], s[8:9], v[14:15]
	;; [unrolled: 1-line block ×4, first 2 shown]
	s_wait_kmcnt 0x0
	s_and_b32 s20, s2, 0xffff
	s_delay_alu instid0(SALU_CYCLE_1)
	s_lshl_b32 s2, s20, 1
	s_mul_i32 s4, s20, 3
	v_add_nc_u64_e32 v[40:41], s[20:21], v[14:15]
	s_add_nc_u64 s[6:7], s[16:17], s[4:5]
	v_add_nc_u64_e32 v[14:15], s[4:5], v[0:1]
	s_add_nc_u64 s[4:5], s[16:17], s[2:3]
	v_add_nc_u64_e32 v[30:31], s[6:7], v[0:1]
	v_add_nc_u64_e32 v[38:39], s[4:5], v[0:1]
	;; [unrolled: 1-line block ×16, first 2 shown]
	v_cmp_ne_u32_e64 s2, 1, v45
	s_lshl_b32 s20, s20, 2
	s_branch .LBB111_4
.LBB111_3:                              ;   in Loop: Header=BB111_4 Depth=1
	s_wait_xcnt 0x0
	s_or_b32 exec_lo, exec_lo, s3
	s_add_nc_u64 s[22:23], s[22:23], s[20:21]
	s_delay_alu instid0(SALU_CYCLE_1)
	v_cmp_ge_i64_e32 vcc_lo, s[22:23], v[2:3]
	s_cbranch_vccnz .LBB111_44
.LBB111_4:                              ; =>This Inner Loop Header: Depth=1
	v_add_nc_u64_e32 v[46:47], s[22:23], v[0:1]
	v_dual_mov_b32 v51, 0 :: v_dual_mov_b32 v50, 0
	s_delay_alu instid0(VALU_DEP_2)
	v_cmp_lt_u64_e64 s3, v[46:47], v[4:5]
	s_and_saveexec_b32 s4, s3
	s_cbranch_execz .LBB111_6
; %bb.5:                                ;   in Loop: Header=BB111_4 Depth=1
	v_add_nc_u64_e32 v[46:47], s[22:23], v[6:7]
	v_add_nc_u64_e32 v[48:49], s[22:23], v[8:9]
	global_load_u8 v50, v[46:47], off
	global_load_u8 v51, v[48:49], off
.LBB111_6:                              ;   in Loop: Header=BB111_4 Depth=1
	s_wait_xcnt 0x0
	s_or_b32 exec_lo, exec_lo, s4
	v_dual_mov_b32 v52, 0 :: v_dual_mov_b32 v56, 0
	s_and_saveexec_b32 s4, s3
	s_cbranch_execz .LBB111_8
; %bb.7:                                ;   in Loop: Header=BB111_4 Depth=1
	v_add_nc_u64_e32 v[46:47], s[22:23], v[10:11]
	global_load_u8 v56, v[46:47], off
.LBB111_8:                              ;   in Loop: Header=BB111_4 Depth=1
	s_wait_xcnt 0x0
	s_or_b32 exec_lo, exec_lo, s4
	v_add_nc_u64_e32 v[46:47], s[22:23], v[42:43]
	v_mov_b32_e32 v48, 0
	s_delay_alu instid0(VALU_DEP_2)
	v_cmp_lt_u64_e64 s4, v[46:47], v[4:5]
	s_and_saveexec_b32 s5, s4
	s_cbranch_execz .LBB111_10
; %bb.9:                                ;   in Loop: Header=BB111_4 Depth=1
	v_add_nc_u64_e32 v[46:47], s[22:23], v[18:19]
	v_add_nc_u64_e32 v[54:55], s[22:23], v[20:21]
	global_load_u8 v48, v[46:47], off
	global_load_u8 v52, v[54:55], off
.LBB111_10:                             ;   in Loop: Header=BB111_4 Depth=1
	s_wait_xcnt 0x0
	s_or_b32 exec_lo, exec_lo, s5
	v_dual_mov_b32 v49, 0 :: v_dual_mov_b32 v55, 0
	s_and_saveexec_b32 s5, s4
	s_cbranch_execz .LBB111_12
; %bb.11:                               ;   in Loop: Header=BB111_4 Depth=1
	v_add_nc_u64_e32 v[46:47], s[22:23], v[22:23]
	global_load_u8 v55, v[46:47], off
.LBB111_12:                             ;   in Loop: Header=BB111_4 Depth=1
	s_wait_xcnt 0x0
	s_or_b32 exec_lo, exec_lo, s5
	v_add_nc_u64_e32 v[46:47], s[22:23], v[16:17]
	s_delay_alu instid0(VALU_DEP_1)
	v_cmp_lt_u64_e64 s5, v[46:47], v[4:5]
	v_mov_b32_e32 v46, 0
	s_and_saveexec_b32 s6, s5
	s_cbranch_execz .LBB111_14
; %bb.13:                               ;   in Loop: Header=BB111_4 Depth=1
	v_add_nc_u64_e32 v[58:59], s[22:23], v[32:33]
	v_add_nc_u64_e32 v[60:61], s[22:23], v[34:35]
	global_load_u8 v46, v[58:59], off
	global_load_u8 v49, v[60:61], off
.LBB111_14:                             ;   in Loop: Header=BB111_4 Depth=1
	s_wait_xcnt 0x0
	s_or_b32 exec_lo, exec_lo, s6
	v_dual_mov_b32 v47, 0 :: v_dual_mov_b32 v54, 0
	s_and_saveexec_b32 s6, s5
	s_cbranch_execz .LBB111_16
; %bb.15:                               ;   in Loop: Header=BB111_4 Depth=1
	v_add_nc_u64_e32 v[58:59], s[22:23], v[36:37]
	global_load_u8 v54, v[58:59], off
.LBB111_16:                             ;   in Loop: Header=BB111_4 Depth=1
	s_wait_xcnt 0x0
	s_or_b32 exec_lo, exec_lo, s6
	v_add_nc_u64_e32 v[58:59], s[22:23], v[14:15]
	v_mov_b32_e32 v45, 0
	s_delay_alu instid0(VALU_DEP_2)
	v_cmp_lt_u64_e64 s6, v[58:59], v[4:5]
	s_and_saveexec_b32 s7, s6
	s_cbranch_execz .LBB111_18
; %bb.17:                               ;   in Loop: Header=BB111_4 Depth=1
	v_add_nc_u64_e32 v[58:59], s[22:23], v[24:25]
	v_add_nc_u64_e32 v[60:61], s[22:23], v[26:27]
	global_load_u8 v45, v[58:59], off
	global_load_u8 v47, v[60:61], off
.LBB111_18:                             ;   in Loop: Header=BB111_4 Depth=1
	s_wait_xcnt 0x0
	s_or_b32 exec_lo, exec_lo, s7
	v_mov_b32_e32 v53, 0
	s_and_saveexec_b32 s7, s6
	s_cbranch_execz .LBB111_20
; %bb.19:                               ;   in Loop: Header=BB111_4 Depth=1
	v_add_nc_u64_e32 v[58:59], s[22:23], v[28:29]
	global_load_u8 v53, v[58:59], off
.LBB111_20:                             ;   in Loop: Header=BB111_4 Depth=1
	s_wait_xcnt 0x0
	s_or_b32 exec_lo, exec_lo, s7
	s_wait_loadcnt 0x0
	v_bfe_i32 v56, v56, 0, 8
	v_bfe_i32 v51, v51, 0, 8
	s_mov_b32 s7, -1
	s_delay_alu instid0(VALU_DEP_2) | instskip(NEXT) | instid1(VALU_DEP_2)
	v_cvt_f32_i32_e32 v57, v56
	v_cvt_f32_i32_e32 v59, v51
	v_xor_b32_e32 v51, v51, v56
	s_delay_alu instid0(VALU_DEP_3) | instskip(SKIP_1) | instid1(TRANS32_DEP_1)
	v_rcp_iflag_f32_e32 v58, v57
	v_nop
	v_dual_mul_f32 v58, v59, v58 :: v_dual_ashrrev_i32 v51, 30, v51
	s_delay_alu instid0(VALU_DEP_1) | instskip(NEXT) | instid1(VALU_DEP_2)
	v_or_b32_e32 v51, 1, v51
	v_trunc_f32_e32 v56, v58
	s_delay_alu instid0(VALU_DEP_1) | instskip(SKIP_1) | instid1(VALU_DEP_2)
	v_fma_f32 v58, -v56, v57, v59
	v_cvt_i32_f32_e32 v56, v56
	v_cmp_ge_f32_e64 vcc_lo, |v58|, |v57|
	v_cndmask_b32_e32 v51, 0, v51, vcc_lo
	s_and_b32 vcc_lo, exec_lo, s2
	s_delay_alu instid0(VALU_DEP_1) | instskip(NEXT) | instid1(VALU_DEP_1)
	v_add_nc_u32_e32 v51, v56, v51
	v_bfe_i32 v56, v51, 0, 8
                                        ; implicit-def: $vgpr51
	s_cbranch_vccz .LBB111_22
; %bb.21:                               ;   in Loop: Header=BB111_4 Depth=1
	s_delay_alu instid0(VALU_DEP_1)
	v_mad_u16 v51, v44, v56, v50
	s_mov_b32 s7, 0
.LBB111_22:                             ;   in Loop: Header=BB111_4 Depth=1
	s_delay_alu instid0(SALU_CYCLE_1)
	s_and_not1_b32 vcc_lo, exec_lo, s7
	s_cbranch_vccnz .LBB111_24
; %bb.23:                               ;   in Loop: Header=BB111_4 Depth=1
	s_delay_alu instid0(VALU_DEP_1)
	v_add_nc_u16 v51, v50, v56
.LBB111_24:                             ;   in Loop: Header=BB111_4 Depth=1
	v_bfe_i32 v50, v55, 0, 8
	v_bfe_i32 v52, v52, 0, 8
	s_mov_b32 s7, -1
	s_delay_alu instid0(VALU_DEP_2) | instskip(NEXT) | instid1(VALU_DEP_2)
	v_cvt_f32_i32_e32 v55, v50
	v_cvt_f32_i32_e32 v57, v52
	v_xor_b32_e32 v50, v52, v50
	s_delay_alu instid0(VALU_DEP_3) | instskip(SKIP_1) | instid1(TRANS32_DEP_1)
	v_rcp_iflag_f32_e32 v56, v55
	v_nop
	v_mul_f32_e32 v56, v57, v56
	s_delay_alu instid0(VALU_DEP_1) | instskip(NEXT) | instid1(VALU_DEP_1)
	v_trunc_f32_e32 v52, v56
	v_dual_ashrrev_i32 v50, 30, v50 :: v_dual_fma_f32 v56, -v52, v55, v57
	s_delay_alu instid0(VALU_DEP_1) | instskip(SKIP_1) | instid1(VALU_DEP_3)
	v_or_b32_e32 v50, 1, v50
	v_cvt_i32_f32_e32 v52, v52
	v_cmp_ge_f32_e64 vcc_lo, |v56|, |v55|
	s_delay_alu instid0(VALU_DEP_3) | instskip(SKIP_1) | instid1(VALU_DEP_1)
	v_cndmask_b32_e32 v50, 0, v50, vcc_lo
	s_and_not1_b32 vcc_lo, exec_lo, s2
	v_add_nc_u32_e32 v50, v52, v50
	s_delay_alu instid0(VALU_DEP_1)
	v_bfe_i32 v52, v50, 0, 8
                                        ; implicit-def: $vgpr50
	s_cbranch_vccnz .LBB111_26
; %bb.25:                               ;   in Loop: Header=BB111_4 Depth=1
	s_delay_alu instid0(VALU_DEP_1)
	v_mad_u16 v50, v44, v52, v48
	s_mov_b32 s7, 0
.LBB111_26:                             ;   in Loop: Header=BB111_4 Depth=1
	s_delay_alu instid0(SALU_CYCLE_1)
	s_and_not1_b32 vcc_lo, exec_lo, s7
	s_cbranch_vccnz .LBB111_28
; %bb.27:                               ;   in Loop: Header=BB111_4 Depth=1
	s_delay_alu instid0(VALU_DEP_1)
	v_add_nc_u16 v50, v48, v52
.LBB111_28:                             ;   in Loop: Header=BB111_4 Depth=1
	v_bfe_i32 v48, v54, 0, 8
	v_bfe_i32 v49, v49, 0, 8
	s_mov_b32 s7, -1
	s_delay_alu instid0(VALU_DEP_2) | instskip(NEXT) | instid1(VALU_DEP_2)
	v_cvt_f32_i32_e32 v52, v48
	v_cvt_f32_i32_e32 v55, v49
	v_xor_b32_e32 v48, v49, v48
	s_delay_alu instid0(VALU_DEP_3) | instskip(SKIP_1) | instid1(TRANS32_DEP_1)
	v_rcp_iflag_f32_e32 v54, v52
	v_nop
	v_dual_ashrrev_i32 v48, 30, v48 :: v_dual_mul_f32 v54, v55, v54
	s_delay_alu instid0(VALU_DEP_1) | instskip(NEXT) | instid1(VALU_DEP_2)
	v_or_b32_e32 v48, 1, v48
	v_trunc_f32_e32 v49, v54
	s_delay_alu instid0(VALU_DEP_1) | instskip(SKIP_1) | instid1(VALU_DEP_2)
	v_fma_f32 v54, -v49, v52, v55
	v_cvt_i32_f32_e32 v49, v49
	v_cmp_ge_f32_e64 vcc_lo, |v54|, |v52|
	v_cndmask_b32_e32 v48, 0, v48, vcc_lo
	s_and_not1_b32 vcc_lo, exec_lo, s2
	s_delay_alu instid0(VALU_DEP_1) | instskip(NEXT) | instid1(VALU_DEP_1)
	v_add_nc_u32_e32 v48, v49, v48
	v_bfe_i32 v49, v48, 0, 8
                                        ; implicit-def: $vgpr48
	s_cbranch_vccnz .LBB111_30
; %bb.29:                               ;   in Loop: Header=BB111_4 Depth=1
	s_delay_alu instid0(VALU_DEP_1)
	v_mad_u16 v48, v44, v49, v46
	s_mov_b32 s7, 0
.LBB111_30:                             ;   in Loop: Header=BB111_4 Depth=1
	s_delay_alu instid0(SALU_CYCLE_1)
	s_and_not1_b32 vcc_lo, exec_lo, s7
	s_cbranch_vccnz .LBB111_32
; %bb.31:                               ;   in Loop: Header=BB111_4 Depth=1
	s_delay_alu instid0(VALU_DEP_1)
	v_add_nc_u16 v48, v46, v49
.LBB111_32:                             ;   in Loop: Header=BB111_4 Depth=1
	v_bfe_i32 v46, v53, 0, 8
	v_bfe_i32 v47, v47, 0, 8
	s_mov_b32 s7, -1
	s_delay_alu instid0(VALU_DEP_2) | instskip(NEXT) | instid1(VALU_DEP_2)
	v_cvt_f32_i32_e32 v49, v46
	v_cvt_f32_i32_e32 v53, v47
	v_xor_b32_e32 v46, v47, v46
	s_delay_alu instid0(VALU_DEP_3) | instskip(SKIP_1) | instid1(TRANS32_DEP_1)
	v_rcp_iflag_f32_e32 v52, v49
	v_nop
	v_mul_f32_e32 v52, v53, v52
	s_delay_alu instid0(VALU_DEP_1) | instskip(NEXT) | instid1(VALU_DEP_1)
	v_trunc_f32_e32 v47, v52
	v_dual_ashrrev_i32 v46, 30, v46 :: v_dual_fma_f32 v52, -v47, v49, v53
	s_delay_alu instid0(VALU_DEP_1) | instskip(SKIP_1) | instid1(VALU_DEP_3)
	v_or_b32_e32 v46, 1, v46
	v_cvt_i32_f32_e32 v47, v47
	v_cmp_ge_f32_e64 vcc_lo, |v52|, |v49|
	s_delay_alu instid0(VALU_DEP_3) | instskip(SKIP_1) | instid1(VALU_DEP_1)
	v_cndmask_b32_e32 v46, 0, v46, vcc_lo
	s_and_not1_b32 vcc_lo, exec_lo, s2
	v_add_nc_u32_e32 v46, v47, v46
	s_delay_alu instid0(VALU_DEP_1)
	v_bfe_i32 v47, v46, 0, 8
                                        ; implicit-def: $vgpr46
	s_cbranch_vccz .LBB111_38
; %bb.33:                               ;   in Loop: Header=BB111_4 Depth=1
	s_and_not1_b32 vcc_lo, exec_lo, s7
	s_cbranch_vccz .LBB111_39
.LBB111_34:                             ;   in Loop: Header=BB111_4 Depth=1
	s_and_saveexec_b32 s7, s3
	s_delay_alu instid0(SALU_CYCLE_1)
	s_xor_b32 s3, exec_lo, s7
	s_cbranch_execnz .LBB111_40
.LBB111_35:                             ;   in Loop: Header=BB111_4 Depth=1
	s_or_b32 exec_lo, exec_lo, s3
	s_and_saveexec_b32 s3, s4
	s_cbranch_execnz .LBB111_41
.LBB111_36:                             ;   in Loop: Header=BB111_4 Depth=1
	s_or_b32 exec_lo, exec_lo, s3
	s_and_saveexec_b32 s3, s5
	s_cbranch_execnz .LBB111_42
.LBB111_37:                             ;   in Loop: Header=BB111_4 Depth=1
	s_or_b32 exec_lo, exec_lo, s3
	s_and_saveexec_b32 s3, s6
	s_cbranch_execz .LBB111_3
	s_branch .LBB111_43
.LBB111_38:                             ;   in Loop: Header=BB111_4 Depth=1
	s_delay_alu instid0(VALU_DEP_1)
	v_mad_u16 v46, v44, v47, v45
	s_cbranch_execnz .LBB111_34
.LBB111_39:                             ;   in Loop: Header=BB111_4 Depth=1
	s_delay_alu instid0(VALU_DEP_1) | instskip(SKIP_1) | instid1(SALU_CYCLE_1)
	v_add_nc_u16 v46, v45, v47
	s_and_saveexec_b32 s7, s3
	s_xor_b32 s3, exec_lo, s7
	s_cbranch_execz .LBB111_35
.LBB111_40:                             ;   in Loop: Header=BB111_4 Depth=1
	v_add_nc_u64_e32 v[52:53], s[22:23], v[12:13]
	global_store_b8 v[52:53], v51, off
	s_wait_xcnt 0x0
	s_or_b32 exec_lo, exec_lo, s3
	s_and_saveexec_b32 s3, s4
	s_cbranch_execz .LBB111_36
.LBB111_41:                             ;   in Loop: Header=BB111_4 Depth=1
	v_add_nc_u64_e32 v[52:53], s[22:23], v[40:41]
	global_store_b8 v[52:53], v50, off
	s_wait_xcnt 0x0
	s_or_b32 exec_lo, exec_lo, s3
	s_and_saveexec_b32 s3, s5
	s_cbranch_execz .LBB111_37
.LBB111_42:                             ;   in Loop: Header=BB111_4 Depth=1
	v_add_nc_u64_e32 v[50:51], s[22:23], v[38:39]
	global_store_b8 v[50:51], v48, off
	s_wait_xcnt 0x0
	s_or_b32 exec_lo, exec_lo, s3
	s_and_saveexec_b32 s3, s6
	s_cbranch_execz .LBB111_3
.LBB111_43:                             ;   in Loop: Header=BB111_4 Depth=1
	v_add_nc_u64_e32 v[48:49], s[22:23], v[30:31]
	global_store_b8 v[48:49], v46, off
	s_branch .LBB111_3
.LBB111_44:
	s_mov_b32 s2, 0
.LBB111_45:
	s_delay_alu instid0(SALU_CYCLE_1)
	s_and_not1_b32 vcc_lo, exec_lo, s2
	s_cbranch_vccnz .LBB111_49
; %bb.46:
	v_min_i64 v[2:3], 0x10000, s[18:19]
	v_dual_mov_b32 v5, 0 :: v_dual_lshlrev_b32 v4, 2, v0
	s_mov_b32 s2, exec_lo
	s_delay_alu instid0(VALU_DEP_1)
	v_cmpx_lt_i64_e64 v[4:5], v[2:3]
	s_cbranch_execz .LBB111_49
; %bb.47:
	s_load_b32 s0, s[0:1], 0xc1c
	v_mov_b32_e32 v1, v5
	v_add_nc_u64_e32 v[4:5], s[16:17], v[4:5]
	s_wait_xcnt 0x0
	s_mov_b32 s1, 0
	s_delay_alu instid0(SALU_CYCLE_1) | instskip(SKIP_3) | instid1(SALU_CYCLE_1)
	s_mov_b32 s3, s1
	s_mov_b32 s4, s1
	s_wait_kmcnt 0x0
	s_and_b32 s0, s0, 0xffff
	s_lshl_b32 s2, s0, 2
.LBB111_48:                             ; =>This Inner Loop Header: Depth=1
	v_add_nc_u64_e32 v[6:7], s[8:9], v[4:5]
	v_add_nc_u64_e32 v[8:9], s[10:11], v[4:5]
	;; [unrolled: 1-line block ×4, first 2 shown]
	global_load_b32 v12, v[6:7], off
	global_load_b32 v13, v[8:9], off
	;; [unrolled: 1-line block ×3, first 2 shown]
	s_wait_loadcnt 0x2
	s_wait_xcnt 0x2
	v_bfe_i32 v6, v12, 0, 8
	s_wait_loadcnt 0x1
	v_bfe_i32 v7, v13, 0, 8
	s_wait_xcnt 0x0
	v_bfe_i32 v10, v12, 8, 8
	v_bfe_i32 v11, v13, 8, 8
	;; [unrolled: 1-line block ×4, first 2 shown]
	v_dual_ashrrev_i32 v13, 24, v13 :: v_dual_ashrrev_i32 v12, 24, v12
	s_delay_alu instid0(VALU_DEP_4)
	v_xor_b32_e32 v18, v10, v11
	v_xor_b32_e32 v17, v6, v7
	v_cvt_f32_i32_e32 v7, v7
	v_cvt_f32_i32_e32 v11, v11
	;; [unrolled: 1-line block ×4, first 2 shown]
	v_ashrrev_i32_e32 v18, 30, v18
	v_rcp_iflag_f32_e32 v21, v7
	v_xor_b32_e32 v19, v15, v16
	v_rcp_iflag_f32_e32 v22, v11
	v_cvt_f32_i32_e32 v16, v16
	v_cvt_f32_i32_e32 v15, v15
	s_wait_loadcnt 0x0
	v_dual_ashrrev_i32 v17, 30, v17 :: v_dual_lshrrev_b32 v8, 8, v14
	v_dual_lshrrev_b32 v9, 16, v14 :: v_dual_mul_f32 v21, v6, v21
	v_dual_ashrrev_i32 v19, 30, v19 :: v_dual_bitop2_b32 v20, v12, v13 bitop3:0x14
	v_cvt_f32_i32_e32 v13, v13
	v_mul_f32_e32 v22, v10, v22
	v_rcp_iflag_f32_e32 v23, v16
	v_cvt_f32_i32_e32 v12, v12
	v_or_b32_e32 v19, 1, v19
	v_rcp_iflag_f32_e32 v24, v13
	v_trunc_f32_e32 v22, v22
	v_dual_ashrrev_i32 v20, 30, v20 :: v_dual_bitop2_b32 v17, 1, v17 bitop3:0x54
	s_delay_alu instid0(TRANS32_DEP_2)
	v_dual_mul_f32 v23, v15, v23 :: v_dual_bitop2_b32 v18, 1, v18 bitop3:0x54
	v_trunc_f32_e32 v21, v21
	s_delay_alu instid0(TRANS32_DEP_1) | instid1(VALU_DEP_4)
	v_dual_mul_f32 v24, v12, v24 :: v_dual_fma_f32 v10, -v22, v11, v10
	s_delay_alu instid0(VALU_DEP_4) | instskip(NEXT) | instid1(VALU_DEP_4)
	v_or_b32_e32 v20, 1, v20
	v_trunc_f32_e32 v23, v23
	s_delay_alu instid0(VALU_DEP_4) | instskip(NEXT) | instid1(VALU_DEP_4)
	v_fma_f32 v6, -v21, v7, v6
	v_trunc_f32_e32 v24, v24
	v_cmp_ge_f32_e64 vcc_lo, |v10|, |v11|
	v_cvt_i32_f32_e32 v22, v22
	v_fma_f32 v15, -v23, v16, v15
	v_cvt_i32_f32_e32 v21, v21
	v_cvt_i32_f32_e32 v23, v23
	v_cndmask_b32_e32 v10, 0, v18, vcc_lo
	v_cmp_ge_f32_e64 vcc_lo, |v6|, |v7|
	v_fma_f32 v11, -v24, v13, v12
	v_cvt_i32_f32_e32 v12, v24
	s_delay_alu instid0(VALU_DEP_3) | instskip(SKIP_1) | instid1(VALU_DEP_2)
	v_dual_add_nc_u32 v10, v22, v10 :: v_dual_cndmask_b32 v6, 0, v17, vcc_lo
	v_cmp_ge_f32_e64 vcc_lo, |v15|, |v16|
	v_mad_u16 v8, v44, v10, v8
	s_delay_alu instid0(VALU_DEP_3) | instskip(SKIP_1) | instid1(VALU_DEP_3)
	v_dual_cndmask_b32 v7, 0, v19 :: v_dual_add_nc_u32 v6, v21, v6
	v_cmp_ge_f32_e64 vcc_lo, |v11|, |v13|
	v_and_b32_e32 v8, 0xff, v8
	s_delay_alu instid0(VALU_DEP_3) | instskip(NEXT) | instid1(VALU_DEP_4)
	v_dual_lshrrev_b32 v13, 24, v14 :: v_dual_add_nc_u32 v7, v23, v7
	v_mad_u16 v11, v44, v6, v14
	v_cndmask_b32_e32 v10, 0, v20, vcc_lo
	s_delay_alu instid0(VALU_DEP_3) | instskip(SKIP_1) | instid1(VALU_DEP_3)
	v_mad_u16 v9, v44, v7, v9
	v_lshlrev_b64_e32 v[6:7], 2, v[0:1]
	v_add_nc_u32_e32 v10, v12, v10
	v_perm_b32 v8, v8, v11, 0x6050400
	s_delay_alu instid0(VALU_DEP_4) | instskip(NEXT) | instid1(VALU_DEP_3)
	v_and_b32_e32 v9, 0xff, v9
	v_mad_u16 v10, v44, v10, v13
	v_cmp_ge_i64_e32 vcc_lo, v[6:7], v[2:3]
	v_add_nc_u64_e32 v[6:7], s[12:13], v[4:5]
	s_delay_alu instid0(VALU_DEP_4) | instskip(SKIP_1) | instid1(VALU_DEP_2)
	v_lshl_or_b32 v8, v9, 16, v8
	v_add_nc_u64_e32 v[4:5], s[2:3], v[4:5]
	v_lshl_or_b32 v8, v10, 24, v8
	s_or_b32 s4, vcc_lo, s4
	global_store_b32 v[6:7], v8, off
	s_wait_xcnt 0x0
	s_and_not1_b32 exec_lo, exec_lo, s4
	s_cbranch_execnz .LBB111_48
.LBB111_49:
	s_endpgm
	.section	.rodata,"a",@progbits
	.p2align	6, 0x0
	.amdhsa_kernel _ZN2at6native12_GLOBAL__N_125multi_tensor_apply_kernelINS1_28TensorListScalarListMetadataIaLi4EEENS1_28PointwiseOpScalarListFunctorIaLi4ELi3ELi3EEEJSt7dividesIaEEEEvT_T0_DpT1_
		.amdhsa_group_segment_fixed_size 0
		.amdhsa_private_segment_fixed_size 0
		.amdhsa_kernarg_size 3344
		.amdhsa_user_sgpr_count 2
		.amdhsa_user_sgpr_dispatch_ptr 0
		.amdhsa_user_sgpr_queue_ptr 0
		.amdhsa_user_sgpr_kernarg_segment_ptr 1
		.amdhsa_user_sgpr_dispatch_id 0
		.amdhsa_user_sgpr_kernarg_preload_length 0
		.amdhsa_user_sgpr_kernarg_preload_offset 0
		.amdhsa_user_sgpr_private_segment_size 0
		.amdhsa_wavefront_size32 1
		.amdhsa_uses_dynamic_stack 0
		.amdhsa_enable_private_segment 0
		.amdhsa_system_sgpr_workgroup_id_x 1
		.amdhsa_system_sgpr_workgroup_id_y 0
		.amdhsa_system_sgpr_workgroup_id_z 0
		.amdhsa_system_sgpr_workgroup_info 0
		.amdhsa_system_vgpr_workitem_id 0
		.amdhsa_next_free_vgpr 62
		.amdhsa_next_free_sgpr 24
		.amdhsa_named_barrier_count 0
		.amdhsa_reserve_vcc 1
		.amdhsa_float_round_mode_32 0
		.amdhsa_float_round_mode_16_64 0
		.amdhsa_float_denorm_mode_32 3
		.amdhsa_float_denorm_mode_16_64 3
		.amdhsa_fp16_overflow 0
		.amdhsa_memory_ordered 1
		.amdhsa_forward_progress 1
		.amdhsa_inst_pref_size 20
		.amdhsa_round_robin_scheduling 0
		.amdhsa_exception_fp_ieee_invalid_op 0
		.amdhsa_exception_fp_denorm_src 0
		.amdhsa_exception_fp_ieee_div_zero 0
		.amdhsa_exception_fp_ieee_overflow 0
		.amdhsa_exception_fp_ieee_underflow 0
		.amdhsa_exception_fp_ieee_inexact 0
		.amdhsa_exception_int_div_zero 0
	.end_amdhsa_kernel
	.section	.text._ZN2at6native12_GLOBAL__N_125multi_tensor_apply_kernelINS1_28TensorListScalarListMetadataIaLi4EEENS1_28PointwiseOpScalarListFunctorIaLi4ELi3ELi3EEEJSt7dividesIaEEEEvT_T0_DpT1_,"axG",@progbits,_ZN2at6native12_GLOBAL__N_125multi_tensor_apply_kernelINS1_28TensorListScalarListMetadataIaLi4EEENS1_28PointwiseOpScalarListFunctorIaLi4ELi3ELi3EEEJSt7dividesIaEEEEvT_T0_DpT1_,comdat
.Lfunc_end111:
	.size	_ZN2at6native12_GLOBAL__N_125multi_tensor_apply_kernelINS1_28TensorListScalarListMetadataIaLi4EEENS1_28PointwiseOpScalarListFunctorIaLi4ELi3ELi3EEEJSt7dividesIaEEEEvT_T0_DpT1_, .Lfunc_end111-_ZN2at6native12_GLOBAL__N_125multi_tensor_apply_kernelINS1_28TensorListScalarListMetadataIaLi4EEENS1_28PointwiseOpScalarListFunctorIaLi4ELi3ELi3EEEJSt7dividesIaEEEEvT_T0_DpT1_
                                        ; -- End function
	.set _ZN2at6native12_GLOBAL__N_125multi_tensor_apply_kernelINS1_28TensorListScalarListMetadataIaLi4EEENS1_28PointwiseOpScalarListFunctorIaLi4ELi3ELi3EEEJSt7dividesIaEEEEvT_T0_DpT1_.num_vgpr, 62
	.set _ZN2at6native12_GLOBAL__N_125multi_tensor_apply_kernelINS1_28TensorListScalarListMetadataIaLi4EEENS1_28PointwiseOpScalarListFunctorIaLi4ELi3ELi3EEEJSt7dividesIaEEEEvT_T0_DpT1_.num_agpr, 0
	.set _ZN2at6native12_GLOBAL__N_125multi_tensor_apply_kernelINS1_28TensorListScalarListMetadataIaLi4EEENS1_28PointwiseOpScalarListFunctorIaLi4ELi3ELi3EEEJSt7dividesIaEEEEvT_T0_DpT1_.numbered_sgpr, 24
	.set _ZN2at6native12_GLOBAL__N_125multi_tensor_apply_kernelINS1_28TensorListScalarListMetadataIaLi4EEENS1_28PointwiseOpScalarListFunctorIaLi4ELi3ELi3EEEJSt7dividesIaEEEEvT_T0_DpT1_.num_named_barrier, 0
	.set _ZN2at6native12_GLOBAL__N_125multi_tensor_apply_kernelINS1_28TensorListScalarListMetadataIaLi4EEENS1_28PointwiseOpScalarListFunctorIaLi4ELi3ELi3EEEJSt7dividesIaEEEEvT_T0_DpT1_.private_seg_size, 0
	.set _ZN2at6native12_GLOBAL__N_125multi_tensor_apply_kernelINS1_28TensorListScalarListMetadataIaLi4EEENS1_28PointwiseOpScalarListFunctorIaLi4ELi3ELi3EEEJSt7dividesIaEEEEvT_T0_DpT1_.uses_vcc, 1
	.set _ZN2at6native12_GLOBAL__N_125multi_tensor_apply_kernelINS1_28TensorListScalarListMetadataIaLi4EEENS1_28PointwiseOpScalarListFunctorIaLi4ELi3ELi3EEEJSt7dividesIaEEEEvT_T0_DpT1_.uses_flat_scratch, 0
	.set _ZN2at6native12_GLOBAL__N_125multi_tensor_apply_kernelINS1_28TensorListScalarListMetadataIaLi4EEENS1_28PointwiseOpScalarListFunctorIaLi4ELi3ELi3EEEJSt7dividesIaEEEEvT_T0_DpT1_.has_dyn_sized_stack, 0
	.set _ZN2at6native12_GLOBAL__N_125multi_tensor_apply_kernelINS1_28TensorListScalarListMetadataIaLi4EEENS1_28PointwiseOpScalarListFunctorIaLi4ELi3ELi3EEEJSt7dividesIaEEEEvT_T0_DpT1_.has_recursion, 0
	.set _ZN2at6native12_GLOBAL__N_125multi_tensor_apply_kernelINS1_28TensorListScalarListMetadataIaLi4EEENS1_28PointwiseOpScalarListFunctorIaLi4ELi3ELi3EEEJSt7dividesIaEEEEvT_T0_DpT1_.has_indirect_call, 0
	.section	.AMDGPU.csdata,"",@progbits
; Kernel info:
; codeLenInByte = 2500
; TotalNumSgprs: 26
; NumVgprs: 62
; ScratchSize: 0
; MemoryBound: 0
; FloatMode: 240
; IeeeMode: 1
; LDSByteSize: 0 bytes/workgroup (compile time only)
; SGPRBlocks: 0
; VGPRBlocks: 3
; NumSGPRsForWavesPerEU: 26
; NumVGPRsForWavesPerEU: 62
; NamedBarCnt: 0
; Occupancy: 16
; WaveLimiterHint : 0
; COMPUTE_PGM_RSRC2:SCRATCH_EN: 0
; COMPUTE_PGM_RSRC2:USER_SGPR: 2
; COMPUTE_PGM_RSRC2:TRAP_HANDLER: 0
; COMPUTE_PGM_RSRC2:TGID_X_EN: 1
; COMPUTE_PGM_RSRC2:TGID_Y_EN: 0
; COMPUTE_PGM_RSRC2:TGID_Z_EN: 0
; COMPUTE_PGM_RSRC2:TIDIG_COMP_CNT: 0
	.section	.text._ZN2at6native12_GLOBAL__N_125multi_tensor_apply_kernelINS1_28TensorListScalarListMetadataIiLi4EEENS1_28PointwiseOpScalarListFunctorIiLi4ELi3ELi3EEEJSt7dividesIiEEEEvT_T0_DpT1_,"axG",@progbits,_ZN2at6native12_GLOBAL__N_125multi_tensor_apply_kernelINS1_28TensorListScalarListMetadataIiLi4EEENS1_28PointwiseOpScalarListFunctorIiLi4ELi3ELi3EEEJSt7dividesIiEEEEvT_T0_DpT1_,comdat
	.globl	_ZN2at6native12_GLOBAL__N_125multi_tensor_apply_kernelINS1_28TensorListScalarListMetadataIiLi4EEENS1_28PointwiseOpScalarListFunctorIiLi4ELi3ELi3EEEJSt7dividesIiEEEEvT_T0_DpT1_ ; -- Begin function _ZN2at6native12_GLOBAL__N_125multi_tensor_apply_kernelINS1_28TensorListScalarListMetadataIiLi4EEENS1_28PointwiseOpScalarListFunctorIiLi4ELi3ELi3EEEJSt7dividesIiEEEEvT_T0_DpT1_
	.p2align	8
	.type	_ZN2at6native12_GLOBAL__N_125multi_tensor_apply_kernelINS1_28TensorListScalarListMetadataIiLi4EEENS1_28PointwiseOpScalarListFunctorIiLi4ELi3ELi3EEEJSt7dividesIiEEEEvT_T0_DpT1_,@function
_ZN2at6native12_GLOBAL__N_125multi_tensor_apply_kernelINS1_28TensorListScalarListMetadataIiLi4EEENS1_28PointwiseOpScalarListFunctorIiLi4ELi3ELi3EEEJSt7dividesIiEEEEvT_T0_DpT1_: ; @_ZN2at6native12_GLOBAL__N_125multi_tensor_apply_kernelINS1_28TensorListScalarListMetadataIiLi4EEENS1_28PointwiseOpScalarListFunctorIiLi4ELi3ELi3EEEJSt7dividesIiEEEEvT_T0_DpT1_
; %bb.0:
	s_bfe_u32 s2, ttmp6, 0x4000c
	s_and_b32 s3, ttmp6, 15
	s_add_co_i32 s2, s2, 1
	s_getreg_b32 s4, hwreg(HW_REG_IB_STS2, 6, 4)
	s_mul_i32 s2, ttmp9, s2
	s_mov_b32 s13, 0
	s_add_co_i32 s3, s3, s2
	s_cmp_eq_u32 s4, 0
	s_cselect_b32 s12, ttmp9, s3
	s_load_u8 s24, s[0:1], s12 offset:0x630
	s_add_nc_u64 s[2:3], s[0:1], s[12:13]
	s_mul_u64 s[4:5], s[12:13], 3
	s_delay_alu instid0(SALU_CYCLE_1)
	s_add_nc_u64 s[10:11], s[2:3], s[4:5]
	s_load_b32 s14, s[10:11], 0x770
	s_wait_kmcnt 0x0
	s_clause 0x4
	s_load_b64 s[2:3], s[0:1], s24 offset:0x120 scale_offset
	s_load_b64 s[8:9], s[0:1], s24 offset:0x0 scale_offset
	;; [unrolled: 1-line block ×5, first 2 shown]
	s_lshl_b32 s12, s24, 3
	s_delay_alu instid0(SALU_CYCLE_1) | instskip(SKIP_1) | instid1(SALU_CYCLE_1)
	s_add_nc_u64 s[20:21], s[0:1], s[12:13]
	s_ashr_i32 s15, s14, 31
	s_lshl_b64 s[10:11], s[14:15], 18
	s_wait_kmcnt 0x0
	s_add_nc_u64 s[18:19], s[2:3], s[10:11]
	s_add_nc_u64 s[22:23], s[4:5], s[10:11]
	s_and_b32 s12, s18, 15
	s_and_b64 s[18:19], s[8:9], 15
	s_cmp_eq_u64 s[12:13], 0
	s_cselect_b32 s25, -1, 0
	s_or_b32 s12, s6, s22
	s_delay_alu instid0(SALU_CYCLE_1) | instskip(NEXT) | instid1(SALU_CYCLE_1)
	s_and_b32 s12, s12, 15
	s_cmp_eq_u32 s12, 0
	s_cselect_b32 s26, -1, 0
	s_lshl_b32 s12, s24, 2
	s_lshl_b64 s[14:15], s[14:15], 16
	s_sub_nc_u64 s[22:23], 0, s[12:13]
	s_and_b32 s12, s16, 3
	s_add_nc_u64 s[20:21], s[20:21], s[22:23]
	s_or_b64 s[12:13], s[18:19], s[12:13]
	s_load_b32 s20, s[20:21], 0x5a0
	s_wait_xcnt 0x0
	s_and_b32 s21, s26, s25
	s_cmp_eq_u64 s[12:13], 0
	s_cselect_b32 s12, -1, 0
	s_delay_alu instid0(SALU_CYCLE_1)
	s_and_b32 s18, s21, s12
	s_sub_nc_u64 s[12:13], s[16:17], s[14:15]
	s_and_b32 vcc_lo, exec_lo, s18
	s_mov_b32 s14, -1
	s_cbranch_vccnz .LBB112_19
; %bb.1:
	v_cmp_lt_i64_e64 s14, s[12:13], 1
	s_and_b32 vcc_lo, exec_lo, s14
	s_cbranch_vccnz .LBB112_18
; %bb.2:
	s_load_b32 s14, s[0:1], 0xc84
	v_min_i64 v[2:3], 0x10000, s[12:13]
	v_min_u64 v[4:5], 0x10000, s[12:13]
	v_dual_mov_b32 v1, 0 :: v_dual_lshlrev_b32 v18, 2, v0
	s_mov_b32 s17, 0
	s_delay_alu instid0(SALU_CYCLE_1) | instskip(NEXT) | instid1(VALU_DEP_1)
	s_mov_b32 s25, s17
	v_dual_mov_b32 v19, v1 :: v_dual_mov_b32 v43, v1
	s_mov_b32 s15, s17
	s_mov_b32 s19, s17
	;; [unrolled: 1-line block ×3, first 2 shown]
	s_delay_alu instid0(VALU_DEP_1)
	v_add_nc_u64_e32 v[6:7], s[8:9], v[18:19]
	v_add_nc_u64_e32 v[8:9], s[2:3], v[18:19]
	;; [unrolled: 1-line block ×4, first 2 shown]
	s_wait_kmcnt 0x0
	s_and_b32 s16, s14, 0xffff
	s_delay_alu instid0(SALU_CYCLE_1)
	v_add_nc_u64_e32 v[14:15], s[16:17], v[0:1]
	v_mad_nc_u64_u32 v[30:31], s16, 12, v[18:19]
	s_lshl_b32 s24, s16, 3
	s_lshl_b32 s14, s16, 2
	v_add_nc_u64_e32 v[34:35], s[24:25], v[18:19]
	s_lshl_b32 s18, s16, 1
	s_mul_i32 s22, s16, 3
	v_lshlrev_b32_e32 v42, 2, v14
	s_add_nc_u64 s[24:25], s[6:7], s[14:15]
	v_add_nc_u64_e32 v[16:17], s[22:23], v[0:1]
	v_add_nc_u64_e32 v[18:19], s[24:25], v[18:19]
	;; [unrolled: 1-line block ×14, first 2 shown]
	s_lshl_b32 s16, s16, 4
	s_mov_b64 s[18:19], 0
	s_branch .LBB112_4
.LBB112_3:                              ;   in Loop: Header=BB112_4 Depth=1
	s_wait_xcnt 0x0
	s_or_b32 exec_lo, exec_lo, s21
	v_add_nc_u64_e32 v[56:57], s[10:11], v[30:31]
	s_add_nc_u64 s[18:19], s[18:19], s[14:15]
	v_add_nc_u64_e32 v[6:7], s[16:17], v[6:7]
	v_add_nc_u64_e32 v[8:9], s[16:17], v[8:9]
	;; [unrolled: 1-line block ×5, first 2 shown]
	global_load_b32 v55, v[56:57], off
	s_wait_loadcnt 0x1
	s_wait_xcnt 0x0
	v_dual_sub_nc_u32 v57, 0, v51 :: v_dual_bitop2_b32 v56, v51, v54 bitop3:0x14
	v_add_nc_u64_e32 v[30:31], s[16:17], v[30:31]
	v_add_nc_u64_e32 v[22:23], s[16:17], v[22:23]
	;; [unrolled: 1-line block ×3, first 2 shown]
	s_delay_alu instid0(VALU_DEP_4)
	v_dual_ashrrev_i32 v56, 31, v56 :: v_dual_max_i32 v51, v51, v57
	v_sub_nc_u32_e32 v57, 0, v54
	v_add_nc_u64_e32 v[34:35], s[16:17], v[34:35]
	v_add_nc_u64_e32 v[38:39], s[16:17], v[38:39]
	;; [unrolled: 1-line block ×4, first 2 shown]
	v_max_i32_e32 v54, v54, v57
	s_delay_alu instid0(VALU_DEP_1) | instskip(NEXT) | instid1(VALU_DEP_1)
	v_cvt_f32_u32_e32 v57, v54
	v_rcp_iflag_f32_e32 v57, v57
	v_nop
	s_delay_alu instid0(TRANS32_DEP_1) | instskip(NEXT) | instid1(VALU_DEP_1)
	v_dual_mul_f32 v57, 0x4f7ffffe, v57 :: v_dual_sub_nc_u32 v58, 0, v54
	v_cvt_u32_f32_e32 v57, v57
	s_delay_alu instid0(VALU_DEP_1) | instskip(NEXT) | instid1(VALU_DEP_1)
	v_mul_lo_u32 v58, v58, v57
	v_mul_hi_u32 v58, v57, v58
	s_delay_alu instid0(VALU_DEP_1) | instskip(NEXT) | instid1(VALU_DEP_1)
	v_add_nc_u32_e32 v57, v57, v58
	v_mul_hi_u32 v57, v51, v57
	s_delay_alu instid0(VALU_DEP_1) | instskip(NEXT) | instid1(VALU_DEP_1)
	v_mul_lo_u32 v58, v57, v54
	v_dual_sub_nc_u32 v51, v51, v58 :: v_dual_add_nc_u32 v58, 1, v57
	s_delay_alu instid0(VALU_DEP_1) | instskip(NEXT) | instid1(VALU_DEP_2)
	v_cmp_ge_u32_e32 vcc_lo, v51, v54
	v_cndmask_b32_e32 v57, v57, v58, vcc_lo
	v_sub_nc_u32_e32 v58, v51, v54
	s_delay_alu instid0(VALU_DEP_1) | instskip(NEXT) | instid1(VALU_DEP_1)
	v_cndmask_b32_e32 v51, v51, v58, vcc_lo
	v_cmp_ge_u32_e32 vcc_lo, v51, v54
	s_delay_alu instid0(VALU_DEP_4) | instskip(NEXT) | instid1(VALU_DEP_1)
	v_dual_add_nc_u32 v51, 1, v57 :: v_dual_sub_nc_u32 v54, 0, v52
	v_cndmask_b32_e32 v51, v57, v51, vcc_lo
	s_delay_alu instid0(VALU_DEP_1) | instskip(NEXT) | instid1(VALU_DEP_1)
	v_xor_b32_e32 v51, v51, v56
	v_sub_nc_u32_e32 v51, v51, v56
	s_delay_alu instid0(VALU_DEP_1) | instskip(SKIP_2) | instid1(VALU_DEP_1)
	v_mad_u32 v50, v51, s20, v50
	v_xor_b32_e32 v51, v52, v53
	v_dual_sub_nc_u32 v54, 0, v53 :: v_dual_max_i32 v52, v52, v54
	v_max_i32_e32 v53, v53, v54
	s_delay_alu instid0(VALU_DEP_1) | instskip(SKIP_1) | instid1(VALU_DEP_2)
	v_cvt_f32_u32_e32 v54, v53
	v_sub_nc_u32_e32 v56, 0, v53
	v_rcp_iflag_f32_e32 v54, v54
	v_nop
	s_delay_alu instid0(TRANS32_DEP_1) | instskip(NEXT) | instid1(VALU_DEP_1)
	v_dual_mul_f32 v54, 0x4f7ffffe, v54 :: v_dual_ashrrev_i32 v51, 31, v51
	v_cvt_u32_f32_e32 v54, v54
	s_delay_alu instid0(VALU_DEP_1) | instskip(NEXT) | instid1(VALU_DEP_1)
	v_mul_lo_u32 v56, v56, v54
	v_mul_hi_u32 v56, v54, v56
	s_delay_alu instid0(VALU_DEP_1) | instskip(NEXT) | instid1(VALU_DEP_1)
	v_add_nc_u32_e32 v54, v54, v56
	v_mul_hi_u32 v54, v52, v54
	s_delay_alu instid0(VALU_DEP_1) | instskip(NEXT) | instid1(VALU_DEP_1)
	v_mul_lo_u32 v56, v54, v53
	v_dual_sub_nc_u32 v52, v52, v56 :: v_dual_add_nc_u32 v56, 1, v54
	s_delay_alu instid0(VALU_DEP_1) | instskip(NEXT) | instid1(VALU_DEP_2)
	v_cmp_ge_u32_e32 vcc_lo, v52, v53
	v_dual_cndmask_b32 v54, v54, v56, vcc_lo :: v_dual_sub_nc_u32 v56, v52, v53
	s_delay_alu instid0(VALU_DEP_1) | instskip(NEXT) | instid1(VALU_DEP_1)
	v_cndmask_b32_e32 v52, v52, v56, vcc_lo
	v_cmp_ge_u32_e32 vcc_lo, v52, v53
	s_delay_alu instid0(VALU_DEP_3) | instskip(NEXT) | instid1(VALU_DEP_1)
	v_add_nc_u32_e32 v52, 1, v54
	v_cndmask_b32_e32 v52, v54, v52, vcc_lo
	s_delay_alu instid0(VALU_DEP_1) | instskip(NEXT) | instid1(VALU_DEP_1)
	v_xor_b32_e32 v52, v52, v51
	v_dual_sub_nc_u32 v51, v52, v51 :: v_dual_sub_nc_u32 v52, 0, v49
	s_delay_alu instid0(VALU_DEP_1) | instskip(SKIP_2) | instid1(VALU_DEP_3)
	v_mad_u32 v47, v51, s20, v47
	s_wait_loadcnt 0x0
	v_xor_b32_e32 v51, v49, v55
	v_dual_sub_nc_u32 v52, 0, v55 :: v_dual_max_i32 v49, v49, v52
	s_delay_alu instid0(VALU_DEP_1) | instskip(NEXT) | instid1(VALU_DEP_1)
	v_dual_ashrrev_i32 v51, 31, v51 :: v_dual_max_i32 v52, v55, v52
	v_cvt_f32_u32_e32 v53, v52
	s_delay_alu instid0(VALU_DEP_1) | instskip(SKIP_1) | instid1(TRANS32_DEP_1)
	v_rcp_iflag_f32_e32 v53, v53
	v_nop
	v_dual_mul_f32 v53, 0x4f7ffffe, v53 :: v_dual_sub_nc_u32 v54, 0, v52
	s_delay_alu instid0(VALU_DEP_1) | instskip(NEXT) | instid1(VALU_DEP_1)
	v_cvt_u32_f32_e32 v53, v53
	v_mul_lo_u32 v54, v54, v53
	s_delay_alu instid0(VALU_DEP_1) | instskip(NEXT) | instid1(VALU_DEP_1)
	v_mul_hi_u32 v54, v53, v54
	v_add_nc_u32_e32 v53, v53, v54
	s_delay_alu instid0(VALU_DEP_1) | instskip(NEXT) | instid1(VALU_DEP_1)
	v_mul_hi_u32 v53, v49, v53
	v_mul_lo_u32 v54, v53, v52
	s_delay_alu instid0(VALU_DEP_1) | instskip(NEXT) | instid1(VALU_DEP_1)
	v_dual_sub_nc_u32 v49, v49, v54 :: v_dual_add_nc_u32 v54, 1, v53
	v_cmp_ge_u32_e32 vcc_lo, v49, v52
	s_delay_alu instid0(VALU_DEP_2) | instskip(SKIP_1) | instid1(VALU_DEP_1)
	v_cndmask_b32_e32 v53, v53, v54, vcc_lo
	v_sub_nc_u32_e32 v54, v49, v52
	v_cndmask_b32_e32 v49, v49, v54, vcc_lo
	s_delay_alu instid0(VALU_DEP_1) | instskip(SKIP_1) | instid1(VALU_DEP_1)
	v_cmp_ge_u32_e32 vcc_lo, v49, v52
	v_xor_b32_e32 v52, v46, v45
	v_dual_add_nc_u32 v49, 1, v53 :: v_dual_ashrrev_i32 v52, 31, v52
	s_delay_alu instid0(VALU_DEP_1) | instskip(NEXT) | instid1(VALU_DEP_1)
	v_dual_cndmask_b32 v49, v53, v49, vcc_lo :: v_dual_sub_nc_u32 v53, 0, v46
	v_xor_b32_e32 v49, v49, v51
	s_delay_alu instid0(VALU_DEP_2) | instskip(NEXT) | instid1(VALU_DEP_2)
	v_max_i32_e32 v46, v46, v53
	v_dual_sub_nc_u32 v53, 0, v45 :: v_dual_sub_nc_u32 v49, v49, v51
	s_delay_alu instid0(VALU_DEP_1) | instskip(NEXT) | instid1(VALU_DEP_2)
	v_max_i32_e32 v45, v45, v53
	v_mad_u32 v51, v49, s20, v48
	v_add_nc_u64_e32 v[48:49], s[10:11], v[12:13]
	s_delay_alu instid0(VALU_DEP_3) | instskip(SKIP_2) | instid1(VALU_DEP_3)
	v_cvt_f32_u32_e32 v53, v45
	v_sub_nc_u32_e32 v54, 0, v45
	v_add_nc_u64_e32 v[12:13], s[16:17], v[12:13]
	v_rcp_iflag_f32_e32 v53, v53
	v_nop
	s_delay_alu instid0(TRANS32_DEP_1) | instskip(NEXT) | instid1(VALU_DEP_1)
	v_mul_f32_e32 v53, 0x4f7ffffe, v53
	v_cvt_u32_f32_e32 v53, v53
	s_delay_alu instid0(VALU_DEP_1) | instskip(NEXT) | instid1(VALU_DEP_1)
	v_mul_lo_u32 v54, v54, v53
	v_mul_hi_u32 v54, v53, v54
	s_delay_alu instid0(VALU_DEP_1) | instskip(NEXT) | instid1(VALU_DEP_1)
	v_add_nc_u32_e32 v53, v53, v54
	v_mul_hi_u32 v53, v46, v53
	s_delay_alu instid0(VALU_DEP_1) | instskip(NEXT) | instid1(VALU_DEP_1)
	v_mul_lo_u32 v54, v53, v45
	v_dual_sub_nc_u32 v46, v46, v54 :: v_dual_add_nc_u32 v54, 1, v53
	s_delay_alu instid0(VALU_DEP_1) | instskip(NEXT) | instid1(VALU_DEP_2)
	v_cmp_ge_u32_e32 vcc_lo, v46, v45
	v_dual_cndmask_b32 v53, v53, v54 :: v_dual_sub_nc_u32 v54, v46, v45
	s_delay_alu instid0(VALU_DEP_1) | instskip(NEXT) | instid1(VALU_DEP_1)
	v_cndmask_b32_e32 v46, v46, v54, vcc_lo
	v_cmp_ge_u32_e32 vcc_lo, v46, v45
	s_delay_alu instid0(VALU_DEP_3) | instskip(NEXT) | instid1(VALU_DEP_1)
	v_add_nc_u32_e32 v45, 1, v53
	v_cndmask_b32_e32 v45, v53, v45, vcc_lo
	v_cmp_lt_i64_e32 vcc_lo, s[18:19], v[2:3]
	s_delay_alu instid0(VALU_DEP_2) | instskip(SKIP_1) | instid1(VALU_DEP_1)
	v_xor_b32_e32 v45, v45, v52
	s_and_b32 vcc_lo, exec_lo, vcc_lo
	v_sub_nc_u32_e32 v45, v45, v52
	s_delay_alu instid0(VALU_DEP_1)
	v_mad_u32 v44, v45, s20, v44
	global_store_b32 v[48:49], v44, off
	s_wait_xcnt 0x0
	v_add_nc_u64_e32 v[44:45], s[10:11], v[18:19]
	v_add_nc_u64_e32 v[18:19], s[16:17], v[18:19]
	global_store_b32 v[44:45], v50, off
	s_wait_xcnt 0x0
	v_add_nc_u64_e32 v[44:45], s[10:11], v[20:21]
	v_add_nc_u64_e32 v[20:21], s[16:17], v[20:21]
	;; [unrolled: 4-line block ×3, first 2 shown]
	global_store_b32 v[44:45], v51, off
	s_cbranch_vccz .LBB112_18
.LBB112_4:                              ; =>This Inner Loop Header: Depth=1
	s_wait_xcnt 0x0
	v_add_nc_u64_e32 v[44:45], s[18:19], v[0:1]
	v_mov_b32_e32 v46, 0
	s_delay_alu instid0(VALU_DEP_2)
	v_cmp_lt_u64_e32 vcc_lo, v[44:45], v[4:5]
	v_mov_b32_e32 v44, 0
	s_and_saveexec_b32 s21, vcc_lo
	s_cbranch_execz .LBB112_6
; %bb.5:                                ;   in Loop: Header=BB112_4 Depth=1
	v_add_nc_u64_e32 v[48:49], s[10:11], v[6:7]
	v_add_nc_u64_e32 v[50:51], s[10:11], v[8:9]
	global_load_b32 v44, v[48:49], off
	global_load_b32 v46, v[50:51], off
.LBB112_6:                              ;   in Loop: Header=BB112_4 Depth=1
	s_wait_xcnt 0x0
	s_or_b32 exec_lo, exec_lo, s21
	v_dual_mov_b32 v51, 0 :: v_dual_mov_b32 v45, 0
	s_and_saveexec_b32 s21, vcc_lo
	s_cbranch_execz .LBB112_8
; %bb.7:                                ;   in Loop: Header=BB112_4 Depth=1
	v_add_nc_u64_e32 v[48:49], s[10:11], v[10:11]
	global_load_b32 v45, v[48:49], off
.LBB112_8:                              ;   in Loop: Header=BB112_4 Depth=1
	s_wait_xcnt 0x0
	s_or_b32 exec_lo, exec_lo, s21
	v_add_nc_u64_e32 v[48:49], s[18:19], v[14:15]
	v_mov_b32_e32 v50, 0
	s_delay_alu instid0(VALU_DEP_2)
	v_cmp_lt_u64_e32 vcc_lo, v[48:49], v[4:5]
	s_and_saveexec_b32 s21, vcc_lo
	s_cbranch_execz .LBB112_10
; %bb.9:                                ;   in Loop: Header=BB112_4 Depth=1
	v_add_nc_u64_e32 v[48:49], s[10:11], v[38:39]
	v_add_nc_u64_e32 v[52:53], s[10:11], v[40:41]
	global_load_b32 v50, v[48:49], off
	global_load_b32 v51, v[52:53], off
.LBB112_10:                             ;   in Loop: Header=BB112_4 Depth=1
	s_wait_xcnt 0x0
	s_or_b32 exec_lo, exec_lo, s21
	v_dual_mov_b32 v52, 0 :: v_dual_mov_b32 v54, 0
	s_and_saveexec_b32 s21, vcc_lo
	s_cbranch_execz .LBB112_12
; %bb.11:                               ;   in Loop: Header=BB112_4 Depth=1
	v_add_nc_u64_e32 v[48:49], s[10:11], v[42:43]
	global_load_b32 v54, v[48:49], off
.LBB112_12:                             ;   in Loop: Header=BB112_4 Depth=1
	s_wait_xcnt 0x0
	s_or_b32 exec_lo, exec_lo, s21
	v_add_nc_u64_e32 v[48:49], s[18:19], v[36:37]
	v_mov_b32_e32 v47, 0
	s_delay_alu instid0(VALU_DEP_2)
	v_cmp_lt_u64_e32 vcc_lo, v[48:49], v[4:5]
	s_and_saveexec_b32 s21, vcc_lo
	s_cbranch_execz .LBB112_14
; %bb.13:                               ;   in Loop: Header=BB112_4 Depth=1
	v_add_nc_u64_e32 v[48:49], s[10:11], v[22:23]
	v_add_nc_u64_e32 v[56:57], s[10:11], v[32:33]
	global_load_b32 v47, v[48:49], off
	global_load_b32 v52, v[56:57], off
.LBB112_14:                             ;   in Loop: Header=BB112_4 Depth=1
	s_wait_xcnt 0x0
	s_or_b32 exec_lo, exec_lo, s21
	v_dual_mov_b32 v49, 0 :: v_dual_mov_b32 v53, 0
	s_and_saveexec_b32 s21, vcc_lo
	s_cbranch_execz .LBB112_16
; %bb.15:                               ;   in Loop: Header=BB112_4 Depth=1
	v_add_nc_u64_e32 v[56:57], s[10:11], v[34:35]
	global_load_b32 v53, v[56:57], off
.LBB112_16:                             ;   in Loop: Header=BB112_4 Depth=1
	s_wait_xcnt 0x0
	s_or_b32 exec_lo, exec_lo, s21
	v_add_nc_u64_e32 v[56:57], s[18:19], v[16:17]
	v_mov_b32_e32 v48, 0
	s_mov_b32 s21, exec_lo
	s_delay_alu instid0(VALU_DEP_2)
	v_cmpx_lt_u64_e64 v[56:57], v[4:5]
	s_cbranch_execz .LBB112_3
; %bb.17:                               ;   in Loop: Header=BB112_4 Depth=1
	v_add_nc_u64_e32 v[56:57], s[10:11], v[26:27]
	v_add_nc_u64_e32 v[58:59], s[10:11], v[28:29]
	global_load_b32 v48, v[56:57], off
	global_load_b32 v49, v[58:59], off
	s_branch .LBB112_3
.LBB112_18:
	s_mov_b32 s14, 0
.LBB112_19:
	s_delay_alu instid0(SALU_CYCLE_1)
	s_and_not1_b32 vcc_lo, exec_lo, s14
	s_cbranch_vccnz .LBB112_23
; %bb.20:
	v_min_i64 v[2:3], 0x10000, s[12:13]
	v_dual_mov_b32 v5, 0 :: v_dual_lshlrev_b32 v4, 2, v0
	s_mov_b32 s12, exec_lo
	s_wait_xcnt 0x0
	s_delay_alu instid0(VALU_DEP_1)
	v_cmpx_lt_i64_e64 v[4:5], v[2:3]
	s_cbranch_execz .LBB112_23
; %bb.21:
	s_load_b32 s0, s[0:1], 0xc84
	v_dual_mov_b32 v1, v5 :: v_dual_lshlrev_b32 v4, 4, v0
	s_mov_b32 s13, 0
	s_wait_kmcnt 0x0
	s_mov_b32 s16, s20
	s_add_nc_u64 s[8:9], s[8:9], 8
	v_add_nc_u64_e32 v[4:5], s[10:11], v[4:5]
	s_add_nc_u64 s[10:11], s[2:3], 8
	s_mov_b32 s15, s13
	s_mov_b32 s3, s13
	s_and_b32 s12, s0, 0xffff
	s_delay_alu instid0(SALU_CYCLE_1)
	s_lshl_b32 s14, s12, 4
.LBB112_22:                             ; =>This Inner Loop Header: Depth=1
	s_delay_alu instid0(VALU_DEP_1)
	v_add_nc_u64_e32 v[14:15], s[4:5], v[4:5]
	v_add_nc_u64_e32 v[16:17], s[10:11], v[4:5]
	;; [unrolled: 1-line block ×3, first 2 shown]
	global_load_b128 v[6:9], v[14:15], off
	global_load_b128 v[10:13], v[16:17], off offset:-8
	s_wait_xcnt 0x1
	v_add_nc_u64_e32 v[14:15], s[8:9], v[4:5]
	global_load_b128 v[14:17], v[14:15], off offset:-8
	s_wait_loadcnt 0x1
	v_dual_sub_nc_u32 v23, 0, v7 :: v_dual_sub_nc_u32 v25, 0, v12
	v_dual_sub_nc_u32 v20, 0, v6 :: v_dual_bitop2_b32 v18, v10, v6 bitop3:0x14
	v_dual_sub_nc_u32 v19, 0, v10 :: v_dual_bitop2_b32 v21, v11, v7 bitop3:0x14
	;; [unrolled: 1-line block ×3, first 2 shown]
	s_delay_alu instid0(VALU_DEP_2) | instskip(NEXT) | instid1(VALU_DEP_3)
	v_dual_sub_nc_u32 v29, 0, v9 :: v_dual_max_i32 v10, v10, v19
	v_dual_ashrrev_i32 v19, 31, v21 :: v_dual_max_i32 v6, v6, v20
	v_max_i32_e32 v7, v7, v23
	v_dual_sub_nc_u32 v22, 0, v11 :: v_dual_bitop2_b32 v24, v12, v8 bitop3:0x14
	v_dual_sub_nc_u32 v28, 0, v13 :: v_dual_ashrrev_i32 v18, 31, v18
	v_dual_ashrrev_i32 v21, 31, v27 :: v_dual_max_i32 v12, v12, v25
	v_sub_nc_u32_e32 v23, 0, v6
	v_dual_sub_nc_u32 v25, 0, v7 :: v_dual_max_i32 v8, v8, v26
	v_max_i32_e32 v9, v9, v29
	v_dual_ashrrev_i32 v20, 31, v24 :: v_dual_max_i32 v11, v11, v22
	s_delay_alu instid0(VALU_DEP_3) | instskip(NEXT) | instid1(VALU_DEP_3)
	v_sub_nc_u32_e32 v27, 0, v8
	v_dual_sub_nc_u32 v29, 0, v9 :: v_dual_max_i32 v13, v13, v28
	v_cvt_f32_u32_e32 v28, v9
	v_cvt_f32_u32_e32 v24, v7
	;; [unrolled: 1-line block ×4, first 2 shown]
	s_delay_alu instid0(VALU_DEP_4) | instskip(NEXT) | instid1(VALU_DEP_3)
	v_rcp_iflag_f32_e32 v28, v28
	v_rcp_iflag_f32_e32 v24, v24
	s_delay_alu instid0(VALU_DEP_2) | instskip(NEXT) | instid1(VALU_DEP_1)
	v_rcp_iflag_f32_e32 v22, v22
	v_rcp_iflag_f32_e32 v26, v26
	v_mul_f32_e32 v28, 0x4f7ffffe, v28
	s_delay_alu instid0(VALU_DEP_1) | instskip(NEXT) | instid1(VALU_DEP_1)
	v_cvt_u32_f32_e32 v28, v28
	v_mul_lo_u32 v29, v29, v28
	s_delay_alu instid0(VALU_DEP_1) | instskip(SKIP_1) | instid1(VALU_DEP_1)
	v_mul_hi_u32 v29, v28, v29
	v_mul_f32_e32 v24, 0x4f7ffffe, v24
	v_cvt_u32_f32_e32 v24, v24
	s_delay_alu instid0(VALU_DEP_1) | instskip(NEXT) | instid1(VALU_DEP_1)
	v_mul_lo_u32 v25, v25, v24
	v_mul_hi_u32 v25, v24, v25
	v_mul_f32_e32 v22, 0x4f7ffffe, v22
	s_delay_alu instid0(VALU_DEP_1) | instskip(NEXT) | instid1(VALU_DEP_1)
	v_cvt_u32_f32_e32 v22, v22
	v_mul_lo_u32 v23, v23, v22
	s_delay_alu instid0(VALU_DEP_1) | instskip(NEXT) | instid1(VALU_DEP_1)
	v_mul_hi_u32 v23, v22, v23
	v_dual_add_nc_u32 v22, v22, v23 :: v_dual_add_nc_u32 v23, v24, v25
	v_add_nc_u32_e32 v25, v28, v29
	s_delay_alu instid0(VALU_DEP_2) | instskip(SKIP_1) | instid1(VALU_DEP_3)
	v_mul_hi_u32 v23, v11, v23
	v_mul_f32_e32 v26, 0x4f7ffffe, v26
	v_mul_hi_u32 v25, v13, v25
	s_delay_alu instid0(VALU_DEP_3) | instskip(NEXT) | instid1(VALU_DEP_3)
	v_add_nc_u32_e32 v31, 1, v23
	v_cvt_u32_f32_e32 v26, v26
	s_delay_alu instid0(VALU_DEP_3) | instskip(SKIP_1) | instid1(VALU_DEP_3)
	v_mul_lo_u32 v29, v25, v9
	v_add_nc_u32_e32 v33, 1, v25
	v_mul_lo_u32 v27, v27, v26
	s_delay_alu instid0(VALU_DEP_3) | instskip(NEXT) | instid1(VALU_DEP_2)
	v_sub_nc_u32_e32 v13, v13, v29
	v_mul_hi_u32 v27, v26, v27
	s_delay_alu instid0(VALU_DEP_2) | instskip(SKIP_1) | instid1(VALU_DEP_2)
	v_cmp_ge_u32_e64 s2, v13, v9
	v_sub_nc_u32_e32 v29, v13, v9
	v_cndmask_b32_e64 v25, v25, v33, s2
	s_delay_alu instid0(VALU_DEP_2) | instskip(SKIP_1) | instid1(VALU_DEP_3)
	v_dual_cndmask_b32 v13, v13, v29, s2 :: v_dual_add_nc_u32 v24, v26, v27
	v_mul_lo_u32 v27, v23, v7
	v_add_nc_u32_e32 v29, 1, v25
	s_delay_alu instid0(VALU_DEP_3) | instskip(NEXT) | instid1(VALU_DEP_1)
	v_mul_hi_u32 v24, v12, v24
	v_dual_sub_nc_u32 v11, v11, v27 :: v_dual_add_nc_u32 v32, 1, v24
	v_mul_hi_u32 v22, v10, v22
	v_mul_lo_u32 v28, v24, v8
	s_delay_alu instid0(VALU_DEP_3) | instskip(SKIP_1) | instid1(VALU_DEP_2)
	v_cmp_ge_u32_e64 s0, v11, v7
	v_sub_nc_u32_e32 v27, v11, v7
	v_cndmask_b32_e64 v23, v23, v31, s0
	s_delay_alu instid0(VALU_DEP_2) | instskip(SKIP_2) | instid1(VALU_DEP_4)
	v_cndmask_b32_e64 v11, v11, v27, s0
	v_mul_lo_u32 v26, v22, v6
	v_dual_add_nc_u32 v30, 1, v22 :: v_dual_sub_nc_u32 v12, v12, v28
	v_add_nc_u32_e32 v27, 1, v23
	s_delay_alu instid0(VALU_DEP_2) | instskip(NEXT) | instid1(VALU_DEP_4)
	v_cmp_ge_u32_e64 s1, v12, v8
	v_dual_sub_nc_u32 v28, v12, v8 :: v_dual_sub_nc_u32 v10, v10, v26
	s_delay_alu instid0(VALU_DEP_2) | instskip(NEXT) | instid1(VALU_DEP_2)
	v_cndmask_b32_e64 v24, v24, v32, s1
	v_cndmask_b32_e64 v12, v12, v28, s1
	s_delay_alu instid0(VALU_DEP_3) | instskip(NEXT) | instid1(VALU_DEP_3)
	v_cmp_ge_u32_e32 vcc_lo, v10, v6
	v_dual_sub_nc_u32 v26, v10, v6 :: v_dual_add_nc_u32 v28, 1, v24
	v_cndmask_b32_e32 v22, v22, v30, vcc_lo
	s_delay_alu instid0(VALU_DEP_2) | instskip(NEXT) | instid1(VALU_DEP_2)
	v_cndmask_b32_e32 v10, v10, v26, vcc_lo
	v_add_nc_u32_e32 v26, 1, v22
	s_delay_alu instid0(VALU_DEP_2) | instskip(NEXT) | instid1(VALU_DEP_2)
	v_cmp_ge_u32_e32 vcc_lo, v10, v6
	v_cndmask_b32_e32 v6, v22, v26, vcc_lo
	v_cmp_ge_u32_e32 vcc_lo, v11, v7
	v_lshlrev_b64_e32 v[10:11], 2, v[0:1]
	v_cndmask_b32_e32 v7, v23, v27, vcc_lo
	v_cmp_ge_u32_e32 vcc_lo, v12, v8
	v_xor_b32_e32 v6, v6, v18
	s_delay_alu instid0(VALU_DEP_3) | instskip(SKIP_1) | instid1(VALU_DEP_2)
	v_dual_cndmask_b32 v8, v24, v28, vcc_lo :: v_dual_bitop2_b32 v7, v7, v19 bitop3:0x14
	v_cmp_ge_u32_e32 vcc_lo, v13, v9
	v_dual_sub_nc_u32 v6, v6, v18 :: v_dual_sub_nc_u32 v7, v7, v19
	s_delay_alu instid0(VALU_DEP_3) | instskip(SKIP_1) | instid1(VALU_DEP_2)
	v_dual_cndmask_b32 v9, v25, v29, vcc_lo :: v_dual_bitop2_b32 v8, v8, v20 bitop3:0x14
	s_wait_loadcnt 0x0
	v_mad_u32 v6, v6, s20, v14
	s_delay_alu instid0(VALU_DEP_3) | instskip(SKIP_4) | instid1(VALU_DEP_3)
	v_mad_u32 v7, v7, s16, v15
	v_cmp_ge_i64_e32 vcc_lo, v[10:11], v[2:3]
	v_dual_sub_nc_u32 v8, v8, v20 :: v_dual_bitop2_b32 v9, v9, v21 bitop3:0x14
	v_add_nc_u64_e32 v[10:11], s[6:7], v[4:5]
	v_add_nc_u64_e32 v[4:5], s[14:15], v[4:5]
	v_sub_nc_u32_e32 v9, v9, v21
	s_delay_alu instid0(VALU_DEP_4) | instskip(SKIP_1) | instid1(VALU_DEP_2)
	v_mad_u32 v8, v8, s20, v16
	s_or_b32 s3, vcc_lo, s3
	v_mad_u32 v9, v9, s16, v17
	global_store_b128 v[10:11], v[6:9], off
	s_wait_xcnt 0x0
	s_and_not1_b32 exec_lo, exec_lo, s3
	s_cbranch_execnz .LBB112_22
.LBB112_23:
	s_endpgm
	.section	.rodata,"a",@progbits
	.p2align	6, 0x0
	.amdhsa_kernel _ZN2at6native12_GLOBAL__N_125multi_tensor_apply_kernelINS1_28TensorListScalarListMetadataIiLi4EEENS1_28PointwiseOpScalarListFunctorIiLi4ELi3ELi3EEEJSt7dividesIiEEEEvT_T0_DpT1_
		.amdhsa_group_segment_fixed_size 0
		.amdhsa_private_segment_fixed_size 0
		.amdhsa_kernarg_size 3448
		.amdhsa_user_sgpr_count 2
		.amdhsa_user_sgpr_dispatch_ptr 0
		.amdhsa_user_sgpr_queue_ptr 0
		.amdhsa_user_sgpr_kernarg_segment_ptr 1
		.amdhsa_user_sgpr_dispatch_id 0
		.amdhsa_user_sgpr_kernarg_preload_length 0
		.amdhsa_user_sgpr_kernarg_preload_offset 0
		.amdhsa_user_sgpr_private_segment_size 0
		.amdhsa_wavefront_size32 1
		.amdhsa_uses_dynamic_stack 0
		.amdhsa_enable_private_segment 0
		.amdhsa_system_sgpr_workgroup_id_x 1
		.amdhsa_system_sgpr_workgroup_id_y 0
		.amdhsa_system_sgpr_workgroup_id_z 0
		.amdhsa_system_sgpr_workgroup_info 0
		.amdhsa_system_vgpr_workitem_id 0
		.amdhsa_next_free_vgpr 60
		.amdhsa_next_free_sgpr 27
		.amdhsa_named_barrier_count 0
		.amdhsa_reserve_vcc 1
		.amdhsa_float_round_mode_32 0
		.amdhsa_float_round_mode_16_64 0
		.amdhsa_float_denorm_mode_32 3
		.amdhsa_float_denorm_mode_16_64 3
		.amdhsa_fp16_overflow 0
		.amdhsa_memory_ordered 1
		.amdhsa_forward_progress 1
		.amdhsa_inst_pref_size 23
		.amdhsa_round_robin_scheduling 0
		.amdhsa_exception_fp_ieee_invalid_op 0
		.amdhsa_exception_fp_denorm_src 0
		.amdhsa_exception_fp_ieee_div_zero 0
		.amdhsa_exception_fp_ieee_overflow 0
		.amdhsa_exception_fp_ieee_underflow 0
		.amdhsa_exception_fp_ieee_inexact 0
		.amdhsa_exception_int_div_zero 0
	.end_amdhsa_kernel
	.section	.text._ZN2at6native12_GLOBAL__N_125multi_tensor_apply_kernelINS1_28TensorListScalarListMetadataIiLi4EEENS1_28PointwiseOpScalarListFunctorIiLi4ELi3ELi3EEEJSt7dividesIiEEEEvT_T0_DpT1_,"axG",@progbits,_ZN2at6native12_GLOBAL__N_125multi_tensor_apply_kernelINS1_28TensorListScalarListMetadataIiLi4EEENS1_28PointwiseOpScalarListFunctorIiLi4ELi3ELi3EEEJSt7dividesIiEEEEvT_T0_DpT1_,comdat
.Lfunc_end112:
	.size	_ZN2at6native12_GLOBAL__N_125multi_tensor_apply_kernelINS1_28TensorListScalarListMetadataIiLi4EEENS1_28PointwiseOpScalarListFunctorIiLi4ELi3ELi3EEEJSt7dividesIiEEEEvT_T0_DpT1_, .Lfunc_end112-_ZN2at6native12_GLOBAL__N_125multi_tensor_apply_kernelINS1_28TensorListScalarListMetadataIiLi4EEENS1_28PointwiseOpScalarListFunctorIiLi4ELi3ELi3EEEJSt7dividesIiEEEEvT_T0_DpT1_
                                        ; -- End function
	.set _ZN2at6native12_GLOBAL__N_125multi_tensor_apply_kernelINS1_28TensorListScalarListMetadataIiLi4EEENS1_28PointwiseOpScalarListFunctorIiLi4ELi3ELi3EEEJSt7dividesIiEEEEvT_T0_DpT1_.num_vgpr, 60
	.set _ZN2at6native12_GLOBAL__N_125multi_tensor_apply_kernelINS1_28TensorListScalarListMetadataIiLi4EEENS1_28PointwiseOpScalarListFunctorIiLi4ELi3ELi3EEEJSt7dividesIiEEEEvT_T0_DpT1_.num_agpr, 0
	.set _ZN2at6native12_GLOBAL__N_125multi_tensor_apply_kernelINS1_28TensorListScalarListMetadataIiLi4EEENS1_28PointwiseOpScalarListFunctorIiLi4ELi3ELi3EEEJSt7dividesIiEEEEvT_T0_DpT1_.numbered_sgpr, 27
	.set _ZN2at6native12_GLOBAL__N_125multi_tensor_apply_kernelINS1_28TensorListScalarListMetadataIiLi4EEENS1_28PointwiseOpScalarListFunctorIiLi4ELi3ELi3EEEJSt7dividesIiEEEEvT_T0_DpT1_.num_named_barrier, 0
	.set _ZN2at6native12_GLOBAL__N_125multi_tensor_apply_kernelINS1_28TensorListScalarListMetadataIiLi4EEENS1_28PointwiseOpScalarListFunctorIiLi4ELi3ELi3EEEJSt7dividesIiEEEEvT_T0_DpT1_.private_seg_size, 0
	.set _ZN2at6native12_GLOBAL__N_125multi_tensor_apply_kernelINS1_28TensorListScalarListMetadataIiLi4EEENS1_28PointwiseOpScalarListFunctorIiLi4ELi3ELi3EEEJSt7dividesIiEEEEvT_T0_DpT1_.uses_vcc, 1
	.set _ZN2at6native12_GLOBAL__N_125multi_tensor_apply_kernelINS1_28TensorListScalarListMetadataIiLi4EEENS1_28PointwiseOpScalarListFunctorIiLi4ELi3ELi3EEEJSt7dividesIiEEEEvT_T0_DpT1_.uses_flat_scratch, 0
	.set _ZN2at6native12_GLOBAL__N_125multi_tensor_apply_kernelINS1_28TensorListScalarListMetadataIiLi4EEENS1_28PointwiseOpScalarListFunctorIiLi4ELi3ELi3EEEJSt7dividesIiEEEEvT_T0_DpT1_.has_dyn_sized_stack, 0
	.set _ZN2at6native12_GLOBAL__N_125multi_tensor_apply_kernelINS1_28TensorListScalarListMetadataIiLi4EEENS1_28PointwiseOpScalarListFunctorIiLi4ELi3ELi3EEEJSt7dividesIiEEEEvT_T0_DpT1_.has_recursion, 0
	.set _ZN2at6native12_GLOBAL__N_125multi_tensor_apply_kernelINS1_28TensorListScalarListMetadataIiLi4EEENS1_28PointwiseOpScalarListFunctorIiLi4ELi3ELi3EEEJSt7dividesIiEEEEvT_T0_DpT1_.has_indirect_call, 0
	.section	.AMDGPU.csdata,"",@progbits
; Kernel info:
; codeLenInByte = 2884
; TotalNumSgprs: 29
; NumVgprs: 60
; ScratchSize: 0
; MemoryBound: 0
; FloatMode: 240
; IeeeMode: 1
; LDSByteSize: 0 bytes/workgroup (compile time only)
; SGPRBlocks: 0
; VGPRBlocks: 3
; NumSGPRsForWavesPerEU: 29
; NumVGPRsForWavesPerEU: 60
; NamedBarCnt: 0
; Occupancy: 16
; WaveLimiterHint : 0
; COMPUTE_PGM_RSRC2:SCRATCH_EN: 0
; COMPUTE_PGM_RSRC2:USER_SGPR: 2
; COMPUTE_PGM_RSRC2:TRAP_HANDLER: 0
; COMPUTE_PGM_RSRC2:TGID_X_EN: 1
; COMPUTE_PGM_RSRC2:TGID_Y_EN: 0
; COMPUTE_PGM_RSRC2:TGID_Z_EN: 0
; COMPUTE_PGM_RSRC2:TIDIG_COMP_CNT: 0
	.section	.text._ZN2at6native12_GLOBAL__N_125multi_tensor_apply_kernelINS1_28TensorListScalarListMetadataIlLi4EEENS1_28PointwiseOpScalarListFunctorIlLi4ELi3ELi3EEEJSt7dividesIlEEEEvT_T0_DpT1_,"axG",@progbits,_ZN2at6native12_GLOBAL__N_125multi_tensor_apply_kernelINS1_28TensorListScalarListMetadataIlLi4EEENS1_28PointwiseOpScalarListFunctorIlLi4ELi3ELi3EEEJSt7dividesIlEEEEvT_T0_DpT1_,comdat
	.globl	_ZN2at6native12_GLOBAL__N_125multi_tensor_apply_kernelINS1_28TensorListScalarListMetadataIlLi4EEENS1_28PointwiseOpScalarListFunctorIlLi4ELi3ELi3EEEJSt7dividesIlEEEEvT_T0_DpT1_ ; -- Begin function _ZN2at6native12_GLOBAL__N_125multi_tensor_apply_kernelINS1_28TensorListScalarListMetadataIlLi4EEENS1_28PointwiseOpScalarListFunctorIlLi4ELi3ELi3EEEJSt7dividesIlEEEEvT_T0_DpT1_
	.p2align	8
	.type	_ZN2at6native12_GLOBAL__N_125multi_tensor_apply_kernelINS1_28TensorListScalarListMetadataIlLi4EEENS1_28PointwiseOpScalarListFunctorIlLi4ELi3ELi3EEEJSt7dividesIlEEEEvT_T0_DpT1_,@function
_ZN2at6native12_GLOBAL__N_125multi_tensor_apply_kernelINS1_28TensorListScalarListMetadataIlLi4EEENS1_28PointwiseOpScalarListFunctorIlLi4ELi3ELi3EEEJSt7dividesIlEEEEvT_T0_DpT1_: ; @_ZN2at6native12_GLOBAL__N_125multi_tensor_apply_kernelINS1_28TensorListScalarListMetadataIlLi4EEENS1_28PointwiseOpScalarListFunctorIlLi4ELi3ELi3EEEJSt7dividesIlEEEEvT_T0_DpT1_
; %bb.0:
	s_bfe_u32 s2, ttmp6, 0x4000c
	s_and_b32 s3, ttmp6, 15
	s_add_co_i32 s2, s2, 1
	s_getreg_b32 s4, hwreg(HW_REG_IB_STS2, 6, 4)
	s_mul_i32 s2, ttmp9, s2
	s_mov_b32 s17, 0
	s_add_co_i32 s3, s3, s2
	s_cmp_eq_u32 s4, 0
	s_cselect_b32 s16, ttmp9, s3
	s_load_u8 s8, s[0:1], s16 offset:0x6c0
	s_add_nc_u64 s[2:3], s[0:1], s[16:17]
	s_mul_u64 s[4:5], s[16:17], 3
	s_delay_alu instid0(SALU_CYCLE_1)
	s_add_nc_u64 s[6:7], s[2:3], s[4:5]
	s_load_b32 s24, s[6:7], 0x800
	s_wait_kmcnt 0x0
	s_clause 0x5
	s_load_b64 s[2:3], s[0:1], s8 offset:0x0 scale_offset
	s_load_b64 s[18:19], s[0:1], s8 offset:0x120 scale_offset
	;; [unrolled: 1-line block ×6, first 2 shown]
	s_ashr_i32 s25, s24, 31
	s_delay_alu instid0(SALU_CYCLE_1)
	s_lshl_b64 s[14:15], s[24:25], 19
	s_wait_kmcnt 0x0
	s_add_nc_u64 s[8:9], s[18:19], s[14:15]
	s_add_nc_u64 s[6:7], s[2:3], s[14:15]
	s_and_b32 s16, s8, 31
	s_and_b64 s[28:29], s[6:7], 31
	s_add_nc_u64 s[10:11], s[20:21], s[14:15]
	s_cmp_eq_u64 s[16:17], 0
	s_add_nc_u64 s[12:13], s[22:23], s[14:15]
	s_cselect_b32 s30, -1, 0
	s_or_b32 s16, s12, s10
	s_delay_alu instid0(SALU_CYCLE_1) | instskip(NEXT) | instid1(SALU_CYCLE_1)
	s_and_b32 s16, s16, 31
	s_cmp_eq_u32 s16, 0
	s_cselect_b32 s31, -1, 0
	s_and_b32 s16, s26, 3
	s_and_b32 s30, s31, s30
	s_or_b64 s[16:17], s[28:29], s[16:17]
	s_lshl_b64 s[24:25], s[24:25], 16
	s_cmp_eq_u64 s[16:17], 0
	s_cselect_b32 s16, -1, 0
	s_delay_alu instid0(SALU_CYCLE_1)
	s_and_b32 s28, s30, s16
	s_sub_nc_u64 s[16:17], s[26:27], s[24:25]
	s_and_b32 vcc_lo, exec_lo, s28
	s_mov_b32 s24, -1
	s_cbranch_vccnz .LBB113_35
; %bb.1:
	v_cmp_lt_i64_e64 s24, s[16:17], 1
	s_and_b32 vcc_lo, exec_lo, s24
	s_cbranch_vccnz .LBB113_34
; %bb.2:
	s_load_b32 s24, s[0:1], 0xd14
	v_min_i64 v[2:3], 0x10000, s[16:17]
	v_min_u64 v[6:7], 0x10000, s[16:17]
	v_dual_mov_b32 v4, 0 :: v_dual_lshlrev_b32 v20, 3, v0
	s_mov_b32 s25, 0
	s_delay_alu instid0(SALU_CYCLE_1) | instskip(NEXT) | instid1(VALU_DEP_1)
	s_mov_b32 s31, s25
	v_dual_mov_b32 v21, v4 :: v_dual_mov_b32 v1, v4
	s_mov_b32 s35, s25
	s_mov_b32 s27, s25
	;; [unrolled: 1-line block ×3, first 2 shown]
	s_delay_alu instid0(VALU_DEP_1)
	v_add_nc_u64_e32 v[8:9], s[2:3], v[20:21]
	v_add_nc_u64_e32 v[10:11], s[18:19], v[20:21]
	;; [unrolled: 1-line block ×4, first 2 shown]
	s_wait_kmcnt 0x0
	s_and_b32 s24, s24, 0xffff
	s_delay_alu instid0(SALU_CYCLE_1)
	v_add_nc_u64_e32 v[16:17], s[24:25], v[0:1]
	v_mad_nc_u64_u32 v[30:31], s24, 24, v[20:21]
	s_lshl_b32 s30, s24, 4
	v_mov_b32_e32 v45, v4
	v_add_nc_u64_e32 v[36:37], s[30:31], v[20:21]
	s_lshl_b32 s34, s24, 3
	s_lshl_b32 s26, s24, 1
	v_lshlrev_b32_e32 v44, 3, v16
	s_mul_i32 s28, s24, 3
	s_add_nc_u64 s[30:31], s[22:23], s[34:35]
	v_add_nc_u64_e32 v[18:19], s[28:29], v[0:1]
	v_add_nc_u64_e32 v[20:21], s[30:31], v[20:21]
	;; [unrolled: 1-line block ×14, first 2 shown]
	s_lshl_b32 s18, s24, 2
	s_mov_b32 s19, s25
	s_lshl_b32 s20, s24, 5
	s_mov_b32 s21, s25
	s_mov_b64 s[22:23], 0
	s_branch .LBB113_4
.LBB113_3:                              ;   in Loop: Header=BB113_4 Depth=1
	s_or_b32 exec_lo, exec_lo, s2
	s_delay_alu instid0(VALU_DEP_1)
	v_mad_nc_u64_u32 v[46:47], v60, s4, v[46:47]
	v_mad_nc_u64_u32 v[52:53], v66, s4, v[52:53]
	;; [unrolled: 1-line block ×4, first 2 shown]
	s_add_nc_u64 s[22:23], s[22:23], s[18:19]
	v_add_nc_u64_e32 v[54:55], s[14:15], v[14:15]
	v_cmp_lt_i64_e32 vcc_lo, s[22:23], v[2:3]
	v_add_nc_u64_e32 v[56:57], s[14:15], v[20:21]
	v_add_nc_u64_e32 v[64:65], s[14:15], v[22:23]
	v_add_nc_u64_e32 v[68:69], s[14:15], v[24:25]
	v_add_nc_u64_e32 v[8:9], s[20:21], v[8:9]
	v_mad_u32 v5, v61, s4, v47
	v_mad_u32 v53, v67, s4, v53
	;; [unrolled: 1-line block ×4, first 2 shown]
	v_add_nc_u64_e32 v[10:11], s[20:21], v[10:11]
	v_add_nc_u64_e32 v[12:13], s[20:21], v[12:13]
	;; [unrolled: 1-line block ×7, first 2 shown]
	v_mad_u32 v47, v60, s5, v5
	v_mad_u32 v53, v66, s5, v53
	;; [unrolled: 1-line block ×4, first 2 shown]
	v_add_nc_u64_e32 v[28:29], s[20:21], v[28:29]
	v_add_nc_u64_e32 v[30:31], s[20:21], v[30:31]
	;; [unrolled: 1-line block ×8, first 2 shown]
	s_and_b32 vcc_lo, exec_lo, vcc_lo
	global_store_b64 v[54:55], v[46:47], off
	global_store_b64 v[56:57], v[48:49], off
	;; [unrolled: 1-line block ×4, first 2 shown]
	s_cbranch_vccz .LBB113_34
.LBB113_4:                              ; =>This Inner Loop Header: Depth=1
	s_wait_xcnt 0x3
	v_add_nc_u64_e32 v[46:47], s[22:23], v[0:1]
	s_wait_xcnt 0x2
	v_mov_b64_e32 v[56:57], 0
	v_mov_b64_e32 v[54:55], 0
	s_delay_alu instid0(VALU_DEP_3)
	v_cmp_lt_u64_e32 vcc_lo, v[46:47], v[6:7]
	v_mov_b64_e32 v[46:47], 0
	s_wait_xcnt 0x0
	s_and_saveexec_b32 s2, vcc_lo
	s_cbranch_execz .LBB113_6
; %bb.5:                                ;   in Loop: Header=BB113_4 Depth=1
	v_add_nc_u64_e32 v[48:49], s[14:15], v[8:9]
	v_add_nc_u64_e32 v[50:51], s[14:15], v[10:11]
	global_load_b64 v[46:47], v[48:49], off
	global_load_b64 v[54:55], v[50:51], off
.LBB113_6:                              ;   in Loop: Header=BB113_4 Depth=1
	s_wait_xcnt 0x0
	s_or_b32 exec_lo, exec_lo, s2
	s_and_saveexec_b32 s2, vcc_lo
	s_cbranch_execz .LBB113_8
; %bb.7:                                ;   in Loop: Header=BB113_4 Depth=1
	v_add_nc_u64_e32 v[48:49], s[14:15], v[12:13]
	global_load_b64 v[56:57], v[48:49], off
.LBB113_8:                              ;   in Loop: Header=BB113_4 Depth=1
	s_wait_xcnt 0x0
	s_or_b32 exec_lo, exec_lo, s2
	v_add_nc_u64_e32 v[48:49], s[22:23], v[16:17]
	v_mov_b64_e32 v[70:71], 0
	v_mov_b64_e32 v[62:63], 0
	s_delay_alu instid0(VALU_DEP_3)
	v_cmp_lt_u64_e32 vcc_lo, v[48:49], v[6:7]
	v_mov_b64_e32 v[48:49], 0
	s_and_saveexec_b32 s2, vcc_lo
	s_cbranch_execz .LBB113_10
; %bb.9:                                ;   in Loop: Header=BB113_4 Depth=1
	v_add_nc_u64_e32 v[50:51], s[14:15], v[40:41]
	v_add_nc_u64_e32 v[52:53], s[14:15], v[42:43]
	global_load_b64 v[48:49], v[50:51], off
	global_load_b64 v[62:63], v[52:53], off
.LBB113_10:                             ;   in Loop: Header=BB113_4 Depth=1
	s_wait_xcnt 0x0
	s_or_b32 exec_lo, exec_lo, s2
	s_and_saveexec_b32 s2, vcc_lo
	s_cbranch_execz .LBB113_12
; %bb.11:                               ;   in Loop: Header=BB113_4 Depth=1
	v_add_nc_u64_e32 v[50:51], s[14:15], v[44:45]
	global_load_b64 v[70:71], v[50:51], off
.LBB113_12:                             ;   in Loop: Header=BB113_4 Depth=1
	s_wait_xcnt 0x0
	s_or_b32 exec_lo, exec_lo, s2
	v_add_nc_u64_e32 v[50:51], s[22:23], v[38:39]
	v_mov_b64_e32 v[68:69], 0
	v_mov_b64_e32 v[66:67], 0
	s_delay_alu instid0(VALU_DEP_3)
	v_cmp_lt_u64_e32 vcc_lo, v[50:51], v[6:7]
	v_mov_b64_e32 v[50:51], 0
	s_and_saveexec_b32 s2, vcc_lo
	s_cbranch_execz .LBB113_14
; %bb.13:                               ;   in Loop: Header=BB113_4 Depth=1
	v_add_nc_u64_e32 v[52:53], s[14:15], v[32:33]
	v_add_nc_u64_e32 v[58:59], s[14:15], v[34:35]
	global_load_b64 v[50:51], v[52:53], off
	global_load_b64 v[66:67], v[58:59], off
.LBB113_14:                             ;   in Loop: Header=BB113_4 Depth=1
	s_wait_xcnt 0x0
	s_or_b32 exec_lo, exec_lo, s2
	s_and_saveexec_b32 s2, vcc_lo
	s_cbranch_execz .LBB113_16
; %bb.15:                               ;   in Loop: Header=BB113_4 Depth=1
	v_add_nc_u64_e32 v[52:53], s[14:15], v[36:37]
	global_load_b64 v[68:69], v[52:53], off
.LBB113_16:                             ;   in Loop: Header=BB113_4 Depth=1
	s_wait_xcnt 0x0
	s_or_b32 exec_lo, exec_lo, s2
	v_add_nc_u64_e32 v[52:53], s[22:23], v[18:19]
	v_mov_b64_e32 v[60:61], 0
	s_delay_alu instid0(VALU_DEP_2)
	v_cmp_lt_u64_e32 vcc_lo, v[52:53], v[6:7]
	v_mov_b64_e32 v[52:53], 0
	s_and_saveexec_b32 s2, vcc_lo
	s_cbranch_execz .LBB113_18
; %bb.17:                               ;   in Loop: Header=BB113_4 Depth=1
	v_add_nc_u64_e32 v[58:59], s[14:15], v[26:27]
	v_add_nc_u64_e32 v[64:65], s[14:15], v[28:29]
	global_load_b64 v[52:53], v[58:59], off
	global_load_b64 v[60:61], v[64:65], off
.LBB113_18:                             ;   in Loop: Header=BB113_4 Depth=1
	s_wait_xcnt 0x0
	s_or_b32 exec_lo, exec_lo, s2
	v_add_nc_u64_e32 v[58:59], s[14:15], v[30:31]
	s_wait_loadcnt 0x0
	v_or_b32_e32 v5, v63, v71
	s_mov_b32 s2, exec_lo
	global_load_b64 v[64:65], v[58:59], off
                                        ; implicit-def: $vgpr58_vgpr59
	s_wait_xcnt 0x0
	v_cmpx_ne_u64_e32 0, v[4:5]
	s_xor_b32 s3, exec_lo, s2
	s_cbranch_execz .LBB113_20
; %bb.19:                               ;   in Loop: Header=BB113_4 Depth=1
	v_dual_mov_b32 v73, v4 :: v_dual_ashrrev_i32 v58, 31, v71
	v_dual_mov_b32 v81, v4 :: v_dual_mov_b32 v83, v4
	s_delay_alu instid0(VALU_DEP_2) | instskip(NEXT) | instid1(VALU_DEP_1)
	v_mov_b32_e32 v59, v58
	v_add_nc_u64_e32 v[70:71], v[70:71], v[58:59]
	s_delay_alu instid0(VALU_DEP_1) | instskip(NEXT) | instid1(VALU_DEP_2)
	v_xor_b32_e32 v70, v70, v58
	v_xor_b32_e32 v71, v71, v58
	s_delay_alu instid0(VALU_DEP_2) | instskip(NEXT) | instid1(VALU_DEP_2)
	v_cvt_f32_u32_e32 v5, v70
	v_cvt_f32_u32_e32 v59, v71
	s_delay_alu instid0(VALU_DEP_1) | instskip(NEXT) | instid1(VALU_DEP_1)
	v_fmac_f32_e32 v5, 0x4f800000, v59
	v_rcp_f32_e32 v5, v5
	v_nop
	s_delay_alu instid0(TRANS32_DEP_1) | instskip(NEXT) | instid1(VALU_DEP_1)
	v_mul_f32_e32 v5, 0x5f7ffffc, v5
	v_mul_f32_e32 v59, 0x2f800000, v5
	s_delay_alu instid0(VALU_DEP_1) | instskip(NEXT) | instid1(VALU_DEP_1)
	v_trunc_f32_e32 v59, v59
	v_fmac_f32_e32 v5, 0xcf800000, v59
	v_cvt_u32_f32_e32 v77, v59
	s_delay_alu instid0(VALU_DEP_2) | instskip(NEXT) | instid1(VALU_DEP_1)
	v_cvt_u32_f32_e32 v72, v5
	v_dual_mov_b32 v82, v77 :: v_dual_mov_b32 v76, v72
	v_sub_nc_u64_e32 v[74:75], 0, v[70:71]
	s_delay_alu instid0(VALU_DEP_1) | instskip(NEXT) | instid1(VALU_DEP_1)
	v_mul_u64_e32 v[78:79], v[74:75], v[76:77]
	v_dual_mov_b32 v80, v79 :: v_dual_mov_b32 v79, v4
	s_delay_alu instid0(VALU_DEP_1) | instskip(NEXT) | instid1(VALU_DEP_2)
	v_mul_u64_e32 v[84:85], v[72:73], v[80:81]
	v_mul_u64_e32 v[86:87], v[82:83], v[78:79]
	;; [unrolled: 1-line block ×3, first 2 shown]
	v_mul_hi_u32 v78, v72, v78
	s_delay_alu instid0(VALU_DEP_1) | instskip(SKIP_1) | instid1(VALU_DEP_2)
	v_add_nc_u64_e32 v[78:79], v[78:79], v[84:85]
	v_ashrrev_i32_e32 v84, 31, v63
	v_add_co_u32 v5, vcc_lo, v78, v86
	s_delay_alu instid0(VALU_DEP_3) | instskip(SKIP_1) | instid1(VALU_DEP_1)
	v_add_co_ci_u32_e32 v82, vcc_lo, v79, v87, vcc_lo
	v_add_co_ci_u32_e32 v81, vcc_lo, 0, v81, vcc_lo
	v_add_nc_u64_e32 v[78:79], v[82:83], v[80:81]
	s_delay_alu instid0(VALU_DEP_1) | instskip(NEXT) | instid1(VALU_DEP_1)
	v_add_co_u32 v72, vcc_lo, v72, v78
	v_add_co_ci_u32_e64 v76, null, v77, v79, vcc_lo
	v_dual_mov_b32 v79, v4 :: v_dual_mov_b32 v77, v4
	s_delay_alu instid0(VALU_DEP_2) | instskip(NEXT) | instid1(VALU_DEP_1)
	v_mov_b32_e32 v73, v76
	v_mul_u64_e32 v[74:75], v[74:75], v[72:73]
	s_delay_alu instid0(VALU_DEP_1) | instskip(NEXT) | instid1(VALU_DEP_2)
	v_dual_mov_b32 v73, v4 :: v_dual_mov_b32 v78, v75
	v_dual_mov_b32 v82, v74 :: v_dual_mov_b32 v75, v4
	v_mul_hi_u32 v74, v72, v74
	s_delay_alu instid0(VALU_DEP_3) | instskip(NEXT) | instid1(VALU_DEP_3)
	v_mul_u64_e32 v[80:81], v[72:73], v[78:79]
	v_mul_u64_e32 v[82:83], v[76:77], v[82:83]
	;; [unrolled: 1-line block ×3, first 2 shown]
	s_delay_alu instid0(VALU_DEP_3) | instskip(SKIP_2) | instid1(VALU_DEP_3)
	v_add_nc_u64_e32 v[74:75], v[74:75], v[80:81]
	v_dual_mov_b32 v81, v4 :: v_dual_mov_b32 v85, v84
	v_xor_b32_e32 v58, v84, v58
	v_add_co_u32 v5, vcc_lo, v74, v82
	s_delay_alu instid0(VALU_DEP_4) | instskip(SKIP_1) | instid1(VALU_DEP_1)
	v_add_co_ci_u32_e32 v80, vcc_lo, v75, v83, vcc_lo
	v_add_co_ci_u32_e32 v79, vcc_lo, 0, v79, vcc_lo
	v_add_nc_u64_e32 v[74:75], v[80:81], v[78:79]
	v_mov_b32_e32 v79, v4
	v_add_nc_u64_e32 v[62:63], v[62:63], v[84:85]
	s_delay_alu instid0(VALU_DEP_3) | instskip(NEXT) | instid1(VALU_DEP_2)
	v_add_co_u32 v74, vcc_lo, v72, v74
	v_xor_b32_e32 v78, v62, v84
	v_add_co_ci_u32_e64 v72, null, v76, v75, vcc_lo
	s_delay_alu instid0(VALU_DEP_4) | instskip(NEXT) | instid1(VALU_DEP_2)
	v_dual_mov_b32 v75, v4 :: v_dual_bitop2_b32 v76, v63, v84 bitop3:0x14
	v_mul_u64_e32 v[80:81], v[78:79], v[72:73]
	s_delay_alu instid0(VALU_DEP_2) | instskip(SKIP_1) | instid1(VALU_DEP_1)
	v_mul_u64_e32 v[62:63], v[76:77], v[74:75]
	v_mul_hi_u32 v74, v78, v74
	v_add_nc_u64_e32 v[74:75], v[74:75], v[80:81]
	v_mov_b32_e32 v81, v4
	v_mul_u64_e32 v[72:73], v[76:77], v[72:73]
	s_delay_alu instid0(VALU_DEP_3) | instskip(NEXT) | instid1(VALU_DEP_4)
	v_add_co_u32 v5, vcc_lo, v74, v62
	v_add_co_ci_u32_e32 v80, vcc_lo, v75, v63, vcc_lo
	s_delay_alu instid0(VALU_DEP_3) | instskip(NEXT) | instid1(VALU_DEP_1)
	v_add_co_ci_u32_e32 v73, vcc_lo, 0, v73, vcc_lo
	v_add_nc_u64_e32 v[62:63], v[80:81], v[72:73]
	s_delay_alu instid0(VALU_DEP_1) | instskip(SKIP_1) | instid1(VALU_DEP_2)
	v_mul_u64_e32 v[72:73], v[70:71], v[62:63]
	v_add_nc_u64_e32 v[74:75], 1, v[62:63]
	v_sub_nc_u32_e32 v5, v76, v73
	s_delay_alu instid0(VALU_DEP_3) | instskip(NEXT) | instid1(VALU_DEP_1)
	v_sub_co_u32 v59, vcc_lo, v78, v72
	v_sub_co_ci_u32_e64 v76, null, v76, v73, vcc_lo
	s_delay_alu instid0(VALU_DEP_3) | instskip(NEXT) | instid1(VALU_DEP_3)
	v_sub_co_ci_u32_e64 v5, null, v5, v71, vcc_lo
	v_sub_co_u32 v72, s2, v59, v70
	s_delay_alu instid0(VALU_DEP_1) | instskip(NEXT) | instid1(VALU_DEP_2)
	v_subrev_co_ci_u32_e64 v5, null, 0, v5, s2
	v_cmp_ge_u32_e32 vcc_lo, v72, v70
	v_cndmask_b32_e64 v72, 0, -1, vcc_lo
	s_delay_alu instid0(VALU_DEP_3)
	v_cmp_ge_u32_e32 vcc_lo, v5, v71
	v_cndmask_b32_e64 v73, 0, -1, vcc_lo
	v_cmp_ge_u32_e32 vcc_lo, v59, v70
	v_cndmask_b32_e64 v59, 0, -1, vcc_lo
	;; [unrolled: 2-line block ×3, first 2 shown]
	v_cmp_eq_u32_e32 vcc_lo, v5, v71
	v_cndmask_b32_e32 v5, v73, v72, vcc_lo
	v_cmp_eq_u32_e32 vcc_lo, v76, v71
	v_add_nc_u64_e32 v[72:73], 2, v[62:63]
	v_cndmask_b32_e32 v59, v70, v59, vcc_lo
	s_delay_alu instid0(VALU_DEP_4) | instskip(NEXT) | instid1(VALU_DEP_2)
	v_cmp_ne_u32_e32 vcc_lo, 0, v5
                                        ; implicit-def: $vgpr70_vgpr71
	v_cmp_ne_u32_e64 s2, 0, v59
	s_delay_alu instid0(VALU_DEP_4) | instskip(NEXT) | instid1(VALU_DEP_1)
	v_dual_cndmask_b32 v5, v75, v73, vcc_lo :: v_dual_cndmask_b32 v59, v74, v72, vcc_lo
	v_dual_cndmask_b32 v5, v63, v5, s2 :: v_dual_cndmask_b32 v62, v62, v59, s2
	s_delay_alu instid0(VALU_DEP_1) | instskip(NEXT) | instid1(VALU_DEP_2)
	v_dual_mov_b32 v59, v58 :: v_dual_bitop2_b32 v63, v5, v58 bitop3:0x14
	v_xor_b32_e32 v62, v62, v58
	s_delay_alu instid0(VALU_DEP_1)
	v_sub_nc_u64_e32 v[58:59], v[62:63], v[58:59]
                                        ; implicit-def: $vgpr62_vgpr63
.LBB113_20:                             ;   in Loop: Header=BB113_4 Depth=1
	s_and_not1_saveexec_b32 s2, s3
	s_cbranch_execz .LBB113_22
; %bb.21:                               ;   in Loop: Header=BB113_4 Depth=1
	v_cvt_f32_u32_e32 v5, v70
	v_sub_nc_u32_e32 v58, 0, v70
	s_delay_alu instid0(VALU_DEP_2) | instskip(SKIP_1) | instid1(TRANS32_DEP_1)
	v_rcp_iflag_f32_e32 v5, v5
	v_nop
	v_mul_f32_e32 v5, 0x4f7ffffe, v5
	s_delay_alu instid0(VALU_DEP_1) | instskip(NEXT) | instid1(VALU_DEP_1)
	v_cvt_u32_f32_e32 v5, v5
	v_mul_lo_u32 v58, v58, v5
	s_delay_alu instid0(VALU_DEP_1) | instskip(NEXT) | instid1(VALU_DEP_1)
	v_mul_hi_u32 v58, v5, v58
	v_add_nc_u32_e32 v5, v5, v58
	s_delay_alu instid0(VALU_DEP_1) | instskip(NEXT) | instid1(VALU_DEP_1)
	v_mul_hi_u32 v5, v62, v5
	v_mul_lo_u32 v58, v5, v70
	s_delay_alu instid0(VALU_DEP_1) | instskip(NEXT) | instid1(VALU_DEP_1)
	v_dual_sub_nc_u32 v58, v62, v58 :: v_dual_add_nc_u32 v59, 1, v5
	v_sub_nc_u32_e32 v62, v58, v70
	v_cmp_ge_u32_e32 vcc_lo, v58, v70
	s_delay_alu instid0(VALU_DEP_2) | instskip(NEXT) | instid1(VALU_DEP_1)
	v_dual_cndmask_b32 v58, v58, v62 :: v_dual_cndmask_b32 v5, v5, v59
	v_cmp_ge_u32_e32 vcc_lo, v58, v70
	s_delay_alu instid0(VALU_DEP_2) | instskip(NEXT) | instid1(VALU_DEP_1)
	v_add_nc_u32_e32 v59, 1, v5
	v_dual_cndmask_b32 v58, v5, v59 :: v_dual_mov_b32 v59, v4
.LBB113_22:                             ;   in Loop: Header=BB113_4 Depth=1
	s_or_b32 exec_lo, exec_lo, s2
	v_or_b32_e32 v5, v67, v69
                                        ; implicit-def: $vgpr62_vgpr63
	s_mov_b32 s2, exec_lo
	s_delay_alu instid0(VALU_DEP_1)
	v_cmpx_ne_u64_e32 0, v[4:5]
	s_xor_b32 s3, exec_lo, s2
	s_cbranch_execz .LBB113_24
; %bb.23:                               ;   in Loop: Header=BB113_4 Depth=1
	v_dual_mov_b32 v71, v4 :: v_dual_ashrrev_i32 v62, 31, v69
	v_dual_mov_b32 v79, v4 :: v_dual_mov_b32 v81, v4
	s_delay_alu instid0(VALU_DEP_2) | instskip(NEXT) | instid1(VALU_DEP_1)
	v_mov_b32_e32 v63, v62
	v_add_nc_u64_e32 v[68:69], v[68:69], v[62:63]
	s_delay_alu instid0(VALU_DEP_1) | instskip(NEXT) | instid1(VALU_DEP_2)
	v_xor_b32_e32 v68, v68, v62
	v_xor_b32_e32 v69, v69, v62
	s_delay_alu instid0(VALU_DEP_2) | instskip(NEXT) | instid1(VALU_DEP_2)
	v_cvt_f32_u32_e32 v5, v68
	v_cvt_f32_u32_e32 v63, v69
	s_delay_alu instid0(VALU_DEP_1) | instskip(NEXT) | instid1(VALU_DEP_1)
	v_fmac_f32_e32 v5, 0x4f800000, v63
	v_rcp_f32_e32 v5, v5
	v_nop
	s_delay_alu instid0(TRANS32_DEP_1) | instskip(NEXT) | instid1(VALU_DEP_1)
	v_mul_f32_e32 v5, 0x5f7ffffc, v5
	v_mul_f32_e32 v63, 0x2f800000, v5
	s_delay_alu instid0(VALU_DEP_1) | instskip(NEXT) | instid1(VALU_DEP_1)
	v_trunc_f32_e32 v63, v63
	v_fmac_f32_e32 v5, 0xcf800000, v63
	v_cvt_u32_f32_e32 v75, v63
	s_delay_alu instid0(VALU_DEP_2) | instskip(NEXT) | instid1(VALU_DEP_1)
	v_cvt_u32_f32_e32 v70, v5
	v_dual_mov_b32 v80, v75 :: v_dual_mov_b32 v74, v70
	v_sub_nc_u64_e32 v[72:73], 0, v[68:69]
	s_delay_alu instid0(VALU_DEP_1) | instskip(NEXT) | instid1(VALU_DEP_1)
	v_mul_u64_e32 v[76:77], v[72:73], v[74:75]
	v_dual_mov_b32 v78, v77 :: v_dual_mov_b32 v77, v4
	s_delay_alu instid0(VALU_DEP_1) | instskip(NEXT) | instid1(VALU_DEP_2)
	v_mul_u64_e32 v[82:83], v[70:71], v[78:79]
	v_mul_u64_e32 v[84:85], v[80:81], v[76:77]
	;; [unrolled: 1-line block ×3, first 2 shown]
	v_mul_hi_u32 v76, v70, v76
	s_delay_alu instid0(VALU_DEP_1) | instskip(SKIP_1) | instid1(VALU_DEP_2)
	v_add_nc_u64_e32 v[76:77], v[76:77], v[82:83]
	v_ashrrev_i32_e32 v82, 31, v67
	v_add_co_u32 v5, vcc_lo, v76, v84
	s_delay_alu instid0(VALU_DEP_3) | instskip(SKIP_1) | instid1(VALU_DEP_1)
	v_add_co_ci_u32_e32 v80, vcc_lo, v77, v85, vcc_lo
	v_add_co_ci_u32_e32 v79, vcc_lo, 0, v79, vcc_lo
	v_add_nc_u64_e32 v[76:77], v[80:81], v[78:79]
	s_delay_alu instid0(VALU_DEP_1) | instskip(NEXT) | instid1(VALU_DEP_1)
	v_add_co_u32 v70, vcc_lo, v70, v76
	v_add_co_ci_u32_e64 v74, null, v75, v77, vcc_lo
	v_dual_mov_b32 v77, v4 :: v_dual_mov_b32 v75, v4
	s_delay_alu instid0(VALU_DEP_2) | instskip(NEXT) | instid1(VALU_DEP_1)
	v_mov_b32_e32 v71, v74
	v_mul_u64_e32 v[72:73], v[72:73], v[70:71]
	s_delay_alu instid0(VALU_DEP_1) | instskip(NEXT) | instid1(VALU_DEP_2)
	v_dual_mov_b32 v71, v4 :: v_dual_mov_b32 v76, v73
	v_dual_mov_b32 v80, v72 :: v_dual_mov_b32 v73, v4
	v_mul_hi_u32 v72, v70, v72
	s_delay_alu instid0(VALU_DEP_3) | instskip(NEXT) | instid1(VALU_DEP_3)
	v_mul_u64_e32 v[78:79], v[70:71], v[76:77]
	v_mul_u64_e32 v[80:81], v[74:75], v[80:81]
	;; [unrolled: 1-line block ×3, first 2 shown]
	s_delay_alu instid0(VALU_DEP_3) | instskip(SKIP_2) | instid1(VALU_DEP_3)
	v_add_nc_u64_e32 v[72:73], v[72:73], v[78:79]
	v_dual_mov_b32 v79, v4 :: v_dual_mov_b32 v83, v82
	v_xor_b32_e32 v62, v82, v62
	v_add_co_u32 v5, vcc_lo, v72, v80
	s_delay_alu instid0(VALU_DEP_4) | instskip(SKIP_1) | instid1(VALU_DEP_1)
	v_add_co_ci_u32_e32 v78, vcc_lo, v73, v81, vcc_lo
	v_add_co_ci_u32_e32 v77, vcc_lo, 0, v77, vcc_lo
	v_add_nc_u64_e32 v[72:73], v[78:79], v[76:77]
	v_mov_b32_e32 v77, v4
	v_add_nc_u64_e32 v[66:67], v[66:67], v[82:83]
	s_delay_alu instid0(VALU_DEP_3) | instskip(NEXT) | instid1(VALU_DEP_2)
	v_add_co_u32 v72, vcc_lo, v70, v72
	v_xor_b32_e32 v76, v66, v82
	v_add_co_ci_u32_e64 v70, null, v74, v73, vcc_lo
	s_delay_alu instid0(VALU_DEP_4) | instskip(NEXT) | instid1(VALU_DEP_2)
	v_dual_mov_b32 v73, v4 :: v_dual_bitop2_b32 v74, v67, v82 bitop3:0x14
	v_mul_u64_e32 v[78:79], v[76:77], v[70:71]
	s_delay_alu instid0(VALU_DEP_2) | instskip(SKIP_1) | instid1(VALU_DEP_1)
	v_mul_u64_e32 v[66:67], v[74:75], v[72:73]
	v_mul_hi_u32 v72, v76, v72
	v_add_nc_u64_e32 v[72:73], v[72:73], v[78:79]
	v_mov_b32_e32 v79, v4
	v_mul_u64_e32 v[70:71], v[74:75], v[70:71]
	s_delay_alu instid0(VALU_DEP_3) | instskip(NEXT) | instid1(VALU_DEP_4)
	v_add_co_u32 v5, vcc_lo, v72, v66
	v_add_co_ci_u32_e32 v78, vcc_lo, v73, v67, vcc_lo
	s_delay_alu instid0(VALU_DEP_3) | instskip(NEXT) | instid1(VALU_DEP_1)
	v_add_co_ci_u32_e32 v71, vcc_lo, 0, v71, vcc_lo
	v_add_nc_u64_e32 v[66:67], v[78:79], v[70:71]
	s_delay_alu instid0(VALU_DEP_1) | instskip(SKIP_1) | instid1(VALU_DEP_2)
	v_mul_u64_e32 v[70:71], v[68:69], v[66:67]
	v_add_nc_u64_e32 v[72:73], 1, v[66:67]
	v_sub_nc_u32_e32 v5, v74, v71
	s_delay_alu instid0(VALU_DEP_3) | instskip(NEXT) | instid1(VALU_DEP_1)
	v_sub_co_u32 v63, vcc_lo, v76, v70
	v_sub_co_ci_u32_e64 v74, null, v74, v71, vcc_lo
	s_delay_alu instid0(VALU_DEP_3) | instskip(NEXT) | instid1(VALU_DEP_3)
	v_sub_co_ci_u32_e64 v5, null, v5, v69, vcc_lo
	v_sub_co_u32 v70, s2, v63, v68
	s_delay_alu instid0(VALU_DEP_1) | instskip(NEXT) | instid1(VALU_DEP_2)
	v_subrev_co_ci_u32_e64 v5, null, 0, v5, s2
	v_cmp_ge_u32_e32 vcc_lo, v70, v68
	v_cndmask_b32_e64 v70, 0, -1, vcc_lo
	s_delay_alu instid0(VALU_DEP_3)
	v_cmp_ge_u32_e32 vcc_lo, v5, v69
	v_cndmask_b32_e64 v71, 0, -1, vcc_lo
	v_cmp_ge_u32_e32 vcc_lo, v63, v68
	v_cndmask_b32_e64 v63, 0, -1, vcc_lo
	;; [unrolled: 2-line block ×3, first 2 shown]
	v_cmp_eq_u32_e32 vcc_lo, v5, v69
	v_cndmask_b32_e32 v5, v71, v70, vcc_lo
	v_cmp_eq_u32_e32 vcc_lo, v74, v69
	v_add_nc_u64_e32 v[70:71], 2, v[66:67]
	v_cndmask_b32_e32 v63, v68, v63, vcc_lo
	s_delay_alu instid0(VALU_DEP_4) | instskip(NEXT) | instid1(VALU_DEP_2)
	v_cmp_ne_u32_e32 vcc_lo, 0, v5
                                        ; implicit-def: $vgpr68_vgpr69
	v_cmp_ne_u32_e64 s2, 0, v63
	s_delay_alu instid0(VALU_DEP_4) | instskip(NEXT) | instid1(VALU_DEP_1)
	v_dual_cndmask_b32 v5, v73, v71, vcc_lo :: v_dual_cndmask_b32 v63, v72, v70, vcc_lo
	v_dual_cndmask_b32 v5, v67, v5, s2 :: v_dual_cndmask_b32 v66, v66, v63, s2
	s_delay_alu instid0(VALU_DEP_1) | instskip(NEXT) | instid1(VALU_DEP_2)
	v_dual_mov_b32 v63, v62 :: v_dual_bitop2_b32 v67, v5, v62 bitop3:0x14
	v_xor_b32_e32 v66, v66, v62
	s_delay_alu instid0(VALU_DEP_1)
	v_sub_nc_u64_e32 v[62:63], v[66:67], v[62:63]
                                        ; implicit-def: $vgpr66_vgpr67
.LBB113_24:                             ;   in Loop: Header=BB113_4 Depth=1
	s_and_not1_saveexec_b32 s2, s3
	s_cbranch_execz .LBB113_26
; %bb.25:                               ;   in Loop: Header=BB113_4 Depth=1
	v_cvt_f32_u32_e32 v5, v68
	v_sub_nc_u32_e32 v62, 0, v68
	s_delay_alu instid0(VALU_DEP_2) | instskip(SKIP_1) | instid1(TRANS32_DEP_1)
	v_rcp_iflag_f32_e32 v5, v5
	v_nop
	v_mul_f32_e32 v5, 0x4f7ffffe, v5
	s_delay_alu instid0(VALU_DEP_1) | instskip(NEXT) | instid1(VALU_DEP_1)
	v_cvt_u32_f32_e32 v5, v5
	v_mul_lo_u32 v62, v62, v5
	s_delay_alu instid0(VALU_DEP_1) | instskip(NEXT) | instid1(VALU_DEP_1)
	v_mul_hi_u32 v62, v5, v62
	v_add_nc_u32_e32 v5, v5, v62
	s_delay_alu instid0(VALU_DEP_1) | instskip(NEXT) | instid1(VALU_DEP_1)
	v_mul_hi_u32 v5, v66, v5
	v_mul_lo_u32 v62, v5, v68
	s_delay_alu instid0(VALU_DEP_1) | instskip(NEXT) | instid1(VALU_DEP_1)
	v_dual_sub_nc_u32 v62, v66, v62 :: v_dual_add_nc_u32 v63, 1, v5
	v_sub_nc_u32_e32 v66, v62, v68
	v_cmp_ge_u32_e32 vcc_lo, v62, v68
	s_delay_alu instid0(VALU_DEP_2) | instskip(NEXT) | instid1(VALU_DEP_1)
	v_dual_cndmask_b32 v62, v62, v66 :: v_dual_cndmask_b32 v5, v5, v63
	v_cmp_ge_u32_e32 vcc_lo, v62, v68
	s_delay_alu instid0(VALU_DEP_2) | instskip(NEXT) | instid1(VALU_DEP_1)
	v_add_nc_u32_e32 v63, 1, v5
	v_dual_cndmask_b32 v62, v5, v63 :: v_dual_mov_b32 v63, v4
.LBB113_26:                             ;   in Loop: Header=BB113_4 Depth=1
	s_or_b32 exec_lo, exec_lo, s2
	s_wait_loadcnt 0x0
	v_or_b32_e32 v5, v61, v65
                                        ; implicit-def: $vgpr66_vgpr67
	s_mov_b32 s2, exec_lo
	s_delay_alu instid0(VALU_DEP_1)
	v_cmpx_ne_u64_e32 0, v[4:5]
	s_xor_b32 s3, exec_lo, s2
	s_cbranch_execz .LBB113_28
; %bb.27:                               ;   in Loop: Header=BB113_4 Depth=1
	v_dual_mov_b32 v69, v4 :: v_dual_ashrrev_i32 v66, 31, v65
	v_dual_mov_b32 v77, v4 :: v_dual_mov_b32 v79, v4
	s_delay_alu instid0(VALU_DEP_2) | instskip(NEXT) | instid1(VALU_DEP_1)
	v_mov_b32_e32 v67, v66
	v_add_nc_u64_e32 v[64:65], v[64:65], v[66:67]
	s_delay_alu instid0(VALU_DEP_1) | instskip(NEXT) | instid1(VALU_DEP_2)
	v_xor_b32_e32 v64, v64, v66
	v_xor_b32_e32 v65, v65, v66
	s_delay_alu instid0(VALU_DEP_2) | instskip(NEXT) | instid1(VALU_DEP_2)
	v_cvt_f32_u32_e32 v5, v64
	v_cvt_f32_u32_e32 v67, v65
	s_delay_alu instid0(VALU_DEP_1) | instskip(NEXT) | instid1(VALU_DEP_1)
	v_fmac_f32_e32 v5, 0x4f800000, v67
	v_rcp_f32_e32 v5, v5
	v_nop
	s_delay_alu instid0(TRANS32_DEP_1) | instskip(NEXT) | instid1(VALU_DEP_1)
	v_mul_f32_e32 v5, 0x5f7ffffc, v5
	v_mul_f32_e32 v67, 0x2f800000, v5
	s_delay_alu instid0(VALU_DEP_1) | instskip(NEXT) | instid1(VALU_DEP_1)
	v_trunc_f32_e32 v67, v67
	v_fmac_f32_e32 v5, 0xcf800000, v67
	v_cvt_u32_f32_e32 v73, v67
	s_delay_alu instid0(VALU_DEP_2) | instskip(NEXT) | instid1(VALU_DEP_1)
	v_cvt_u32_f32_e32 v68, v5
	v_dual_mov_b32 v78, v73 :: v_dual_mov_b32 v72, v68
	v_sub_nc_u64_e32 v[70:71], 0, v[64:65]
	s_delay_alu instid0(VALU_DEP_1) | instskip(NEXT) | instid1(VALU_DEP_1)
	v_mul_u64_e32 v[74:75], v[70:71], v[72:73]
	v_dual_mov_b32 v76, v75 :: v_dual_mov_b32 v75, v4
	s_delay_alu instid0(VALU_DEP_1) | instskip(NEXT) | instid1(VALU_DEP_2)
	v_mul_u64_e32 v[80:81], v[68:69], v[76:77]
	v_mul_u64_e32 v[82:83], v[78:79], v[74:75]
	;; [unrolled: 1-line block ×3, first 2 shown]
	v_mul_hi_u32 v74, v68, v74
	s_delay_alu instid0(VALU_DEP_1) | instskip(SKIP_1) | instid1(VALU_DEP_2)
	v_add_nc_u64_e32 v[74:75], v[74:75], v[80:81]
	v_ashrrev_i32_e32 v80, 31, v61
	v_add_co_u32 v5, vcc_lo, v74, v82
	s_delay_alu instid0(VALU_DEP_3) | instskip(SKIP_1) | instid1(VALU_DEP_1)
	v_add_co_ci_u32_e32 v78, vcc_lo, v75, v83, vcc_lo
	v_add_co_ci_u32_e32 v77, vcc_lo, 0, v77, vcc_lo
	v_add_nc_u64_e32 v[74:75], v[78:79], v[76:77]
	s_delay_alu instid0(VALU_DEP_1) | instskip(NEXT) | instid1(VALU_DEP_1)
	v_add_co_u32 v68, vcc_lo, v68, v74
	v_add_co_ci_u32_e64 v72, null, v73, v75, vcc_lo
	v_dual_mov_b32 v75, v4 :: v_dual_mov_b32 v73, v4
	s_delay_alu instid0(VALU_DEP_2) | instskip(NEXT) | instid1(VALU_DEP_1)
	v_mov_b32_e32 v69, v72
	v_mul_u64_e32 v[70:71], v[70:71], v[68:69]
	s_delay_alu instid0(VALU_DEP_1) | instskip(NEXT) | instid1(VALU_DEP_2)
	v_dual_mov_b32 v69, v4 :: v_dual_mov_b32 v74, v71
	v_dual_mov_b32 v78, v70 :: v_dual_mov_b32 v71, v4
	v_mul_hi_u32 v70, v68, v70
	s_delay_alu instid0(VALU_DEP_3) | instskip(NEXT) | instid1(VALU_DEP_3)
	v_mul_u64_e32 v[76:77], v[68:69], v[74:75]
	v_mul_u64_e32 v[78:79], v[72:73], v[78:79]
	v_mul_u64_e32 v[74:75], v[72:73], v[74:75]
	s_delay_alu instid0(VALU_DEP_3) | instskip(SKIP_1) | instid1(VALU_DEP_2)
	v_add_nc_u64_e32 v[70:71], v[70:71], v[76:77]
	v_dual_mov_b32 v77, v4 :: v_dual_mov_b32 v81, v80
	v_add_co_u32 v5, vcc_lo, v70, v78
	s_delay_alu instid0(VALU_DEP_3) | instskip(SKIP_1) | instid1(VALU_DEP_1)
	v_add_co_ci_u32_e32 v76, vcc_lo, v71, v79, vcc_lo
	v_add_co_ci_u32_e32 v75, vcc_lo, 0, v75, vcc_lo
	v_add_nc_u64_e32 v[70:71], v[76:77], v[74:75]
	v_mov_b32_e32 v75, v4
	v_add_nc_u64_e32 v[60:61], v[60:61], v[80:81]
	s_delay_alu instid0(VALU_DEP_3) | instskip(NEXT) | instid1(VALU_DEP_2)
	v_add_co_u32 v70, vcc_lo, v68, v70
	v_xor_b32_e32 v74, v60, v80
	v_add_co_ci_u32_e64 v68, null, v72, v71, vcc_lo
	s_delay_alu instid0(VALU_DEP_4) | instskip(NEXT) | instid1(VALU_DEP_2)
	v_dual_mov_b32 v71, v4 :: v_dual_bitop2_b32 v72, v61, v80 bitop3:0x14
	v_mul_u64_e32 v[76:77], v[74:75], v[68:69]
	s_delay_alu instid0(VALU_DEP_2) | instskip(SKIP_2) | instid1(VALU_DEP_1)
	v_mul_u64_e32 v[60:61], v[72:73], v[70:71]
	v_mul_u64_e32 v[68:69], v[72:73], v[68:69]
	v_mul_hi_u32 v70, v74, v70
	v_add_nc_u64_e32 v[70:71], v[70:71], v[76:77]
	v_mov_b32_e32 v77, v4
	s_delay_alu instid0(VALU_DEP_2) | instskip(NEXT) | instid1(VALU_DEP_3)
	v_add_co_u32 v5, vcc_lo, v70, v60
	v_add_co_ci_u32_e32 v76, vcc_lo, v71, v61, vcc_lo
	v_add_co_ci_u32_e32 v69, vcc_lo, 0, v69, vcc_lo
	s_delay_alu instid0(VALU_DEP_1) | instskip(NEXT) | instid1(VALU_DEP_1)
	v_add_nc_u64_e32 v[60:61], v[76:77], v[68:69]
	v_mul_u64_e32 v[68:69], v[64:65], v[60:61]
	v_add_nc_u64_e32 v[70:71], 1, v[60:61]
	s_delay_alu instid0(VALU_DEP_2) | instskip(NEXT) | instid1(VALU_DEP_3)
	v_sub_nc_u32_e32 v5, v72, v69
	v_sub_co_u32 v67, vcc_lo, v74, v68
	s_delay_alu instid0(VALU_DEP_1) | instskip(NEXT) | instid1(VALU_DEP_3)
	v_sub_co_ci_u32_e64 v72, null, v72, v69, vcc_lo
	v_sub_co_ci_u32_e64 v5, null, v5, v65, vcc_lo
	s_delay_alu instid0(VALU_DEP_3) | instskip(NEXT) | instid1(VALU_DEP_1)
	v_sub_co_u32 v68, s2, v67, v64
	v_subrev_co_ci_u32_e64 v5, null, 0, v5, s2
	s_delay_alu instid0(VALU_DEP_2) | instskip(SKIP_1) | instid1(VALU_DEP_3)
	v_cmp_ge_u32_e32 vcc_lo, v68, v64
	v_cndmask_b32_e64 v68, 0, -1, vcc_lo
	v_cmp_ge_u32_e32 vcc_lo, v5, v65
	v_cndmask_b32_e64 v69, 0, -1, vcc_lo
	v_cmp_ge_u32_e32 vcc_lo, v67, v64
	v_cndmask_b32_e64 v64, 0, -1, vcc_lo
	v_cmp_ge_u32_e32 vcc_lo, v72, v65
	v_cndmask_b32_e64 v67, 0, -1, vcc_lo
	v_cmp_eq_u32_e32 vcc_lo, v5, v65
	v_cndmask_b32_e32 v5, v69, v68, vcc_lo
	v_cmp_eq_u32_e32 vcc_lo, v72, v65
	v_add_nc_u64_e32 v[68:69], 2, v[60:61]
	v_cndmask_b32_e32 v64, v67, v64, vcc_lo
	s_delay_alu instid0(VALU_DEP_4) | instskip(NEXT) | instid1(VALU_DEP_2)
	v_cmp_ne_u32_e32 vcc_lo, 0, v5
	v_cmp_ne_u32_e64 s2, 0, v64
	s_delay_alu instid0(VALU_DEP_4) | instskip(NEXT) | instid1(VALU_DEP_1)
	v_dual_cndmask_b32 v5, v71, v69, vcc_lo :: v_dual_cndmask_b32 v65, v70, v68, vcc_lo
	v_dual_cndmask_b32 v5, v61, v5, s2 :: v_dual_bitop2_b32 v64, v80, v66 bitop3:0x14
	s_delay_alu instid0(VALU_DEP_2) | instskip(NEXT) | instid1(VALU_DEP_2)
	v_cndmask_b32_e64 v60, v60, v65, s2
	v_dual_mov_b32 v65, v64 :: v_dual_bitop2_b32 v61, v5, v64 bitop3:0x14
	s_delay_alu instid0(VALU_DEP_2) | instskip(NEXT) | instid1(VALU_DEP_1)
	v_xor_b32_e32 v60, v60, v64
	v_sub_nc_u64_e32 v[66:67], v[60:61], v[64:65]
                                        ; implicit-def: $vgpr64_vgpr65
                                        ; implicit-def: $vgpr60_vgpr61
.LBB113_28:                             ;   in Loop: Header=BB113_4 Depth=1
	s_and_not1_saveexec_b32 s2, s3
	s_cbranch_execz .LBB113_30
; %bb.29:                               ;   in Loop: Header=BB113_4 Depth=1
	v_cvt_f32_u32_e32 v5, v64
	v_dual_sub_nc_u32 v61, 0, v64 :: v_dual_mov_b32 v67, v4
	s_delay_alu instid0(VALU_DEP_2) | instskip(SKIP_1) | instid1(TRANS32_DEP_1)
	v_rcp_iflag_f32_e32 v5, v5
	v_nop
	v_mul_f32_e32 v5, 0x4f7ffffe, v5
	s_delay_alu instid0(VALU_DEP_1) | instskip(NEXT) | instid1(VALU_DEP_1)
	v_cvt_u32_f32_e32 v5, v5
	v_mul_lo_u32 v61, v61, v5
	s_delay_alu instid0(VALU_DEP_1) | instskip(NEXT) | instid1(VALU_DEP_1)
	v_mul_hi_u32 v61, v5, v61
	v_add_nc_u32_e32 v5, v5, v61
	s_delay_alu instid0(VALU_DEP_1) | instskip(NEXT) | instid1(VALU_DEP_1)
	v_mul_hi_u32 v5, v60, v5
	v_mul_lo_u32 v61, v5, v64
	s_delay_alu instid0(VALU_DEP_1) | instskip(NEXT) | instid1(VALU_DEP_1)
	v_sub_nc_u32_e32 v60, v60, v61
	v_dual_add_nc_u32 v61, 1, v5 :: v_dual_sub_nc_u32 v65, v60, v64
	v_cmp_ge_u32_e32 vcc_lo, v60, v64
	s_delay_alu instid0(VALU_DEP_2) | instskip(NEXT) | instid1(VALU_DEP_3)
	v_cndmask_b32_e32 v60, v60, v65, vcc_lo
	v_cndmask_b32_e32 v5, v5, v61, vcc_lo
	s_delay_alu instid0(VALU_DEP_2) | instskip(NEXT) | instid1(VALU_DEP_2)
	v_cmp_ge_u32_e32 vcc_lo, v60, v64
	v_add_nc_u32_e32 v61, 1, v5
	s_delay_alu instid0(VALU_DEP_1)
	v_cndmask_b32_e32 v66, v5, v61, vcc_lo
.LBB113_30:                             ;   in Loop: Header=BB113_4 Depth=1
	s_or_b32 exec_lo, exec_lo, s2
	v_or_b32_e32 v5, v55, v57
                                        ; implicit-def: $vgpr60_vgpr61
	s_mov_b32 s2, exec_lo
	s_delay_alu instid0(VALU_DEP_1)
	v_cmpx_ne_u64_e32 0, v[4:5]
	s_xor_b32 s3, exec_lo, s2
	s_cbranch_execz .LBB113_32
; %bb.31:                               ;   in Loop: Header=BB113_4 Depth=1
	v_dual_mov_b32 v65, v4 :: v_dual_ashrrev_i32 v60, 31, v57
	v_dual_mov_b32 v75, v4 :: v_dual_mov_b32 v77, v4
	s_delay_alu instid0(VALU_DEP_2) | instskip(NEXT) | instid1(VALU_DEP_1)
	v_mov_b32_e32 v61, v60
	v_add_nc_u64_e32 v[56:57], v[56:57], v[60:61]
	s_delay_alu instid0(VALU_DEP_1) | instskip(NEXT) | instid1(VALU_DEP_2)
	v_xor_b32_e32 v56, v56, v60
	v_xor_b32_e32 v57, v57, v60
	s_delay_alu instid0(VALU_DEP_2) | instskip(NEXT) | instid1(VALU_DEP_2)
	v_cvt_f32_u32_e32 v5, v56
	v_cvt_f32_u32_e32 v61, v57
	v_sub_nc_u64_e32 v[68:69], 0, v[56:57]
	s_delay_alu instid0(VALU_DEP_2) | instskip(NEXT) | instid1(VALU_DEP_1)
	v_fmac_f32_e32 v5, 0x4f800000, v61
	v_rcp_f32_e32 v5, v5
	v_nop
	s_delay_alu instid0(TRANS32_DEP_1) | instskip(NEXT) | instid1(VALU_DEP_1)
	v_mul_f32_e32 v5, 0x5f7ffffc, v5
	v_mul_f32_e32 v61, 0x2f800000, v5
	s_delay_alu instid0(VALU_DEP_1) | instskip(NEXT) | instid1(VALU_DEP_1)
	v_trunc_f32_e32 v61, v61
	v_fmac_f32_e32 v5, 0xcf800000, v61
	v_cvt_u32_f32_e32 v71, v61
	s_delay_alu instid0(VALU_DEP_2) | instskip(NEXT) | instid1(VALU_DEP_1)
	v_cvt_u32_f32_e32 v64, v5
	v_dual_mov_b32 v76, v71 :: v_dual_mov_b32 v70, v64
	s_delay_alu instid0(VALU_DEP_1) | instskip(NEXT) | instid1(VALU_DEP_1)
	v_mul_u64_e32 v[72:73], v[68:69], v[70:71]
	v_dual_mov_b32 v74, v73 :: v_dual_mov_b32 v73, v4
	s_delay_alu instid0(VALU_DEP_1) | instskip(NEXT) | instid1(VALU_DEP_2)
	v_mul_u64_e32 v[78:79], v[64:65], v[74:75]
	v_mul_u64_e32 v[80:81], v[76:77], v[72:73]
	;; [unrolled: 1-line block ×3, first 2 shown]
	v_mul_hi_u32 v72, v64, v72
	s_delay_alu instid0(VALU_DEP_1) | instskip(SKIP_1) | instid1(VALU_DEP_1)
	v_add_nc_u64_e32 v[72:73], v[72:73], v[78:79]
	v_ashrrev_i32_e32 v78, 31, v55
	v_mov_b32_e32 v79, v78
	s_delay_alu instid0(VALU_DEP_3) | instskip(NEXT) | instid1(VALU_DEP_4)
	v_add_co_u32 v5, vcc_lo, v72, v80
	v_add_co_ci_u32_e32 v76, vcc_lo, v73, v81, vcc_lo
	v_add_co_ci_u32_e32 v75, vcc_lo, 0, v75, vcc_lo
	s_delay_alu instid0(VALU_DEP_1) | instskip(NEXT) | instid1(VALU_DEP_1)
	v_add_nc_u64_e32 v[72:73], v[76:77], v[74:75]
	v_add_co_u32 v64, vcc_lo, v64, v72
	s_delay_alu instid0(VALU_DEP_1) | instskip(SKIP_1) | instid1(VALU_DEP_2)
	v_add_co_ci_u32_e64 v70, null, v71, v73, vcc_lo
	v_dual_mov_b32 v73, v4 :: v_dual_mov_b32 v71, v4
	v_mov_b32_e32 v65, v70
	s_delay_alu instid0(VALU_DEP_1) | instskip(NEXT) | instid1(VALU_DEP_1)
	v_mul_u64_e32 v[68:69], v[68:69], v[64:65]
	v_dual_mov_b32 v65, v4 :: v_dual_mov_b32 v72, v69
	s_delay_alu instid0(VALU_DEP_2) | instskip(SKIP_2) | instid1(VALU_DEP_4)
	v_mov_b32_e32 v76, v68
	v_mul_hi_u32 v68, v64, v68
	v_mov_b32_e32 v69, v4
	v_mul_u64_e32 v[74:75], v[64:65], v[72:73]
	s_delay_alu instid0(VALU_DEP_4) | instskip(SKIP_1) | instid1(VALU_DEP_3)
	v_mul_u64_e32 v[76:77], v[70:71], v[76:77]
	v_mul_u64_e32 v[72:73], v[70:71], v[72:73]
	v_add_nc_u64_e32 v[68:69], v[68:69], v[74:75]
	v_mov_b32_e32 v75, v4
	s_delay_alu instid0(VALU_DEP_2) | instskip(NEXT) | instid1(VALU_DEP_3)
	v_add_co_u32 v5, vcc_lo, v68, v76
	v_add_co_ci_u32_e32 v74, vcc_lo, v69, v77, vcc_lo
	v_add_co_ci_u32_e32 v73, vcc_lo, 0, v73, vcc_lo
	s_delay_alu instid0(VALU_DEP_1) | instskip(SKIP_2) | instid1(VALU_DEP_3)
	v_add_nc_u64_e32 v[68:69], v[74:75], v[72:73]
	v_mov_b32_e32 v73, v4
	v_add_nc_u64_e32 v[54:55], v[54:55], v[78:79]
	v_add_co_u32 v68, vcc_lo, v64, v68
	s_delay_alu instid0(VALU_DEP_2) | instskip(SKIP_1) | instid1(VALU_DEP_4)
	v_xor_b32_e32 v72, v54, v78
	v_add_co_ci_u32_e64 v64, null, v70, v69, vcc_lo
	v_dual_mov_b32 v69, v4 :: v_dual_bitop2_b32 v70, v55, v78 bitop3:0x14
	s_delay_alu instid0(VALU_DEP_2) | instskip(NEXT) | instid1(VALU_DEP_2)
	v_mul_u64_e32 v[74:75], v[72:73], v[64:65]
	v_mul_u64_e32 v[54:55], v[70:71], v[68:69]
	v_mul_hi_u32 v68, v72, v68
	s_delay_alu instid0(VALU_DEP_1) | instskip(SKIP_2) | instid1(VALU_DEP_3)
	v_add_nc_u64_e32 v[68:69], v[68:69], v[74:75]
	v_mov_b32_e32 v75, v4
	v_mul_u64_e32 v[64:65], v[70:71], v[64:65]
	v_add_co_u32 v5, vcc_lo, v68, v54
	s_delay_alu instid0(VALU_DEP_4) | instskip(NEXT) | instid1(VALU_DEP_3)
	v_add_co_ci_u32_e32 v74, vcc_lo, v69, v55, vcc_lo
	v_add_co_ci_u32_e32 v65, vcc_lo, 0, v65, vcc_lo
	s_delay_alu instid0(VALU_DEP_1) | instskip(NEXT) | instid1(VALU_DEP_1)
	v_add_nc_u64_e32 v[54:55], v[74:75], v[64:65]
	v_mul_u64_e32 v[64:65], v[56:57], v[54:55]
	v_add_nc_u64_e32 v[68:69], 1, v[54:55]
	s_delay_alu instid0(VALU_DEP_2) | instskip(NEXT) | instid1(VALU_DEP_3)
	v_sub_nc_u32_e32 v5, v70, v65
	v_sub_co_u32 v61, vcc_lo, v72, v64
	s_delay_alu instid0(VALU_DEP_1) | instskip(NEXT) | instid1(VALU_DEP_3)
	v_sub_co_ci_u32_e64 v70, null, v70, v65, vcc_lo
	v_sub_co_ci_u32_e64 v5, null, v5, v57, vcc_lo
	s_delay_alu instid0(VALU_DEP_3) | instskip(NEXT) | instid1(VALU_DEP_1)
	v_sub_co_u32 v64, s2, v61, v56
	v_subrev_co_ci_u32_e64 v5, null, 0, v5, s2
	s_delay_alu instid0(VALU_DEP_2) | instskip(SKIP_1) | instid1(VALU_DEP_3)
	v_cmp_ge_u32_e32 vcc_lo, v64, v56
	v_cndmask_b32_e64 v64, 0, -1, vcc_lo
	v_cmp_ge_u32_e32 vcc_lo, v5, v57
	v_cndmask_b32_e64 v65, 0, -1, vcc_lo
	;; [unrolled: 2-line block ×4, first 2 shown]
	v_cmp_eq_u32_e32 vcc_lo, v5, v57
	v_cndmask_b32_e32 v5, v65, v64, vcc_lo
	v_cmp_eq_u32_e32 vcc_lo, v70, v57
	v_add_nc_u64_e32 v[64:65], 2, v[54:55]
	v_cndmask_b32_e32 v56, v61, v56, vcc_lo
	s_delay_alu instid0(VALU_DEP_4) | instskip(NEXT) | instid1(VALU_DEP_2)
	v_cmp_ne_u32_e32 vcc_lo, 0, v5
	v_cmp_ne_u32_e64 s2, 0, v56
	s_delay_alu instid0(VALU_DEP_4) | instskip(NEXT) | instid1(VALU_DEP_1)
	v_dual_cndmask_b32 v5, v69, v65, vcc_lo :: v_dual_bitop2_b32 v56, v78, v60 bitop3:0x14
	v_dual_cndmask_b32 v57, v68, v64, vcc_lo :: v_dual_cndmask_b32 v5, v55, v5, s2
	s_delay_alu instid0(VALU_DEP_1) | instskip(NEXT) | instid1(VALU_DEP_2)
	v_dual_cndmask_b32 v54, v54, v57, s2 :: v_dual_mov_b32 v57, v56
	v_xor_b32_e32 v55, v5, v56
	s_delay_alu instid0(VALU_DEP_2) | instskip(NEXT) | instid1(VALU_DEP_1)
	v_xor_b32_e32 v54, v54, v56
	v_sub_nc_u64_e32 v[60:61], v[54:55], v[56:57]
                                        ; implicit-def: $vgpr56_vgpr57
                                        ; implicit-def: $vgpr54_vgpr55
.LBB113_32:                             ;   in Loop: Header=BB113_4 Depth=1
	s_and_not1_saveexec_b32 s2, s3
	s_cbranch_execz .LBB113_3
; %bb.33:                               ;   in Loop: Header=BB113_4 Depth=1
	v_cvt_f32_u32_e32 v5, v56
	v_dual_sub_nc_u32 v55, 0, v56 :: v_dual_mov_b32 v61, v4
	s_delay_alu instid0(VALU_DEP_2) | instskip(SKIP_1) | instid1(TRANS32_DEP_1)
	v_rcp_iflag_f32_e32 v5, v5
	v_nop
	v_mul_f32_e32 v5, 0x4f7ffffe, v5
	s_delay_alu instid0(VALU_DEP_1) | instskip(NEXT) | instid1(VALU_DEP_1)
	v_cvt_u32_f32_e32 v5, v5
	v_mul_lo_u32 v55, v55, v5
	s_delay_alu instid0(VALU_DEP_1) | instskip(NEXT) | instid1(VALU_DEP_1)
	v_mul_hi_u32 v55, v5, v55
	v_add_nc_u32_e32 v5, v5, v55
	s_delay_alu instid0(VALU_DEP_1) | instskip(NEXT) | instid1(VALU_DEP_1)
	v_mul_hi_u32 v5, v54, v5
	v_mul_lo_u32 v55, v5, v56
	s_delay_alu instid0(VALU_DEP_1) | instskip(NEXT) | instid1(VALU_DEP_1)
	v_dual_sub_nc_u32 v54, v54, v55 :: v_dual_add_nc_u32 v55, 1, v5
	v_sub_nc_u32_e32 v57, v54, v56
	v_cmp_ge_u32_e32 vcc_lo, v54, v56
	s_delay_alu instid0(VALU_DEP_2) | instskip(NEXT) | instid1(VALU_DEP_1)
	v_dual_cndmask_b32 v54, v54, v57 :: v_dual_cndmask_b32 v5, v5, v55
	v_cmp_ge_u32_e32 vcc_lo, v54, v56
	s_delay_alu instid0(VALU_DEP_2) | instskip(NEXT) | instid1(VALU_DEP_1)
	v_add_nc_u32_e32 v55, 1, v5
	v_cndmask_b32_e32 v60, v5, v55, vcc_lo
	s_branch .LBB113_3
.LBB113_34:
	s_mov_b32 s24, 0
.LBB113_35:
	s_delay_alu instid0(SALU_CYCLE_1)
	s_and_not1_b32 vcc_lo, exec_lo, s24
	s_cbranch_vccnz .LBB113_55
; %bb.36:
	v_min_i64 v[26:27], 0x10000, s[16:17]
	v_dual_mov_b32 v28, 0 :: v_dual_lshlrev_b32 v2, 2, v0
	s_mov_b32 s2, exec_lo
	s_delay_alu instid0(VALU_DEP_1) | instskip(SKIP_1) | instid1(VALU_DEP_1)
	v_mov_b32_e32 v3, v28
	s_wait_xcnt 0x0
	v_cmpx_lt_i64_e64 v[2:3], v[26:27]
	s_cbranch_execz .LBB113_55
; %bb.37:
	s_load_b32 s0, s[0:1], 0xd14
	v_dual_mov_b32 v1, v28 :: v_dual_lshlrev_b32 v30, 5, v0
	v_mov_b32_e32 v31, v28
	s_mov_b32 s3, 0
	s_delay_alu instid0(SALU_CYCLE_1) | instskip(SKIP_4) | instid1(SALU_CYCLE_1)
	s_mov_b32 s15, s3
	s_wait_xcnt 0x0
	s_mov_b32 s1, s3
	s_wait_kmcnt 0x0
	s_and_b32 s2, s0, 0xffff
	s_lshl_b32 s14, s2, 5
	s_branch .LBB113_39
.LBB113_38:                             ;   in Loop: Header=BB113_39 Depth=1
	s_or_b32 exec_lo, exec_lo, s0
	s_wait_loadcnt 0x0
	v_mad_nc_u64_u32 v[8:9], v18, s4, v[8:9]
	v_mad_nc_u64_u32 v[6:7], v32, s4, v[6:7]
	;; [unrolled: 1-line block ×4, first 2 shown]
	v_add_nc_u64_e32 v[0:1], s[2:3], v[0:1]
	s_add_nc_u64 s[6:7], s[6:7], s[14:15]
	s_add_nc_u64 s[10:11], s[10:11], s[14:15]
	;; [unrolled: 1-line block ×3, first 2 shown]
	s_delay_alu instid0(VALU_DEP_1)
	v_lshlrev_b64_e32 v[12:13], 2, v[0:1]
	v_mad_u32 v9, v19, s4, v9
	v_mad_u32 v7, v33, s4, v7
	;; [unrolled: 1-line block ×4, first 2 shown]
	v_cmp_ge_i64_e32 vcc_lo, v[12:13], v[26:27]
	v_mad_u32 v9, v18, s5, v9
	v_mad_u32 v7, v32, s5, v7
	;; [unrolled: 1-line block ×4, first 2 shown]
	v_add_nc_u64_e32 v[10:11], s[12:13], v[30:31]
	s_add_nc_u64 s[12:13], s[12:13], s[14:15]
	s_or_b32 s1, vcc_lo, s1
	s_clause 0x1
	global_store_b128 v[10:11], v[6:9], off
	global_store_b128 v[10:11], v[2:5], off offset:16
	s_wait_xcnt 0x0
	s_and_not1_b32 exec_lo, exec_lo, s1
	s_cbranch_execz .LBB113_55
.LBB113_39:                             ; =>This Inner Loop Header: Depth=1
	v_add_nc_u64_e32 v[32:33], s[8:9], v[30:31]
	v_add_nc_u64_e32 v[34:35], s[10:11], v[30:31]
	;; [unrolled: 1-line block ×3, first 2 shown]
	s_mov_b32 s0, exec_lo
	global_load_b128 v[18:21], v[32:33], off
	global_load_b128 v[22:25], v[34:35], off
	global_load_b128 v[10:13], v[32:33], off offset:16
	global_load_b128 v[14:17], v[34:35], off offset:16
	s_clause 0x1
	global_load_b128 v[2:5], v[36:37], off offset:16
	global_load_b128 v[6:9], v[36:37], off
                                        ; implicit-def: $vgpr32_vgpr33
	s_wait_loadcnt 0x4
	v_or_b32_e32 v29, v19, v23
	s_wait_xcnt 0x0
	s_delay_alu instid0(VALU_DEP_1)
	v_cmpx_ne_u64_e32 0, v[28:29]
	s_xor_b32 s16, exec_lo, s0
	s_cbranch_execz .LBB113_41
; %bb.40:                               ;   in Loop: Header=BB113_39 Depth=1
	v_dual_mov_b32 v35, v28 :: v_dual_ashrrev_i32 v32, 31, v23
	v_dual_mov_b32 v43, v28 :: v_dual_mov_b32 v45, v28
	s_delay_alu instid0(VALU_DEP_2) | instskip(NEXT) | instid1(VALU_DEP_1)
	v_mov_b32_e32 v33, v32
	v_add_nc_u64_e32 v[22:23], v[22:23], v[32:33]
	s_delay_alu instid0(VALU_DEP_1) | instskip(NEXT) | instid1(VALU_DEP_2)
	v_xor_b32_e32 v22, v22, v32
	v_xor_b32_e32 v23, v23, v32
	s_delay_alu instid0(VALU_DEP_2) | instskip(NEXT) | instid1(VALU_DEP_2)
	v_cvt_f32_u32_e32 v29, v22
	v_cvt_f32_u32_e32 v33, v23
	s_delay_alu instid0(VALU_DEP_1) | instskip(NEXT) | instid1(VALU_DEP_1)
	v_fmac_f32_e32 v29, 0x4f800000, v33
	v_rcp_f32_e32 v29, v29
	v_nop
	s_delay_alu instid0(TRANS32_DEP_1) | instskip(NEXT) | instid1(VALU_DEP_1)
	v_mul_f32_e32 v29, 0x5f7ffffc, v29
	v_mul_f32_e32 v33, 0x2f800000, v29
	s_delay_alu instid0(VALU_DEP_1) | instskip(NEXT) | instid1(VALU_DEP_1)
	v_trunc_f32_e32 v33, v33
	v_fmac_f32_e32 v29, 0xcf800000, v33
	v_cvt_u32_f32_e32 v39, v33
	s_delay_alu instid0(VALU_DEP_2) | instskip(NEXT) | instid1(VALU_DEP_1)
	v_cvt_u32_f32_e32 v34, v29
	v_dual_mov_b32 v44, v39 :: v_dual_mov_b32 v38, v34
	v_sub_nc_u64_e32 v[36:37], 0, v[22:23]
	s_delay_alu instid0(VALU_DEP_1) | instskip(NEXT) | instid1(VALU_DEP_1)
	v_mul_u64_e32 v[40:41], v[36:37], v[38:39]
	v_dual_mov_b32 v42, v41 :: v_dual_mov_b32 v41, v28
	s_delay_alu instid0(VALU_DEP_1) | instskip(NEXT) | instid1(VALU_DEP_2)
	v_mul_u64_e32 v[46:47], v[34:35], v[42:43]
	v_mul_u64_e32 v[48:49], v[44:45], v[40:41]
	;; [unrolled: 1-line block ×3, first 2 shown]
	v_mul_hi_u32 v40, v34, v40
	s_delay_alu instid0(VALU_DEP_1) | instskip(SKIP_1) | instid1(VALU_DEP_2)
	v_add_nc_u64_e32 v[40:41], v[40:41], v[46:47]
	v_ashrrev_i32_e32 v46, 31, v19
	v_add_co_u32 v29, vcc_lo, v40, v48
	s_delay_alu instid0(VALU_DEP_3) | instskip(SKIP_1) | instid1(VALU_DEP_1)
	v_add_co_ci_u32_e32 v44, vcc_lo, v41, v49, vcc_lo
	v_add_co_ci_u32_e32 v43, vcc_lo, 0, v43, vcc_lo
	v_add_nc_u64_e32 v[40:41], v[44:45], v[42:43]
	s_delay_alu instid0(VALU_DEP_1) | instskip(NEXT) | instid1(VALU_DEP_1)
	v_add_co_u32 v34, vcc_lo, v34, v40
	v_add_co_ci_u32_e64 v38, null, v39, v41, vcc_lo
	v_dual_mov_b32 v41, v28 :: v_dual_mov_b32 v39, v28
	s_delay_alu instid0(VALU_DEP_2) | instskip(NEXT) | instid1(VALU_DEP_1)
	v_mov_b32_e32 v35, v38
	v_mul_u64_e32 v[36:37], v[36:37], v[34:35]
	s_delay_alu instid0(VALU_DEP_1) | instskip(NEXT) | instid1(VALU_DEP_2)
	v_dual_mov_b32 v35, v28 :: v_dual_mov_b32 v40, v37
	v_dual_mov_b32 v44, v36 :: v_dual_mov_b32 v37, v28
	v_mul_hi_u32 v36, v34, v36
	s_delay_alu instid0(VALU_DEP_3) | instskip(NEXT) | instid1(VALU_DEP_3)
	v_mul_u64_e32 v[42:43], v[34:35], v[40:41]
	v_mul_u64_e32 v[44:45], v[38:39], v[44:45]
	;; [unrolled: 1-line block ×3, first 2 shown]
	s_delay_alu instid0(VALU_DEP_3) | instskip(SKIP_1) | instid1(VALU_DEP_2)
	v_add_nc_u64_e32 v[36:37], v[36:37], v[42:43]
	v_dual_mov_b32 v43, v28 :: v_dual_mov_b32 v47, v46
	v_add_co_u32 v29, vcc_lo, v36, v44
	s_delay_alu instid0(VALU_DEP_3) | instskip(SKIP_1) | instid1(VALU_DEP_1)
	v_add_co_ci_u32_e32 v42, vcc_lo, v37, v45, vcc_lo
	v_add_co_ci_u32_e32 v41, vcc_lo, 0, v41, vcc_lo
	v_add_nc_u64_e32 v[36:37], v[42:43], v[40:41]
	v_mov_b32_e32 v41, v28
	v_add_nc_u64_e32 v[18:19], v[18:19], v[46:47]
	s_delay_alu instid0(VALU_DEP_3) | instskip(NEXT) | instid1(VALU_DEP_2)
	v_add_co_u32 v36, vcc_lo, v34, v36
	v_xor_b32_e32 v40, v18, v46
	v_add_co_ci_u32_e64 v34, null, v38, v37, vcc_lo
	s_delay_alu instid0(VALU_DEP_4) | instskip(NEXT) | instid1(VALU_DEP_2)
	v_dual_mov_b32 v37, v28 :: v_dual_bitop2_b32 v38, v19, v46 bitop3:0x14
	v_mul_u64_e32 v[42:43], v[40:41], v[34:35]
	s_delay_alu instid0(VALU_DEP_2) | instskip(SKIP_1) | instid1(VALU_DEP_1)
	v_mul_u64_e32 v[18:19], v[38:39], v[36:37]
	v_mul_hi_u32 v36, v40, v36
	v_add_nc_u64_e32 v[36:37], v[36:37], v[42:43]
	v_mov_b32_e32 v43, v28
	v_mul_u64_e32 v[34:35], v[38:39], v[34:35]
	s_delay_alu instid0(VALU_DEP_3) | instskip(NEXT) | instid1(VALU_DEP_4)
	v_add_co_u32 v18, vcc_lo, v36, v18
	v_add_co_ci_u32_e32 v42, vcc_lo, v37, v19, vcc_lo
	s_delay_alu instid0(VALU_DEP_3) | instskip(NEXT) | instid1(VALU_DEP_1)
	v_add_co_ci_u32_e32 v35, vcc_lo, 0, v35, vcc_lo
	v_add_nc_u64_e32 v[18:19], v[42:43], v[34:35]
	s_delay_alu instid0(VALU_DEP_1) | instskip(SKIP_1) | instid1(VALU_DEP_2)
	v_mul_u64_e32 v[34:35], v[22:23], v[18:19]
	v_add_nc_u64_e32 v[36:37], 1, v[18:19]
	v_sub_nc_u32_e32 v29, v38, v35
	s_delay_alu instid0(VALU_DEP_3) | instskip(NEXT) | instid1(VALU_DEP_1)
	v_sub_co_u32 v33, vcc_lo, v40, v34
	v_sub_co_ci_u32_e64 v38, null, v38, v35, vcc_lo
	s_delay_alu instid0(VALU_DEP_3) | instskip(NEXT) | instid1(VALU_DEP_3)
	v_sub_co_ci_u32_e64 v29, null, v29, v23, vcc_lo
	v_sub_co_u32 v34, s0, v33, v22
	s_delay_alu instid0(VALU_DEP_1) | instskip(NEXT) | instid1(VALU_DEP_2)
	v_subrev_co_ci_u32_e64 v29, null, 0, v29, s0
	v_cmp_ge_u32_e32 vcc_lo, v34, v22
	v_cndmask_b32_e64 v34, 0, -1, vcc_lo
	s_delay_alu instid0(VALU_DEP_3)
	v_cmp_ge_u32_e32 vcc_lo, v29, v23
	v_cndmask_b32_e64 v35, 0, -1, vcc_lo
	v_cmp_ge_u32_e32 vcc_lo, v33, v22
	v_cndmask_b32_e64 v22, 0, -1, vcc_lo
	;; [unrolled: 2-line block ×3, first 2 shown]
	v_cmp_eq_u32_e32 vcc_lo, v29, v23
	v_cndmask_b32_e32 v29, v35, v34, vcc_lo
	v_cmp_eq_u32_e32 vcc_lo, v38, v23
	v_add_nc_u64_e32 v[34:35], 2, v[18:19]
	v_cndmask_b32_e32 v22, v33, v22, vcc_lo
	s_delay_alu instid0(VALU_DEP_4) | instskip(NEXT) | instid1(VALU_DEP_2)
	v_cmp_ne_u32_e32 vcc_lo, 0, v29
	v_cmp_ne_u32_e64 s0, 0, v22
	s_delay_alu instid0(VALU_DEP_4) | instskip(NEXT) | instid1(VALU_DEP_1)
	v_dual_cndmask_b32 v23, v37, v35, vcc_lo :: v_dual_cndmask_b32 v29, v36, v34, vcc_lo
	v_dual_cndmask_b32 v19, v19, v23, s0 :: v_dual_bitop2_b32 v22, v46, v32 bitop3:0x14
	s_delay_alu instid0(VALU_DEP_2) | instskip(NEXT) | instid1(VALU_DEP_2)
	v_cndmask_b32_e64 v18, v18, v29, s0
	v_dual_mov_b32 v23, v22 :: v_dual_bitop2_b32 v19, v19, v22 bitop3:0x14
	s_delay_alu instid0(VALU_DEP_2) | instskip(NEXT) | instid1(VALU_DEP_1)
	v_xor_b32_e32 v18, v18, v22
	v_sub_nc_u64_e32 v[32:33], v[18:19], v[22:23]
.LBB113_41:                             ;   in Loop: Header=BB113_39 Depth=1
	s_and_not1_saveexec_b32 s0, s16
	s_cbranch_execz .LBB113_43
; %bb.42:                               ;   in Loop: Header=BB113_39 Depth=1
	v_cvt_f32_u32_e32 v19, v22
	v_dual_sub_nc_u32 v23, 0, v22 :: v_dual_mov_b32 v33, v28
	s_delay_alu instid0(VALU_DEP_2) | instskip(SKIP_1) | instid1(TRANS32_DEP_1)
	v_rcp_iflag_f32_e32 v19, v19
	v_nop
	v_mul_f32_e32 v19, 0x4f7ffffe, v19
	s_delay_alu instid0(VALU_DEP_1) | instskip(NEXT) | instid1(VALU_DEP_1)
	v_cvt_u32_f32_e32 v19, v19
	v_mul_lo_u32 v23, v23, v19
	s_delay_alu instid0(VALU_DEP_1) | instskip(NEXT) | instid1(VALU_DEP_1)
	v_mul_hi_u32 v23, v19, v23
	v_add_nc_u32_e32 v19, v19, v23
	s_delay_alu instid0(VALU_DEP_1) | instskip(NEXT) | instid1(VALU_DEP_1)
	v_mul_hi_u32 v19, v18, v19
	v_mul_lo_u32 v23, v19, v22
	s_delay_alu instid0(VALU_DEP_1) | instskip(NEXT) | instid1(VALU_DEP_1)
	v_sub_nc_u32_e32 v18, v18, v23
	v_dual_add_nc_u32 v23, 1, v19 :: v_dual_sub_nc_u32 v29, v18, v22
	v_cmp_ge_u32_e32 vcc_lo, v18, v22
	s_delay_alu instid0(VALU_DEP_2) | instskip(NEXT) | instid1(VALU_DEP_1)
	v_dual_cndmask_b32 v18, v18, v29 :: v_dual_cndmask_b32 v19, v19, v23
	v_cmp_ge_u32_e32 vcc_lo, v18, v22
	s_delay_alu instid0(VALU_DEP_2) | instskip(NEXT) | instid1(VALU_DEP_1)
	v_add_nc_u32_e32 v23, 1, v19
	v_cndmask_b32_e32 v32, v19, v23, vcc_lo
.LBB113_43:                             ;   in Loop: Header=BB113_39 Depth=1
	s_or_b32 exec_lo, exec_lo, s0
	v_or_b32_e32 v29, v21, v25
                                        ; implicit-def: $vgpr18_vgpr19
	s_mov_b32 s0, exec_lo
	s_delay_alu instid0(VALU_DEP_1)
	v_cmpx_ne_u64_e32 0, v[28:29]
	s_xor_b32 s16, exec_lo, s0
	s_cbranch_execz .LBB113_45
; %bb.44:                               ;   in Loop: Header=BB113_39 Depth=1
	v_dual_mov_b32 v41, v28 :: v_dual_ashrrev_i32 v18, 31, v25
	s_delay_alu instid0(VALU_DEP_1) | instskip(NEXT) | instid1(VALU_DEP_1)
	v_dual_mov_b32 v43, v28 :: v_dual_mov_b32 v19, v18
	v_add_nc_u64_e32 v[22:23], v[24:25], v[18:19]
	s_delay_alu instid0(VALU_DEP_1) | instskip(NEXT) | instid1(VALU_DEP_2)
	v_xor_b32_e32 v22, v22, v18
	v_xor_b32_e32 v23, v23, v18
	s_delay_alu instid0(VALU_DEP_2) | instskip(NEXT) | instid1(VALU_DEP_2)
	v_cvt_f32_u32_e32 v19, v22
	v_cvt_f32_u32_e32 v24, v23
	s_delay_alu instid0(VALU_DEP_1) | instskip(NEXT) | instid1(VALU_DEP_1)
	v_fmac_f32_e32 v19, 0x4f800000, v24
	v_rcp_f32_e32 v19, v19
	v_nop
	s_delay_alu instid0(TRANS32_DEP_1) | instskip(NEXT) | instid1(VALU_DEP_1)
	v_mul_f32_e32 v19, 0x5f7ffffc, v19
	v_mul_f32_e32 v24, 0x2f800000, v19
	s_delay_alu instid0(VALU_DEP_1) | instskip(NEXT) | instid1(VALU_DEP_1)
	v_trunc_f32_e32 v25, v24
	v_cvt_u32_f32_e32 v37, v25
	v_fmac_f32_e32 v19, 0xcf800000, v25
	s_delay_alu instid0(VALU_DEP_2) | instskip(NEXT) | instid1(VALU_DEP_2)
	v_dual_mov_b32 v25, v28 :: v_dual_mov_b32 v42, v37
	v_cvt_u32_f32_e32 v24, v19
	s_delay_alu instid0(VALU_DEP_1) | instskip(SKIP_1) | instid1(VALU_DEP_1)
	v_mov_b32_e32 v36, v24
	v_sub_nc_u64_e32 v[34:35], 0, v[22:23]
	v_mul_u64_e32 v[38:39], v[34:35], v[36:37]
	s_delay_alu instid0(VALU_DEP_1) | instskip(NEXT) | instid1(VALU_DEP_1)
	v_dual_mov_b32 v40, v39 :: v_dual_mov_b32 v39, v28
	v_mul_u64_e32 v[44:45], v[24:25], v[40:41]
	s_delay_alu instid0(VALU_DEP_2) | instskip(SKIP_2) | instid1(VALU_DEP_1)
	v_mul_u64_e32 v[46:47], v[42:43], v[38:39]
	v_mul_u64_e32 v[40:41], v[42:43], v[40:41]
	v_mul_hi_u32 v38, v24, v38
	v_add_nc_u64_e32 v[38:39], v[38:39], v[44:45]
	v_ashrrev_i32_e32 v44, 31, v21
	s_delay_alu instid0(VALU_DEP_2) | instskip(NEXT) | instid1(VALU_DEP_3)
	v_add_co_u32 v19, vcc_lo, v38, v46
	v_add_co_ci_u32_e32 v42, vcc_lo, v39, v47, vcc_lo
	v_add_co_ci_u32_e32 v41, vcc_lo, 0, v41, vcc_lo
	s_delay_alu instid0(VALU_DEP_1) | instskip(NEXT) | instid1(VALU_DEP_1)
	v_add_nc_u64_e32 v[38:39], v[42:43], v[40:41]
	v_add_co_u32 v24, vcc_lo, v24, v38
	s_delay_alu instid0(VALU_DEP_1) | instskip(SKIP_1) | instid1(VALU_DEP_2)
	v_add_co_ci_u32_e64 v36, null, v37, v39, vcc_lo
	v_dual_mov_b32 v39, v28 :: v_dual_mov_b32 v37, v28
	v_mov_b32_e32 v25, v36
	s_delay_alu instid0(VALU_DEP_1) | instskip(NEXT) | instid1(VALU_DEP_1)
	v_mul_u64_e32 v[34:35], v[34:35], v[24:25]
	v_dual_mov_b32 v25, v28 :: v_dual_mov_b32 v38, v35
	s_delay_alu instid0(VALU_DEP_2) | instskip(SKIP_1) | instid1(VALU_DEP_3)
	v_dual_mov_b32 v42, v34 :: v_dual_mov_b32 v35, v28
	v_mul_hi_u32 v34, v24, v34
	v_mul_u64_e32 v[40:41], v[24:25], v[38:39]
	s_delay_alu instid0(VALU_DEP_3) | instskip(SKIP_1) | instid1(VALU_DEP_3)
	v_mul_u64_e32 v[42:43], v[36:37], v[42:43]
	v_mul_u64_e32 v[38:39], v[36:37], v[38:39]
	v_add_nc_u64_e32 v[34:35], v[34:35], v[40:41]
	v_dual_mov_b32 v41, v28 :: v_dual_mov_b32 v45, v44
	v_xor_b32_e32 v18, v44, v18
	s_delay_alu instid0(VALU_DEP_3) | instskip(NEXT) | instid1(VALU_DEP_4)
	v_add_co_u32 v19, vcc_lo, v34, v42
	v_add_co_ci_u32_e32 v40, vcc_lo, v35, v43, vcc_lo
	v_add_co_ci_u32_e32 v39, vcc_lo, 0, v39, vcc_lo
	s_delay_alu instid0(VALU_DEP_1) | instskip(SKIP_2) | instid1(VALU_DEP_3)
	v_add_nc_u64_e32 v[34:35], v[40:41], v[38:39]
	v_mov_b32_e32 v39, v28
	v_add_nc_u64_e32 v[20:21], v[20:21], v[44:45]
	v_add_co_u32 v34, vcc_lo, v24, v34
	s_delay_alu instid0(VALU_DEP_2) | instskip(SKIP_1) | instid1(VALU_DEP_4)
	v_xor_b32_e32 v38, v20, v44
	v_add_co_ci_u32_e64 v24, null, v36, v35, vcc_lo
	v_dual_mov_b32 v35, v28 :: v_dual_bitop2_b32 v36, v21, v44 bitop3:0x14
	s_delay_alu instid0(VALU_DEP_2) | instskip(NEXT) | instid1(VALU_DEP_2)
	v_mul_u64_e32 v[40:41], v[38:39], v[24:25]
	v_mul_u64_e32 v[20:21], v[36:37], v[34:35]
	;; [unrolled: 1-line block ×3, first 2 shown]
	v_mul_hi_u32 v34, v38, v34
	s_delay_alu instid0(VALU_DEP_1) | instskip(SKIP_1) | instid1(VALU_DEP_2)
	v_add_nc_u64_e32 v[34:35], v[34:35], v[40:41]
	v_mov_b32_e32 v41, v28
	v_add_co_u32 v19, vcc_lo, v34, v20
	s_delay_alu instid0(VALU_DEP_3) | instskip(SKIP_1) | instid1(VALU_DEP_1)
	v_add_co_ci_u32_e32 v40, vcc_lo, v35, v21, vcc_lo
	v_add_co_ci_u32_e32 v25, vcc_lo, 0, v25, vcc_lo
	v_add_nc_u64_e32 v[20:21], v[40:41], v[24:25]
	s_delay_alu instid0(VALU_DEP_1) | instskip(SKIP_1) | instid1(VALU_DEP_2)
	v_mul_u64_e32 v[24:25], v[22:23], v[20:21]
	v_add_nc_u64_e32 v[34:35], 1, v[20:21]
	v_sub_nc_u32_e32 v19, v36, v25
	s_delay_alu instid0(VALU_DEP_3) | instskip(NEXT) | instid1(VALU_DEP_1)
	v_sub_co_u32 v24, vcc_lo, v38, v24
	v_sub_co_ci_u32_e64 v36, null, v36, v25, vcc_lo
	s_delay_alu instid0(VALU_DEP_3) | instskip(NEXT) | instid1(VALU_DEP_3)
	v_sub_co_ci_u32_e64 v19, null, v19, v23, vcc_lo
	v_sub_co_u32 v29, s0, v24, v22
	s_delay_alu instid0(VALU_DEP_1) | instskip(NEXT) | instid1(VALU_DEP_2)
	v_subrev_co_ci_u32_e64 v19, null, 0, v19, s0
	v_cmp_ge_u32_e32 vcc_lo, v29, v22
	v_cndmask_b32_e64 v25, 0, -1, vcc_lo
	s_delay_alu instid0(VALU_DEP_3)
	v_cmp_ge_u32_e32 vcc_lo, v19, v23
	v_cndmask_b32_e64 v29, 0, -1, vcc_lo
	v_cmp_ge_u32_e32 vcc_lo, v24, v22
	v_cndmask_b32_e64 v22, 0, -1, vcc_lo
	;; [unrolled: 2-line block ×3, first 2 shown]
	v_cmp_eq_u32_e32 vcc_lo, v19, v23
	v_cndmask_b32_e32 v19, v29, v25, vcc_lo
	v_cmp_eq_u32_e32 vcc_lo, v36, v23
	v_add_nc_u64_e32 v[24:25], 2, v[20:21]
	v_cndmask_b32_e32 v22, v37, v22, vcc_lo
	s_delay_alu instid0(VALU_DEP_4) | instskip(NEXT) | instid1(VALU_DEP_2)
	v_cmp_ne_u32_e32 vcc_lo, 0, v19
	v_cmp_ne_u32_e64 s0, 0, v22
	s_delay_alu instid0(VALU_DEP_4) | instskip(NEXT) | instid1(VALU_DEP_1)
	v_dual_cndmask_b32 v19, v35, v25 :: v_dual_cndmask_b32 v22, v34, v24
                                        ; implicit-def: $vgpr24_vgpr25
	v_dual_cndmask_b32 v21, v21, v19, s0 :: v_dual_cndmask_b32 v20, v20, v22, s0
	s_delay_alu instid0(VALU_DEP_1) | instskip(NEXT) | instid1(VALU_DEP_2)
	v_dual_mov_b32 v19, v18 :: v_dual_bitop2_b32 v21, v21, v18 bitop3:0x14
	v_xor_b32_e32 v20, v20, v18
	s_delay_alu instid0(VALU_DEP_1)
	v_sub_nc_u64_e32 v[18:19], v[20:21], v[18:19]
                                        ; implicit-def: $vgpr20_vgpr21
.LBB113_45:                             ;   in Loop: Header=BB113_39 Depth=1
	s_and_not1_saveexec_b32 s0, s16
	s_cbranch_execz .LBB113_47
; %bb.46:                               ;   in Loop: Header=BB113_39 Depth=1
	v_cvt_f32_u32_e32 v18, v24
	v_sub_nc_u32_e32 v19, 0, v24
	s_delay_alu instid0(VALU_DEP_2) | instskip(SKIP_1) | instid1(TRANS32_DEP_1)
	v_rcp_iflag_f32_e32 v18, v18
	v_nop
	v_mul_f32_e32 v18, 0x4f7ffffe, v18
	s_delay_alu instid0(VALU_DEP_1) | instskip(NEXT) | instid1(VALU_DEP_1)
	v_cvt_u32_f32_e32 v18, v18
	v_mul_lo_u32 v19, v19, v18
	s_delay_alu instid0(VALU_DEP_1) | instskip(NEXT) | instid1(VALU_DEP_1)
	v_mul_hi_u32 v19, v18, v19
	v_add_nc_u32_e32 v18, v18, v19
	s_delay_alu instid0(VALU_DEP_1) | instskip(NEXT) | instid1(VALU_DEP_1)
	v_mul_hi_u32 v18, v20, v18
	v_mul_lo_u32 v19, v18, v24
	s_delay_alu instid0(VALU_DEP_1) | instskip(NEXT) | instid1(VALU_DEP_1)
	v_dual_sub_nc_u32 v19, v20, v19 :: v_dual_add_nc_u32 v20, 1, v18
	v_sub_nc_u32_e32 v21, v19, v24
	v_cmp_ge_u32_e32 vcc_lo, v19, v24
	s_delay_alu instid0(VALU_DEP_2) | instskip(NEXT) | instid1(VALU_DEP_1)
	v_dual_cndmask_b32 v19, v19, v21 :: v_dual_cndmask_b32 v18, v18, v20
	v_cmp_ge_u32_e32 vcc_lo, v19, v24
	s_delay_alu instid0(VALU_DEP_2) | instskip(NEXT) | instid1(VALU_DEP_1)
	v_dual_mov_b32 v19, v28 :: v_dual_add_nc_u32 v20, 1, v18
	v_cndmask_b32_e32 v18, v18, v20, vcc_lo
.LBB113_47:                             ;   in Loop: Header=BB113_39 Depth=1
	s_or_b32 exec_lo, exec_lo, s0
	s_wait_loadcnt 0x2
	v_or_b32_e32 v29, v11, v15
                                        ; implicit-def: $vgpr20_vgpr21
	s_mov_b32 s0, exec_lo
	s_delay_alu instid0(VALU_DEP_1)
	v_cmpx_ne_u64_e32 0, v[28:29]
	s_xor_b32 s16, exec_lo, s0
	s_cbranch_execz .LBB113_49
; %bb.48:                               ;   in Loop: Header=BB113_39 Depth=1
	v_dual_mov_b32 v25, v28 :: v_dual_ashrrev_i32 v20, 31, v15
	v_dual_mov_b32 v41, v28 :: v_dual_mov_b32 v43, v28
	s_delay_alu instid0(VALU_DEP_2) | instskip(NEXT) | instid1(VALU_DEP_1)
	v_mov_b32_e32 v21, v20
	v_add_nc_u64_e32 v[22:23], v[14:15], v[20:21]
	s_delay_alu instid0(VALU_DEP_1) | instskip(NEXT) | instid1(VALU_DEP_2)
	v_xor_b32_e32 v22, v22, v20
	v_xor_b32_e32 v23, v23, v20
	s_delay_alu instid0(VALU_DEP_2) | instskip(NEXT) | instid1(VALU_DEP_2)
	v_cvt_f32_u32_e32 v15, v22
	v_cvt_f32_u32_e32 v21, v23
	s_delay_alu instid0(VALU_DEP_1) | instskip(NEXT) | instid1(VALU_DEP_1)
	v_fmac_f32_e32 v15, 0x4f800000, v21
	v_rcp_f32_e32 v15, v15
	v_nop
	s_delay_alu instid0(TRANS32_DEP_1) | instskip(NEXT) | instid1(VALU_DEP_1)
	v_mul_f32_e32 v15, 0x5f7ffffc, v15
	v_mul_f32_e32 v21, 0x2f800000, v15
	s_delay_alu instid0(VALU_DEP_1) | instskip(NEXT) | instid1(VALU_DEP_1)
	v_trunc_f32_e32 v21, v21
	v_fmac_f32_e32 v15, 0xcf800000, v21
	v_cvt_u32_f32_e32 v37, v21
	s_delay_alu instid0(VALU_DEP_2) | instskip(NEXT) | instid1(VALU_DEP_1)
	v_cvt_u32_f32_e32 v24, v15
	v_dual_mov_b32 v42, v37 :: v_dual_mov_b32 v36, v24
	v_sub_nc_u64_e32 v[34:35], 0, v[22:23]
	s_delay_alu instid0(VALU_DEP_1) | instskip(NEXT) | instid1(VALU_DEP_1)
	v_mul_u64_e32 v[38:39], v[34:35], v[36:37]
	v_dual_mov_b32 v40, v39 :: v_dual_mov_b32 v39, v28
	s_delay_alu instid0(VALU_DEP_1) | instskip(NEXT) | instid1(VALU_DEP_2)
	v_mul_u64_e32 v[44:45], v[24:25], v[40:41]
	v_mul_u64_e32 v[46:47], v[42:43], v[38:39]
	;; [unrolled: 1-line block ×3, first 2 shown]
	v_mul_hi_u32 v38, v24, v38
	s_delay_alu instid0(VALU_DEP_1) | instskip(SKIP_1) | instid1(VALU_DEP_2)
	v_add_nc_u64_e32 v[38:39], v[38:39], v[44:45]
	v_ashrrev_i32_e32 v44, 31, v11
	v_add_co_u32 v15, vcc_lo, v38, v46
	s_delay_alu instid0(VALU_DEP_3) | instskip(SKIP_1) | instid1(VALU_DEP_1)
	v_add_co_ci_u32_e32 v42, vcc_lo, v39, v47, vcc_lo
	v_add_co_ci_u32_e32 v41, vcc_lo, 0, v41, vcc_lo
	v_add_nc_u64_e32 v[38:39], v[42:43], v[40:41]
	s_delay_alu instid0(VALU_DEP_1) | instskip(NEXT) | instid1(VALU_DEP_1)
	v_add_co_u32 v24, vcc_lo, v24, v38
	v_add_co_ci_u32_e64 v36, null, v37, v39, vcc_lo
	v_dual_mov_b32 v39, v28 :: v_dual_mov_b32 v37, v28
	s_delay_alu instid0(VALU_DEP_2) | instskip(NEXT) | instid1(VALU_DEP_1)
	v_mov_b32_e32 v25, v36
	v_mul_u64_e32 v[34:35], v[34:35], v[24:25]
	s_delay_alu instid0(VALU_DEP_1) | instskip(NEXT) | instid1(VALU_DEP_2)
	v_dual_mov_b32 v25, v28 :: v_dual_mov_b32 v38, v35
	v_dual_mov_b32 v42, v34 :: v_dual_mov_b32 v35, v28
	v_mul_hi_u32 v34, v24, v34
	s_delay_alu instid0(VALU_DEP_3) | instskip(NEXT) | instid1(VALU_DEP_3)
	v_mul_u64_e32 v[40:41], v[24:25], v[38:39]
	v_mul_u64_e32 v[42:43], v[36:37], v[42:43]
	;; [unrolled: 1-line block ×3, first 2 shown]
	s_delay_alu instid0(VALU_DEP_3) | instskip(SKIP_2) | instid1(VALU_DEP_3)
	v_add_nc_u64_e32 v[34:35], v[34:35], v[40:41]
	v_dual_mov_b32 v41, v28 :: v_dual_mov_b32 v45, v44
	v_xor_b32_e32 v20, v44, v20
	v_add_co_u32 v15, vcc_lo, v34, v42
	s_delay_alu instid0(VALU_DEP_4) | instskip(SKIP_2) | instid1(VALU_DEP_2)
	v_add_co_ci_u32_e32 v40, vcc_lo, v35, v43, vcc_lo
	v_add_co_ci_u32_e32 v39, vcc_lo, 0, v39, vcc_lo
	v_add_nc_u64_e32 v[34:35], v[10:11], v[44:45]
	v_add_nc_u64_e32 v[38:39], v[40:41], v[38:39]
	s_delay_alu instid0(VALU_DEP_2) | instskip(NEXT) | instid1(VALU_DEP_2)
	v_xor_b32_e32 v40, v34, v44
	v_add_co_u32 v38, vcc_lo, v24, v38
	s_delay_alu instid0(VALU_DEP_1) | instskip(SKIP_1) | instid1(VALU_DEP_2)
	v_add_co_ci_u32_e64 v24, null, v36, v39, vcc_lo
	v_dual_mov_b32 v39, v28 :: v_dual_bitop2_b32 v36, v35, v44 bitop3:0x14
	v_mul_u64_e32 v[42:43], v[40:41], v[24:25]
	s_delay_alu instid0(VALU_DEP_2) | instskip(SKIP_2) | instid1(VALU_DEP_1)
	v_mul_u64_e32 v[34:35], v[36:37], v[38:39]
	v_mul_u64_e32 v[24:25], v[36:37], v[24:25]
	v_mul_hi_u32 v38, v40, v38
	v_add_nc_u64_e32 v[38:39], v[38:39], v[42:43]
	v_mov_b32_e32 v43, v28
	s_delay_alu instid0(VALU_DEP_2) | instskip(NEXT) | instid1(VALU_DEP_3)
	v_add_co_u32 v11, vcc_lo, v38, v34
	v_add_co_ci_u32_e32 v42, vcc_lo, v39, v35, vcc_lo
	v_add_co_ci_u32_e32 v25, vcc_lo, 0, v25, vcc_lo
	s_delay_alu instid0(VALU_DEP_1) | instskip(NEXT) | instid1(VALU_DEP_1)
	v_add_nc_u64_e32 v[24:25], v[42:43], v[24:25]
	v_mul_u64_e32 v[34:35], v[22:23], v[24:25]
	s_delay_alu instid0(VALU_DEP_1) | instskip(NEXT) | instid1(VALU_DEP_2)
	v_sub_nc_u32_e32 v11, v36, v35
	v_sub_co_u32 v15, vcc_lo, v40, v34
	s_delay_alu instid0(VALU_DEP_1) | instskip(NEXT) | instid1(VALU_DEP_3)
	v_sub_co_ci_u32_e64 v29, null, v36, v35, vcc_lo
	v_sub_co_ci_u32_e64 v11, null, v11, v23, vcc_lo
	s_delay_alu instid0(VALU_DEP_3) | instskip(SKIP_1) | instid1(VALU_DEP_3)
	v_sub_co_u32 v21, s0, v15, v22
	v_add_nc_u64_e32 v[36:37], 1, v[24:25]
	v_subrev_co_ci_u32_e64 v11, null, 0, v11, s0
	s_delay_alu instid0(VALU_DEP_3) | instskip(SKIP_1) | instid1(VALU_DEP_3)
	v_cmp_ge_u32_e32 vcc_lo, v21, v22
	v_cndmask_b32_e64 v21, 0, -1, vcc_lo
	v_cmp_ge_u32_e32 vcc_lo, v11, v23
	v_cndmask_b32_e64 v34, 0, -1, vcc_lo
	;; [unrolled: 2-line block ×4, first 2 shown]
	v_cmp_eq_u32_e32 vcc_lo, v11, v23
	v_cndmask_b32_e32 v11, v34, v21, vcc_lo
	v_cmp_eq_u32_e32 vcc_lo, v29, v23
	v_add_nc_u64_e32 v[34:35], 2, v[24:25]
	v_dual_mov_b32 v21, v20 :: v_dual_cndmask_b32 v15, v22, v15, vcc_lo
	s_delay_alu instid0(VALU_DEP_4) | instskip(NEXT) | instid1(VALU_DEP_2)
	v_cmp_ne_u32_e32 vcc_lo, 0, v11
	v_cmp_ne_u32_e64 s0, 0, v15
	s_delay_alu instid0(VALU_DEP_4) | instskip(NEXT) | instid1(VALU_DEP_1)
	v_dual_cndmask_b32 v11, v37, v35, vcc_lo :: v_dual_cndmask_b32 v15, v36, v34, vcc_lo
	v_cndmask_b32_e64 v15, v24, v15, s0
	s_delay_alu instid0(VALU_DEP_1) | instskip(NEXT) | instid1(VALU_DEP_1)
	v_dual_cndmask_b32 v11, v25, v11, s0 :: v_dual_bitop2_b32 v22, v15, v20 bitop3:0x14
	v_xor_b32_e32 v23, v11, v20
	s_delay_alu instid0(VALU_DEP_1)
	v_sub_nc_u64_e32 v[20:21], v[22:23], v[20:21]
.LBB113_49:                             ;   in Loop: Header=BB113_39 Depth=1
	s_and_not1_saveexec_b32 s0, s16
	s_cbranch_execz .LBB113_51
; %bb.50:                               ;   in Loop: Header=BB113_39 Depth=1
	v_cvt_f32_u32_e32 v11, v14
	v_dual_sub_nc_u32 v15, 0, v14 :: v_dual_mov_b32 v21, v28
	s_delay_alu instid0(VALU_DEP_2) | instskip(SKIP_1) | instid1(TRANS32_DEP_1)
	v_rcp_iflag_f32_e32 v11, v11
	v_nop
	v_mul_f32_e32 v11, 0x4f7ffffe, v11
	s_delay_alu instid0(VALU_DEP_1) | instskip(NEXT) | instid1(VALU_DEP_1)
	v_cvt_u32_f32_e32 v11, v11
	v_mul_lo_u32 v15, v15, v11
	s_delay_alu instid0(VALU_DEP_1) | instskip(NEXT) | instid1(VALU_DEP_1)
	v_mul_hi_u32 v15, v11, v15
	v_add_nc_u32_e32 v11, v11, v15
	s_delay_alu instid0(VALU_DEP_1) | instskip(NEXT) | instid1(VALU_DEP_1)
	v_mul_hi_u32 v11, v10, v11
	v_mul_lo_u32 v15, v11, v14
	s_delay_alu instid0(VALU_DEP_1) | instskip(NEXT) | instid1(VALU_DEP_1)
	v_sub_nc_u32_e32 v10, v10, v15
	v_dual_add_nc_u32 v15, 1, v11 :: v_dual_sub_nc_u32 v20, v10, v14
	v_cmp_ge_u32_e32 vcc_lo, v10, v14
	s_delay_alu instid0(VALU_DEP_2) | instskip(NEXT) | instid1(VALU_DEP_1)
	v_dual_cndmask_b32 v10, v10, v20 :: v_dual_cndmask_b32 v11, v11, v15
	v_cmp_ge_u32_e32 vcc_lo, v10, v14
	s_delay_alu instid0(VALU_DEP_2) | instskip(NEXT) | instid1(VALU_DEP_1)
	v_add_nc_u32_e32 v15, 1, v11
	v_cndmask_b32_e32 v20, v11, v15, vcc_lo
.LBB113_51:                             ;   in Loop: Header=BB113_39 Depth=1
	s_or_b32 exec_lo, exec_lo, s0
	v_or_b32_e32 v29, v13, v17
                                        ; implicit-def: $vgpr10_vgpr11
	s_mov_b32 s0, exec_lo
	s_delay_alu instid0(VALU_DEP_1)
	v_cmpx_ne_u64_e32 0, v[28:29]
	s_xor_b32 s16, exec_lo, s0
	s_cbranch_execz .LBB113_53
; %bb.52:                               ;   in Loop: Header=BB113_39 Depth=1
	v_dual_mov_b32 v37, v28 :: v_dual_ashrrev_i32 v10, 31, v17
	s_delay_alu instid0(VALU_DEP_1) | instskip(NEXT) | instid1(VALU_DEP_1)
	v_dual_mov_b32 v39, v28 :: v_dual_mov_b32 v11, v10
	v_add_nc_u64_e32 v[14:15], v[16:17], v[10:11]
	s_delay_alu instid0(VALU_DEP_1) | instskip(NEXT) | instid1(VALU_DEP_2)
	v_xor_b32_e32 v14, v14, v10
	v_xor_b32_e32 v15, v15, v10
	s_delay_alu instid0(VALU_DEP_2) | instskip(NEXT) | instid1(VALU_DEP_2)
	v_cvt_f32_u32_e32 v11, v14
	v_cvt_f32_u32_e32 v16, v15
	s_delay_alu instid0(VALU_DEP_1) | instskip(NEXT) | instid1(VALU_DEP_1)
	v_fmac_f32_e32 v11, 0x4f800000, v16
	v_rcp_f32_e32 v11, v11
	v_nop
	s_delay_alu instid0(TRANS32_DEP_1) | instskip(NEXT) | instid1(VALU_DEP_1)
	v_mul_f32_e32 v11, 0x5f7ffffc, v11
	v_mul_f32_e32 v16, 0x2f800000, v11
	s_delay_alu instid0(VALU_DEP_1) | instskip(NEXT) | instid1(VALU_DEP_1)
	v_trunc_f32_e32 v17, v16
	v_cvt_u32_f32_e32 v25, v17
	v_fmac_f32_e32 v11, 0xcf800000, v17
	s_delay_alu instid0(VALU_DEP_2) | instskip(NEXT) | instid1(VALU_DEP_2)
	v_dual_mov_b32 v17, v28 :: v_dual_mov_b32 v38, v25
	v_cvt_u32_f32_e32 v16, v11
	s_delay_alu instid0(VALU_DEP_1) | instskip(SKIP_1) | instid1(VALU_DEP_1)
	v_mov_b32_e32 v24, v16
	v_sub_nc_u64_e32 v[22:23], 0, v[14:15]
	v_mul_u64_e32 v[34:35], v[22:23], v[24:25]
	s_delay_alu instid0(VALU_DEP_1) | instskip(NEXT) | instid1(VALU_DEP_1)
	v_dual_mov_b32 v36, v35 :: v_dual_mov_b32 v35, v28
	v_mul_u64_e32 v[40:41], v[16:17], v[36:37]
	s_delay_alu instid0(VALU_DEP_2) | instskip(SKIP_2) | instid1(VALU_DEP_1)
	v_mul_u64_e32 v[42:43], v[38:39], v[34:35]
	v_mul_u64_e32 v[36:37], v[38:39], v[36:37]
	v_mul_hi_u32 v34, v16, v34
	v_add_nc_u64_e32 v[34:35], v[34:35], v[40:41]
	v_ashrrev_i32_e32 v40, 31, v13
	s_delay_alu instid0(VALU_DEP_2) | instskip(NEXT) | instid1(VALU_DEP_3)
	v_add_co_u32 v11, vcc_lo, v34, v42
	v_add_co_ci_u32_e32 v38, vcc_lo, v35, v43, vcc_lo
	v_add_co_ci_u32_e32 v37, vcc_lo, 0, v37, vcc_lo
	s_delay_alu instid0(VALU_DEP_1) | instskip(NEXT) | instid1(VALU_DEP_1)
	v_add_nc_u64_e32 v[34:35], v[38:39], v[36:37]
	v_add_co_u32 v16, vcc_lo, v16, v34
	s_delay_alu instid0(VALU_DEP_1) | instskip(SKIP_1) | instid1(VALU_DEP_2)
	v_add_co_ci_u32_e64 v24, null, v25, v35, vcc_lo
	v_dual_mov_b32 v35, v28 :: v_dual_mov_b32 v25, v28
	v_mov_b32_e32 v17, v24
	s_delay_alu instid0(VALU_DEP_1) | instskip(NEXT) | instid1(VALU_DEP_1)
	v_mul_u64_e32 v[22:23], v[22:23], v[16:17]
	v_dual_mov_b32 v17, v28 :: v_dual_mov_b32 v34, v23
	s_delay_alu instid0(VALU_DEP_2) | instskip(SKIP_1) | instid1(VALU_DEP_3)
	v_dual_mov_b32 v38, v22 :: v_dual_mov_b32 v23, v28
	v_mul_hi_u32 v22, v16, v22
	v_mul_u64_e32 v[36:37], v[16:17], v[34:35]
	s_delay_alu instid0(VALU_DEP_3) | instskip(SKIP_1) | instid1(VALU_DEP_3)
	v_mul_u64_e32 v[38:39], v[24:25], v[38:39]
	v_mul_u64_e32 v[34:35], v[24:25], v[34:35]
	v_add_nc_u64_e32 v[22:23], v[22:23], v[36:37]
	v_dual_mov_b32 v37, v28 :: v_dual_mov_b32 v41, v40
	v_xor_b32_e32 v10, v40, v10
	s_delay_alu instid0(VALU_DEP_3) | instskip(NEXT) | instid1(VALU_DEP_4)
	v_add_co_u32 v11, vcc_lo, v22, v38
	v_add_co_ci_u32_e32 v36, vcc_lo, v23, v39, vcc_lo
	v_add_co_ci_u32_e32 v35, vcc_lo, 0, v35, vcc_lo
	s_delay_alu instid0(VALU_DEP_1) | instskip(SKIP_2) | instid1(VALU_DEP_3)
	v_add_nc_u64_e32 v[22:23], v[36:37], v[34:35]
	v_mov_b32_e32 v35, v28
	v_add_nc_u64_e32 v[12:13], v[12:13], v[40:41]
	v_add_co_u32 v22, vcc_lo, v16, v22
	s_delay_alu instid0(VALU_DEP_2) | instskip(SKIP_1) | instid1(VALU_DEP_4)
	v_xor_b32_e32 v34, v12, v40
	v_add_co_ci_u32_e64 v16, null, v24, v23, vcc_lo
	v_dual_mov_b32 v23, v28 :: v_dual_bitop2_b32 v24, v13, v40 bitop3:0x14
	s_delay_alu instid0(VALU_DEP_2) | instskip(NEXT) | instid1(VALU_DEP_2)
	v_mul_u64_e32 v[36:37], v[34:35], v[16:17]
	v_mul_u64_e32 v[12:13], v[24:25], v[22:23]
	;; [unrolled: 1-line block ×3, first 2 shown]
	v_mul_hi_u32 v22, v34, v22
	s_delay_alu instid0(VALU_DEP_1) | instskip(SKIP_1) | instid1(VALU_DEP_2)
	v_add_nc_u64_e32 v[22:23], v[22:23], v[36:37]
	v_mov_b32_e32 v37, v28
	v_add_co_u32 v11, vcc_lo, v22, v12
	s_delay_alu instid0(VALU_DEP_3) | instskip(SKIP_1) | instid1(VALU_DEP_1)
	v_add_co_ci_u32_e32 v36, vcc_lo, v23, v13, vcc_lo
	v_add_co_ci_u32_e32 v17, vcc_lo, 0, v17, vcc_lo
	v_add_nc_u64_e32 v[12:13], v[36:37], v[16:17]
	s_delay_alu instid0(VALU_DEP_1) | instskip(NEXT) | instid1(VALU_DEP_1)
	v_mul_u64_e32 v[16:17], v[14:15], v[12:13]
	v_sub_nc_u32_e32 v11, v24, v17
	s_delay_alu instid0(VALU_DEP_2) | instskip(NEXT) | instid1(VALU_DEP_1)
	v_sub_co_u32 v16, vcc_lo, v34, v16
	v_sub_co_ci_u32_e64 v24, null, v24, v17, vcc_lo
	s_delay_alu instid0(VALU_DEP_3) | instskip(NEXT) | instid1(VALU_DEP_3)
	v_sub_co_ci_u32_e64 v11, null, v11, v15, vcc_lo
	v_sub_co_u32 v22, s0, v16, v14
	s_delay_alu instid0(VALU_DEP_1) | instskip(NEXT) | instid1(VALU_DEP_2)
	v_subrev_co_ci_u32_e64 v11, null, 0, v11, s0
	v_cmp_ge_u32_e32 vcc_lo, v22, v14
	v_cndmask_b32_e64 v17, 0, -1, vcc_lo
	s_delay_alu instid0(VALU_DEP_3)
	v_cmp_ge_u32_e32 vcc_lo, v11, v15
	v_cndmask_b32_e64 v22, 0, -1, vcc_lo
	v_cmp_ge_u32_e32 vcc_lo, v16, v14
	v_cndmask_b32_e64 v14, 0, -1, vcc_lo
	;; [unrolled: 2-line block ×3, first 2 shown]
	v_cmp_eq_u32_e32 vcc_lo, v11, v15
	v_cndmask_b32_e32 v11, v22, v17, vcc_lo
	v_cmp_eq_u32_e32 vcc_lo, v24, v15
	v_add_nc_u64_e32 v[16:17], 2, v[12:13]
	v_add_nc_u64_e32 v[22:23], 1, v[12:13]
	v_cndmask_b32_e32 v14, v25, v14, vcc_lo
	v_cmp_ne_u32_e32 vcc_lo, 0, v11
	s_delay_alu instid0(VALU_DEP_2) | instskip(NEXT) | instid1(VALU_DEP_4)
	v_cmp_ne_u32_e64 s0, 0, v14
	v_dual_cndmask_b32 v11, v23, v17 :: v_dual_cndmask_b32 v14, v22, v16
                                        ; implicit-def: $vgpr16_vgpr17
	s_delay_alu instid0(VALU_DEP_1) | instskip(NEXT) | instid1(VALU_DEP_1)
	v_dual_cndmask_b32 v13, v13, v11, s0 :: v_dual_cndmask_b32 v12, v12, v14, s0
	v_dual_mov_b32 v11, v10 :: v_dual_bitop2_b32 v13, v13, v10 bitop3:0x14
	s_delay_alu instid0(VALU_DEP_2) | instskip(NEXT) | instid1(VALU_DEP_1)
	v_xor_b32_e32 v12, v12, v10
	v_sub_nc_u64_e32 v[10:11], v[12:13], v[10:11]
                                        ; implicit-def: $vgpr12_vgpr13
.LBB113_53:                             ;   in Loop: Header=BB113_39 Depth=1
	s_and_not1_saveexec_b32 s0, s16
	s_cbranch_execz .LBB113_38
; %bb.54:                               ;   in Loop: Header=BB113_39 Depth=1
	v_cvt_f32_u32_e32 v10, v16
	v_sub_nc_u32_e32 v11, 0, v16
	s_delay_alu instid0(VALU_DEP_2) | instskip(SKIP_1) | instid1(TRANS32_DEP_1)
	v_rcp_iflag_f32_e32 v10, v10
	v_nop
	v_mul_f32_e32 v10, 0x4f7ffffe, v10
	s_delay_alu instid0(VALU_DEP_1) | instskip(NEXT) | instid1(VALU_DEP_1)
	v_cvt_u32_f32_e32 v10, v10
	v_mul_lo_u32 v11, v11, v10
	s_delay_alu instid0(VALU_DEP_1) | instskip(NEXT) | instid1(VALU_DEP_1)
	v_mul_hi_u32 v11, v10, v11
	v_add_nc_u32_e32 v10, v10, v11
	s_delay_alu instid0(VALU_DEP_1) | instskip(NEXT) | instid1(VALU_DEP_1)
	v_mul_hi_u32 v10, v12, v10
	v_mul_lo_u32 v11, v10, v16
	s_delay_alu instid0(VALU_DEP_1) | instskip(NEXT) | instid1(VALU_DEP_1)
	v_dual_sub_nc_u32 v11, v12, v11 :: v_dual_add_nc_u32 v12, 1, v10
	v_sub_nc_u32_e32 v13, v11, v16
	v_cmp_ge_u32_e32 vcc_lo, v11, v16
	s_delay_alu instid0(VALU_DEP_2) | instskip(NEXT) | instid1(VALU_DEP_1)
	v_dual_cndmask_b32 v11, v11, v13 :: v_dual_cndmask_b32 v10, v10, v12
	v_cmp_ge_u32_e32 vcc_lo, v11, v16
	s_delay_alu instid0(VALU_DEP_2) | instskip(NEXT) | instid1(VALU_DEP_1)
	v_dual_mov_b32 v11, v28 :: v_dual_add_nc_u32 v12, 1, v10
	v_cndmask_b32_e32 v10, v10, v12, vcc_lo
	s_branch .LBB113_38
.LBB113_55:
	s_sendmsg sendmsg(MSG_DEALLOC_VGPRS)
	s_endpgm
	.section	.rodata,"a",@progbits
	.p2align	6, 0x0
	.amdhsa_kernel _ZN2at6native12_GLOBAL__N_125multi_tensor_apply_kernelINS1_28TensorListScalarListMetadataIlLi4EEENS1_28PointwiseOpScalarListFunctorIlLi4ELi3ELi3EEEJSt7dividesIlEEEEvT_T0_DpT1_
		.amdhsa_group_segment_fixed_size 0
		.amdhsa_private_segment_fixed_size 0
		.amdhsa_kernarg_size 3592
		.amdhsa_user_sgpr_count 2
		.amdhsa_user_sgpr_dispatch_ptr 0
		.amdhsa_user_sgpr_queue_ptr 0
		.amdhsa_user_sgpr_kernarg_segment_ptr 1
		.amdhsa_user_sgpr_dispatch_id 0
		.amdhsa_user_sgpr_kernarg_preload_length 0
		.amdhsa_user_sgpr_kernarg_preload_offset 0
		.amdhsa_user_sgpr_private_segment_size 0
		.amdhsa_wavefront_size32 1
		.amdhsa_uses_dynamic_stack 0
		.amdhsa_enable_private_segment 0
		.amdhsa_system_sgpr_workgroup_id_x 1
		.amdhsa_system_sgpr_workgroup_id_y 0
		.amdhsa_system_sgpr_workgroup_id_z 0
		.amdhsa_system_sgpr_workgroup_info 0
		.amdhsa_system_vgpr_workitem_id 0
		.amdhsa_next_free_vgpr 88
		.amdhsa_next_free_sgpr 36
		.amdhsa_named_barrier_count 0
		.amdhsa_reserve_vcc 1
		.amdhsa_float_round_mode_32 0
		.amdhsa_float_round_mode_16_64 0
		.amdhsa_float_denorm_mode_32 3
		.amdhsa_float_denorm_mode_16_64 3
		.amdhsa_fp16_overflow 0
		.amdhsa_memory_ordered 1
		.amdhsa_forward_progress 1
		.amdhsa_inst_pref_size 66
		.amdhsa_round_robin_scheduling 0
		.amdhsa_exception_fp_ieee_invalid_op 0
		.amdhsa_exception_fp_denorm_src 0
		.amdhsa_exception_fp_ieee_div_zero 0
		.amdhsa_exception_fp_ieee_overflow 0
		.amdhsa_exception_fp_ieee_underflow 0
		.amdhsa_exception_fp_ieee_inexact 0
		.amdhsa_exception_int_div_zero 0
	.end_amdhsa_kernel
	.section	.text._ZN2at6native12_GLOBAL__N_125multi_tensor_apply_kernelINS1_28TensorListScalarListMetadataIlLi4EEENS1_28PointwiseOpScalarListFunctorIlLi4ELi3ELi3EEEJSt7dividesIlEEEEvT_T0_DpT1_,"axG",@progbits,_ZN2at6native12_GLOBAL__N_125multi_tensor_apply_kernelINS1_28TensorListScalarListMetadataIlLi4EEENS1_28PointwiseOpScalarListFunctorIlLi4ELi3ELi3EEEJSt7dividesIlEEEEvT_T0_DpT1_,comdat
.Lfunc_end113:
	.size	_ZN2at6native12_GLOBAL__N_125multi_tensor_apply_kernelINS1_28TensorListScalarListMetadataIlLi4EEENS1_28PointwiseOpScalarListFunctorIlLi4ELi3ELi3EEEJSt7dividesIlEEEEvT_T0_DpT1_, .Lfunc_end113-_ZN2at6native12_GLOBAL__N_125multi_tensor_apply_kernelINS1_28TensorListScalarListMetadataIlLi4EEENS1_28PointwiseOpScalarListFunctorIlLi4ELi3ELi3EEEJSt7dividesIlEEEEvT_T0_DpT1_
                                        ; -- End function
	.set _ZN2at6native12_GLOBAL__N_125multi_tensor_apply_kernelINS1_28TensorListScalarListMetadataIlLi4EEENS1_28PointwiseOpScalarListFunctorIlLi4ELi3ELi3EEEJSt7dividesIlEEEEvT_T0_DpT1_.num_vgpr, 88
	.set _ZN2at6native12_GLOBAL__N_125multi_tensor_apply_kernelINS1_28TensorListScalarListMetadataIlLi4EEENS1_28PointwiseOpScalarListFunctorIlLi4ELi3ELi3EEEJSt7dividesIlEEEEvT_T0_DpT1_.num_agpr, 0
	.set _ZN2at6native12_GLOBAL__N_125multi_tensor_apply_kernelINS1_28TensorListScalarListMetadataIlLi4EEENS1_28PointwiseOpScalarListFunctorIlLi4ELi3ELi3EEEJSt7dividesIlEEEEvT_T0_DpT1_.numbered_sgpr, 36
	.set _ZN2at6native12_GLOBAL__N_125multi_tensor_apply_kernelINS1_28TensorListScalarListMetadataIlLi4EEENS1_28PointwiseOpScalarListFunctorIlLi4ELi3ELi3EEEJSt7dividesIlEEEEvT_T0_DpT1_.num_named_barrier, 0
	.set _ZN2at6native12_GLOBAL__N_125multi_tensor_apply_kernelINS1_28TensorListScalarListMetadataIlLi4EEENS1_28PointwiseOpScalarListFunctorIlLi4ELi3ELi3EEEJSt7dividesIlEEEEvT_T0_DpT1_.private_seg_size, 0
	.set _ZN2at6native12_GLOBAL__N_125multi_tensor_apply_kernelINS1_28TensorListScalarListMetadataIlLi4EEENS1_28PointwiseOpScalarListFunctorIlLi4ELi3ELi3EEEJSt7dividesIlEEEEvT_T0_DpT1_.uses_vcc, 1
	.set _ZN2at6native12_GLOBAL__N_125multi_tensor_apply_kernelINS1_28TensorListScalarListMetadataIlLi4EEENS1_28PointwiseOpScalarListFunctorIlLi4ELi3ELi3EEEJSt7dividesIlEEEEvT_T0_DpT1_.uses_flat_scratch, 0
	.set _ZN2at6native12_GLOBAL__N_125multi_tensor_apply_kernelINS1_28TensorListScalarListMetadataIlLi4EEENS1_28PointwiseOpScalarListFunctorIlLi4ELi3ELi3EEEJSt7dividesIlEEEEvT_T0_DpT1_.has_dyn_sized_stack, 0
	.set _ZN2at6native12_GLOBAL__N_125multi_tensor_apply_kernelINS1_28TensorListScalarListMetadataIlLi4EEENS1_28PointwiseOpScalarListFunctorIlLi4ELi3ELi3EEEJSt7dividesIlEEEEvT_T0_DpT1_.has_recursion, 0
	.set _ZN2at6native12_GLOBAL__N_125multi_tensor_apply_kernelINS1_28TensorListScalarListMetadataIlLi4EEENS1_28PointwiseOpScalarListFunctorIlLi4ELi3ELi3EEEJSt7dividesIlEEEEvT_T0_DpT1_.has_indirect_call, 0
	.section	.AMDGPU.csdata,"",@progbits
; Kernel info:
; codeLenInByte = 8332
; TotalNumSgprs: 38
; NumVgprs: 88
; ScratchSize: 0
; MemoryBound: 1
; FloatMode: 240
; IeeeMode: 1
; LDSByteSize: 0 bytes/workgroup (compile time only)
; SGPRBlocks: 0
; VGPRBlocks: 5
; NumSGPRsForWavesPerEU: 38
; NumVGPRsForWavesPerEU: 88
; NamedBarCnt: 0
; Occupancy: 10
; WaveLimiterHint : 1
; COMPUTE_PGM_RSRC2:SCRATCH_EN: 0
; COMPUTE_PGM_RSRC2:USER_SGPR: 2
; COMPUTE_PGM_RSRC2:TRAP_HANDLER: 0
; COMPUTE_PGM_RSRC2:TGID_X_EN: 1
; COMPUTE_PGM_RSRC2:TGID_Y_EN: 0
; COMPUTE_PGM_RSRC2:TGID_Z_EN: 0
; COMPUTE_PGM_RSRC2:TIDIG_COMP_CNT: 0
	.section	.text._ZN2at6native12_GLOBAL__N_125multi_tensor_apply_kernelINS1_28TensorListScalarListMetadataIsLi4EEENS1_28PointwiseOpScalarListFunctorIsLi4ELi3ELi3EEEJSt7dividesIsEEEEvT_T0_DpT1_,"axG",@progbits,_ZN2at6native12_GLOBAL__N_125multi_tensor_apply_kernelINS1_28TensorListScalarListMetadataIsLi4EEENS1_28PointwiseOpScalarListFunctorIsLi4ELi3ELi3EEEJSt7dividesIsEEEEvT_T0_DpT1_,comdat
	.globl	_ZN2at6native12_GLOBAL__N_125multi_tensor_apply_kernelINS1_28TensorListScalarListMetadataIsLi4EEENS1_28PointwiseOpScalarListFunctorIsLi4ELi3ELi3EEEJSt7dividesIsEEEEvT_T0_DpT1_ ; -- Begin function _ZN2at6native12_GLOBAL__N_125multi_tensor_apply_kernelINS1_28TensorListScalarListMetadataIsLi4EEENS1_28PointwiseOpScalarListFunctorIsLi4ELi3ELi3EEEJSt7dividesIsEEEEvT_T0_DpT1_
	.p2align	8
	.type	_ZN2at6native12_GLOBAL__N_125multi_tensor_apply_kernelINS1_28TensorListScalarListMetadataIsLi4EEENS1_28PointwiseOpScalarListFunctorIsLi4ELi3ELi3EEEJSt7dividesIsEEEEvT_T0_DpT1_,@function
_ZN2at6native12_GLOBAL__N_125multi_tensor_apply_kernelINS1_28TensorListScalarListMetadataIsLi4EEENS1_28PointwiseOpScalarListFunctorIsLi4ELi3ELi3EEEJSt7dividesIsEEEEvT_T0_DpT1_: ; @_ZN2at6native12_GLOBAL__N_125multi_tensor_apply_kernelINS1_28TensorListScalarListMetadataIsLi4EEENS1_28PointwiseOpScalarListFunctorIsLi4ELi3ELi3EEEJSt7dividesIsEEEEvT_T0_DpT1_
; %bb.0:
	s_bfe_u32 s2, ttmp6, 0x4000c
	s_and_b32 s3, ttmp6, 15
	s_add_co_i32 s2, s2, 1
	s_getreg_b32 s4, hwreg(HW_REG_IB_STS2, 6, 4)
	s_mul_i32 s2, ttmp9, s2
	v_mov_b32_e32 v3, 0
	s_add_co_i32 s3, s3, s2
	s_cmp_eq_u32 s4, 0
	s_cselect_b32 s2, ttmp9, s3
	s_mov_b32 s3, 0
	v_mov_b32_e32 v1, s2
	s_add_nc_u64 s[4:5], s[0:1], s[2:3]
	global_load_u8 v1, v1, s[0:1] offset:1512
	s_wait_loadcnt 0x0
	v_readfirstlane_b32 s6, v1
	s_delay_alu instid0(VALU_DEP_1)
	v_mov_b32_e32 v2, s6
	s_and_b32 s16, s6, 0xff
	s_mul_u64 s[6:7], s[2:3], 3
	s_lshl_b32 s2, s16, 3
	s_add_nc_u64 s[4:5], s[4:5], s[6:7]
	v_and_b32_e32 v2, 0xff, v2
	s_add_nc_u64 s[8:9], s[0:1], s[2:3]
	s_delay_alu instid0(VALU_DEP_1) | instskip(NEXT) | instid1(VALU_DEP_1)
	v_mul_u64_e32 v[2:3], -6, v[2:3]
	v_add_nc_u64_e32 v[2:3], s[8:9], v[2:3]
	global_load_u16 v44, v[2:3], off offset:1440
	s_clause 0x5
	s_load_b32 s6, s[4:5], 0x728
	s_load_b64 s[8:9], s[0:1], s16 offset:0x120 scale_offset
	s_load_b64 s[10:11], s[0:1], s16 offset:0x0 scale_offset
	;; [unrolled: 1-line block ×5, first 2 shown]
	s_wait_kmcnt 0x0
	s_ashr_i32 s7, s6, 31
	s_delay_alu instid0(SALU_CYCLE_1) | instskip(NEXT) | instid1(SALU_CYCLE_1)
	s_lshl_b64 s[16:17], s[6:7], 17
	s_add_nc_u64 s[4:5], s[8:9], s[16:17]
	s_add_nc_u64 s[20:21], s[12:13], s[16:17]
	s_and_b32 s2, s4, 7
	s_and_b64 s[4:5], s[10:11], 7
	s_cmp_eq_u64 s[2:3], 0
	s_cselect_b32 s21, -1, 0
	s_or_b32 s2, s14, s20
	s_delay_alu instid0(SALU_CYCLE_1) | instskip(NEXT) | instid1(SALU_CYCLE_1)
	s_and_b32 s2, s2, 7
	s_cmp_eq_u32 s2, 0
	s_cselect_b32 s20, -1, 0
	s_and_b32 s2, s18, 3
	s_and_b32 s20, s20, s21
	s_or_b64 s[2:3], s[4:5], s[2:3]
	s_lshl_b64 s[4:5], s[6:7], 16
	s_cmp_eq_u64 s[2:3], 0
	s_sub_nc_u64 s[18:19], s[18:19], s[4:5]
	s_cselect_b32 s2, -1, 0
	s_delay_alu instid0(SALU_CYCLE_1) | instskip(NEXT) | instid1(SALU_CYCLE_1)
	s_and_b32 s2, s20, s2
	s_and_b32 vcc_lo, exec_lo, s2
	s_mov_b32 s2, -1
	s_cbranch_vccnz .LBB114_45
; %bb.1:
	v_cmp_lt_i64_e64 s2, s[18:19], 1
	s_and_b32 vcc_lo, exec_lo, s2
	s_cbranch_vccnz .LBB114_44
; %bb.2:
	s_load_b32 s2, s[0:1], 0xc3c
	v_min_i64 v[2:3], 0x10000, s[18:19]
	v_min_u64 v[4:5], 0x10000, s[18:19]
	v_dual_mov_b32 v1, 0 :: v_dual_lshlrev_b32 v14, 1, v0
	s_mov_b32 s23, 0
	s_wait_loadcnt 0x0
	v_and_b32_e32 v45, 0xffff, v44
	s_mov_b32 s21, s23
	v_dual_mov_b32 v15, v1 :: v_dual_mov_b32 v43, v1
	s_mov_b32 s3, s23
	s_mov_b32 s5, s23
	s_mov_b64 s[24:25], 0
	s_delay_alu instid0(VALU_DEP_1) | instskip(SKIP_4) | instid1(SALU_CYCLE_1)
	v_add_nc_u64_e32 v[6:7], s[10:11], v[14:15]
	v_add_nc_u64_e32 v[8:9], s[8:9], v[14:15]
	;; [unrolled: 1-line block ×3, first 2 shown]
	s_wait_kmcnt 0x0
	s_and_b32 s22, s2, 0xffff
	v_add_nc_u64_e32 v[12:13], s[22:23], v[0:1]
	v_mad_nc_u64_u32 v[34:35], s22, 6, v[14:15]
	s_lshl_b32 s20, s22, 2
	s_mul_i32 s4, s22, 3
	v_add_nc_u64_e32 v[26:27], s[20:21], v[14:15]
	s_lshl_b32 s2, s22, 1
	v_add_nc_u64_e32 v[14:15], s[14:15], v[14:15]
	v_lshlrev_b32_e32 v42, 1, v12
	v_add_nc_u64_e32 v[16:17], s[4:5], v[0:1]
	v_add_nc_u64_e32 v[18:19], s[2:3], v[0:1]
	v_cmp_ne_u32_e64 s2, 1, v45
	v_add_nc_u64_e32 v[20:21], s[10:11], v[26:27]
	v_add_nc_u64_e32 v[22:23], s[8:9], v[26:27]
	v_add_nc_u64_e32 v[24:25], s[12:13], v[26:27]
	v_add_nc_u64_e32 v[26:27], s[14:15], v[26:27]
	v_add_nc_u64_e32 v[28:29], s[10:11], v[34:35]
	v_add_nc_u64_e32 v[30:31], s[8:9], v[34:35]
	v_add_nc_u64_e32 v[32:33], s[12:13], v[34:35]
	v_add_nc_u64_e32 v[34:35], s[14:15], v[34:35]
	v_add_nc_u64_e32 v[36:37], s[10:11], v[42:43]
	v_add_nc_u64_e32 v[38:39], s[8:9], v[42:43]
	v_add_nc_u64_e32 v[40:41], s[12:13], v[42:43]
	v_add_nc_u64_e32 v[42:43], s[14:15], v[42:43]
	s_lshl_b32 s22, s22, 3
	s_branch .LBB114_4
.LBB114_3:                              ;   in Loop: Header=BB114_4 Depth=1
	s_wait_xcnt 0x0
	s_or_b32 exec_lo, exec_lo, s3
	s_add_nc_u64 s[24:25], s[24:25], s[20:21]
	v_add_nc_u64_e32 v[6:7], s[22:23], v[6:7]
	v_cmp_ge_i64_e32 vcc_lo, s[24:25], v[2:3]
	v_add_nc_u64_e32 v[8:9], s[22:23], v[8:9]
	v_add_nc_u64_e32 v[10:11], s[22:23], v[10:11]
	;; [unrolled: 1-line block ×15, first 2 shown]
	s_cbranch_vccnz .LBB114_44
.LBB114_4:                              ; =>This Inner Loop Header: Depth=1
	v_add_nc_u64_e32 v[46:47], s[24:25], v[0:1]
	v_dual_mov_b32 v53, 0 :: v_dual_mov_b32 v56, 0
	v_mov_b32_e32 v48, 0
	s_delay_alu instid0(VALU_DEP_3)
	v_cmp_lt_u64_e64 s3, v[46:47], v[4:5]
	s_and_saveexec_b32 s4, s3
	s_cbranch_execz .LBB114_6
; %bb.5:                                ;   in Loop: Header=BB114_4 Depth=1
	v_add_nc_u64_e32 v[46:47], s[16:17], v[6:7]
	v_add_nc_u64_e32 v[50:51], s[16:17], v[8:9]
	global_load_u16 v48, v[46:47], off
	global_load_i16 v56, v[50:51], off
.LBB114_6:                              ;   in Loop: Header=BB114_4 Depth=1
	s_wait_xcnt 0x0
	s_or_b32 exec_lo, exec_lo, s4
	s_and_saveexec_b32 s4, s3
	s_cbranch_execz .LBB114_8
; %bb.7:                                ;   in Loop: Header=BB114_4 Depth=1
	v_add_nc_u64_e32 v[46:47], s[16:17], v[10:11]
	global_load_i16 v53, v[46:47], off
.LBB114_8:                              ;   in Loop: Header=BB114_4 Depth=1
	s_wait_xcnt 0x0
	s_or_b32 exec_lo, exec_lo, s4
	v_add_nc_u64_e32 v[46:47], s[24:25], v[12:13]
	v_dual_mov_b32 v55, 0 :: v_dual_mov_b32 v54, 0
	s_delay_alu instid0(VALU_DEP_2)
	v_cmp_lt_u64_e64 s4, v[46:47], v[4:5]
	v_mov_b32_e32 v47, 0
	s_and_saveexec_b32 s5, s4
	s_cbranch_execz .LBB114_10
; %bb.9:                                ;   in Loop: Header=BB114_4 Depth=1
	v_add_nc_u64_e32 v[50:51], s[16:17], v[36:37]
	v_add_nc_u64_e32 v[58:59], s[16:17], v[38:39]
	global_load_u16 v47, v[50:51], off
	global_load_i16 v55, v[58:59], off
.LBB114_10:                             ;   in Loop: Header=BB114_4 Depth=1
	s_wait_xcnt 0x0
	s_or_b32 exec_lo, exec_lo, s5
	s_and_saveexec_b32 s5, s4
	s_cbranch_execz .LBB114_12
; %bb.11:                               ;   in Loop: Header=BB114_4 Depth=1
	v_add_nc_u64_e32 v[50:51], s[16:17], v[40:41]
	global_load_i16 v54, v[50:51], off
.LBB114_12:                             ;   in Loop: Header=BB114_4 Depth=1
	s_wait_xcnt 0x0
	s_or_b32 exec_lo, exec_lo, s5
	v_add_nc_u64_e32 v[50:51], s[24:25], v[18:19]
	v_dual_mov_b32 v46, 0 :: v_dual_mov_b32 v52, 0
	s_delay_alu instid0(VALU_DEP_2)
	v_cmp_lt_u64_e64 s5, v[50:51], v[4:5]
	v_mov_b32_e32 v51, 0
	s_and_saveexec_b32 s6, s5
	s_cbranch_execz .LBB114_14
; %bb.13:                               ;   in Loop: Header=BB114_4 Depth=1
	v_add_nc_u64_e32 v[58:59], s[16:17], v[20:21]
	v_add_nc_u64_e32 v[60:61], s[16:17], v[22:23]
	global_load_u16 v46, v[58:59], off
	global_load_i16 v52, v[60:61], off
.LBB114_14:                             ;   in Loop: Header=BB114_4 Depth=1
	s_wait_xcnt 0x0
	s_or_b32 exec_lo, exec_lo, s6
	s_and_saveexec_b32 s6, s5
	s_cbranch_execz .LBB114_16
; %bb.15:                               ;   in Loop: Header=BB114_4 Depth=1
	v_add_nc_u64_e32 v[50:51], s[16:17], v[24:25]
	global_load_i16 v51, v[50:51], off
.LBB114_16:                             ;   in Loop: Header=BB114_4 Depth=1
	s_wait_xcnt 0x0
	s_or_b32 exec_lo, exec_lo, s6
	v_add_nc_u64_e32 v[58:59], s[24:25], v[16:17]
	v_dual_mov_b32 v45, 0 :: v_dual_mov_b32 v49, 0
	v_mov_b32_e32 v50, 0
	s_delay_alu instid0(VALU_DEP_3)
	v_cmp_lt_u64_e64 s6, v[58:59], v[4:5]
	s_and_saveexec_b32 s7, s6
	s_cbranch_execz .LBB114_18
; %bb.17:                               ;   in Loop: Header=BB114_4 Depth=1
	v_add_nc_u64_e32 v[58:59], s[16:17], v[28:29]
	v_add_nc_u64_e32 v[60:61], s[16:17], v[30:31]
	global_load_u16 v45, v[58:59], off
	global_load_i16 v50, v[60:61], off
.LBB114_18:                             ;   in Loop: Header=BB114_4 Depth=1
	s_wait_xcnt 0x0
	s_or_b32 exec_lo, exec_lo, s7
	s_and_saveexec_b32 s7, s6
	s_cbranch_execz .LBB114_20
; %bb.19:                               ;   in Loop: Header=BB114_4 Depth=1
	v_add_nc_u64_e32 v[58:59], s[16:17], v[32:33]
	global_load_i16 v49, v[58:59], off
.LBB114_20:                             ;   in Loop: Header=BB114_4 Depth=1
	s_wait_xcnt 0x0
	s_or_b32 exec_lo, exec_lo, s7
	s_wait_loadcnt 0x0
	v_cvt_f32_i32_e32 v57, v53
	v_cvt_f32_i32_e32 v59, v56
	s_mov_b32 s7, -1
	v_xor_b32_e32 v53, v56, v53
	s_delay_alu instid0(VALU_DEP_3) | instskip(SKIP_1) | instid1(TRANS32_DEP_1)
	v_rcp_iflag_f32_e32 v58, v57
	v_nop
	v_dual_mul_f32 v58, v59, v58 :: v_dual_ashrrev_i32 v53, 30, v53
	s_delay_alu instid0(VALU_DEP_1) | instskip(NEXT) | instid1(VALU_DEP_2)
	v_or_b32_e32 v53, 1, v53
	v_trunc_f32_e32 v56, v58
	s_delay_alu instid0(VALU_DEP_1) | instskip(SKIP_1) | instid1(VALU_DEP_2)
	v_fma_f32 v58, -v56, v57, v59
	v_cvt_i32_f32_e32 v56, v56
	v_cmp_ge_f32_e64 vcc_lo, |v58|, |v57|
	v_cndmask_b32_e32 v53, 0, v53, vcc_lo
	s_and_b32 vcc_lo, exec_lo, s2
	s_delay_alu instid0(VALU_DEP_1)
	v_add_nc_u32_e32 v56, v56, v53
                                        ; implicit-def: $vgpr53
	s_cbranch_vccz .LBB114_22
; %bb.21:                               ;   in Loop: Header=BB114_4 Depth=1
	s_delay_alu instid0(VALU_DEP_1)
	v_mad_u16 v53, v44, v56, v48
	s_mov_b32 s7, 0
.LBB114_22:                             ;   in Loop: Header=BB114_4 Depth=1
	s_delay_alu instid0(SALU_CYCLE_1)
	s_and_not1_b32 vcc_lo, exec_lo, s7
	s_cbranch_vccnz .LBB114_24
; %bb.23:                               ;   in Loop: Header=BB114_4 Depth=1
	s_delay_alu instid0(VALU_DEP_1)
	v_add_nc_u16 v53, v48, v56
.LBB114_24:                             ;   in Loop: Header=BB114_4 Depth=1
	v_cvt_f32_i32_e32 v48, v54
	v_cvt_f32_i32_e32 v57, v55
	s_mov_b32 s7, -1
	v_xor_b32_e32 v54, v55, v54
	s_delay_alu instid0(VALU_DEP_3) | instskip(SKIP_1) | instid1(TRANS32_DEP_1)
	v_rcp_iflag_f32_e32 v56, v48
	v_nop
	v_mul_f32_e32 v56, v57, v56
	s_delay_alu instid0(VALU_DEP_1) | instskip(NEXT) | instid1(VALU_DEP_1)
	v_trunc_f32_e32 v55, v56
	v_dual_ashrrev_i32 v54, 30, v54 :: v_dual_fma_f32 v56, -v55, v48, v57
	s_delay_alu instid0(VALU_DEP_1) | instskip(SKIP_1) | instid1(VALU_DEP_3)
	v_or_b32_e32 v54, 1, v54
	v_cvt_i32_f32_e32 v55, v55
	v_cmp_ge_f32_e64 vcc_lo, |v56|, |v48|
	s_delay_alu instid0(VALU_DEP_3) | instskip(SKIP_1) | instid1(VALU_DEP_1)
	v_cndmask_b32_e32 v48, 0, v54, vcc_lo
	s_and_not1_b32 vcc_lo, exec_lo, s2
	v_add_nc_u32_e32 v54, v55, v48
                                        ; implicit-def: $vgpr48
	s_cbranch_vccnz .LBB114_26
; %bb.25:                               ;   in Loop: Header=BB114_4 Depth=1
	s_delay_alu instid0(VALU_DEP_1)
	v_mad_u16 v48, v44, v54, v47
	s_mov_b32 s7, 0
.LBB114_26:                             ;   in Loop: Header=BB114_4 Depth=1
	s_delay_alu instid0(SALU_CYCLE_1)
	s_and_not1_b32 vcc_lo, exec_lo, s7
	s_cbranch_vccnz .LBB114_28
; %bb.27:                               ;   in Loop: Header=BB114_4 Depth=1
	s_delay_alu instid0(VALU_DEP_1)
	v_add_nc_u16 v48, v47, v54
.LBB114_28:                             ;   in Loop: Header=BB114_4 Depth=1
	v_cvt_f32_i32_e32 v47, v51
	v_cvt_f32_i32_e32 v55, v52
	s_mov_b32 s7, -1
	v_xor_b32_e32 v51, v52, v51
	s_delay_alu instid0(VALU_DEP_3) | instskip(SKIP_1) | instid1(TRANS32_DEP_1)
	v_rcp_iflag_f32_e32 v54, v47
	v_nop
	v_dual_mul_f32 v54, v55, v54 :: v_dual_ashrrev_i32 v51, 30, v51
	s_delay_alu instid0(VALU_DEP_1) | instskip(NEXT) | instid1(VALU_DEP_2)
	v_or_b32_e32 v51, 1, v51
	v_trunc_f32_e32 v52, v54
	s_delay_alu instid0(VALU_DEP_1) | instskip(SKIP_1) | instid1(VALU_DEP_2)
	v_fma_f32 v54, -v52, v47, v55
	v_cvt_i32_f32_e32 v52, v52
	v_cmp_ge_f32_e64 vcc_lo, |v54|, |v47|
	v_cndmask_b32_e32 v47, 0, v51, vcc_lo
	s_and_not1_b32 vcc_lo, exec_lo, s2
	s_delay_alu instid0(VALU_DEP_1)
	v_add_nc_u32_e32 v51, v52, v47
                                        ; implicit-def: $vgpr47
	s_cbranch_vccnz .LBB114_30
; %bb.29:                               ;   in Loop: Header=BB114_4 Depth=1
	s_delay_alu instid0(VALU_DEP_1)
	v_mad_u16 v47, v44, v51, v46
	s_mov_b32 s7, 0
.LBB114_30:                             ;   in Loop: Header=BB114_4 Depth=1
	s_delay_alu instid0(SALU_CYCLE_1)
	s_and_not1_b32 vcc_lo, exec_lo, s7
	s_cbranch_vccnz .LBB114_32
; %bb.31:                               ;   in Loop: Header=BB114_4 Depth=1
	s_delay_alu instid0(VALU_DEP_1)
	v_add_nc_u16 v47, v46, v51
.LBB114_32:                             ;   in Loop: Header=BB114_4 Depth=1
	v_cvt_f32_i32_e32 v46, v49
	v_cvt_f32_i32_e32 v52, v50
	s_mov_b32 s7, -1
	v_xor_b32_e32 v49, v50, v49
	s_delay_alu instid0(VALU_DEP_3) | instskip(SKIP_1) | instid1(TRANS32_DEP_1)
	v_rcp_iflag_f32_e32 v51, v46
	v_nop
	v_mul_f32_e32 v51, v52, v51
	s_delay_alu instid0(VALU_DEP_1) | instskip(NEXT) | instid1(VALU_DEP_1)
	v_trunc_f32_e32 v50, v51
	v_dual_ashrrev_i32 v49, 30, v49 :: v_dual_fma_f32 v51, -v50, v46, v52
	s_delay_alu instid0(VALU_DEP_1) | instskip(SKIP_1) | instid1(VALU_DEP_3)
	v_or_b32_e32 v49, 1, v49
	v_cvt_i32_f32_e32 v50, v50
	v_cmp_ge_f32_e64 vcc_lo, |v51|, |v46|
	s_delay_alu instid0(VALU_DEP_3) | instskip(SKIP_1) | instid1(VALU_DEP_1)
	v_cndmask_b32_e32 v46, 0, v49, vcc_lo
	s_and_not1_b32 vcc_lo, exec_lo, s2
	v_add_nc_u32_e32 v49, v50, v46
                                        ; implicit-def: $vgpr46
	s_cbranch_vccz .LBB114_38
; %bb.33:                               ;   in Loop: Header=BB114_4 Depth=1
	s_and_not1_b32 vcc_lo, exec_lo, s7
	s_cbranch_vccz .LBB114_39
.LBB114_34:                             ;   in Loop: Header=BB114_4 Depth=1
	s_and_saveexec_b32 s7, s3
	s_delay_alu instid0(SALU_CYCLE_1)
	s_xor_b32 s3, exec_lo, s7
	s_cbranch_execnz .LBB114_40
.LBB114_35:                             ;   in Loop: Header=BB114_4 Depth=1
	s_or_b32 exec_lo, exec_lo, s3
	s_and_saveexec_b32 s3, s4
	s_cbranch_execnz .LBB114_41
.LBB114_36:                             ;   in Loop: Header=BB114_4 Depth=1
	s_or_b32 exec_lo, exec_lo, s3
	s_and_saveexec_b32 s3, s5
	s_cbranch_execnz .LBB114_42
.LBB114_37:                             ;   in Loop: Header=BB114_4 Depth=1
	s_or_b32 exec_lo, exec_lo, s3
	s_and_saveexec_b32 s3, s6
	s_cbranch_execz .LBB114_3
	s_branch .LBB114_43
.LBB114_38:                             ;   in Loop: Header=BB114_4 Depth=1
	s_delay_alu instid0(VALU_DEP_1)
	v_mad_u16 v46, v44, v49, v45
	s_cbranch_execnz .LBB114_34
.LBB114_39:                             ;   in Loop: Header=BB114_4 Depth=1
	s_delay_alu instid0(VALU_DEP_1) | instskip(SKIP_1) | instid1(SALU_CYCLE_1)
	v_add_nc_u16 v46, v45, v49
	s_and_saveexec_b32 s7, s3
	s_xor_b32 s3, exec_lo, s7
	s_cbranch_execz .LBB114_35
.LBB114_40:                             ;   in Loop: Header=BB114_4 Depth=1
	v_add_nc_u64_e32 v[50:51], s[16:17], v[14:15]
	global_store_b16 v[50:51], v53, off
	s_wait_xcnt 0x0
	s_or_b32 exec_lo, exec_lo, s3
	s_and_saveexec_b32 s3, s4
	s_cbranch_execz .LBB114_36
.LBB114_41:                             ;   in Loop: Header=BB114_4 Depth=1
	v_add_nc_u64_e32 v[50:51], s[16:17], v[42:43]
	global_store_b16 v[50:51], v48, off
	s_wait_xcnt 0x0
	s_or_b32 exec_lo, exec_lo, s3
	s_and_saveexec_b32 s3, s5
	s_cbranch_execz .LBB114_37
.LBB114_42:                             ;   in Loop: Header=BB114_4 Depth=1
	v_add_nc_u64_e32 v[48:49], s[16:17], v[26:27]
	global_store_b16 v[48:49], v47, off
	s_wait_xcnt 0x0
	s_or_b32 exec_lo, exec_lo, s3
	s_and_saveexec_b32 s3, s6
	s_cbranch_execz .LBB114_3
.LBB114_43:                             ;   in Loop: Header=BB114_4 Depth=1
	v_add_nc_u64_e32 v[48:49], s[16:17], v[34:35]
	global_store_b16 v[48:49], v46, off
	s_branch .LBB114_3
.LBB114_44:
	s_mov_b32 s2, 0
.LBB114_45:
	s_delay_alu instid0(SALU_CYCLE_1)
	s_and_not1_b32 vcc_lo, exec_lo, s2
	s_cbranch_vccnz .LBB114_49
; %bb.46:
	v_min_i64 v[2:3], 0x10000, s[18:19]
	v_dual_mov_b32 v5, 0 :: v_dual_lshlrev_b32 v4, 2, v0
	s_mov_b32 s2, exec_lo
	s_delay_alu instid0(VALU_DEP_1)
	v_cmpx_lt_i64_e64 v[4:5], v[2:3]
	s_cbranch_execz .LBB114_49
; %bb.47:
	s_load_b32 s0, s[0:1], 0xc3c
	v_dual_mov_b32 v1, v5 :: v_dual_lshlrev_b32 v4, 3, v0
	s_wait_xcnt 0x0
	s_mov_b32 s1, 0
	s_delay_alu instid0(SALU_CYCLE_1) | instskip(NEXT) | instid1(VALU_DEP_1)
	s_mov_b32 s3, s1
	v_add_nc_u64_e32 v[4:5], s[16:17], v[4:5]
	s_mov_b32 s4, s1
	s_wait_kmcnt 0x0
	s_and_b32 s0, s0, 0xffff
	s_delay_alu instid0(SALU_CYCLE_1)
	s_lshl_b32 s2, s0, 3
.LBB114_48:                             ; =>This Inner Loop Header: Depth=1
	s_delay_alu instid0(VALU_DEP_1)
	v_add_nc_u64_e32 v[6:7], s[8:9], v[4:5]
	v_add_nc_u64_e32 v[8:9], s[12:13], v[4:5]
	;; [unrolled: 1-line block ×4, first 2 shown]
	global_load_b64 v[12:13], v[6:7], off
	global_load_b64 v[14:15], v[8:9], off
	;; [unrolled: 1-line block ×3, first 2 shown]
	s_wait_loadcnt 0x2
	s_wait_xcnt 0x2
	v_bfe_i32 v6, v12, 0, 16
	s_wait_loadcnt 0x1
	v_bfe_i32 v7, v14, 0, 16
	s_wait_loadcnt 0x0
	s_wait_xcnt 0x0
	v_dual_lshrrev_b32 v8, 16, v16 :: v_dual_ashrrev_i32 v10, 16, v14
	v_ashrrev_i32_e32 v9, 16, v12
	v_alignbit_b32 v11, v13, v12, 16
	v_alignbit_b32 v12, v15, v14, 16
	v_dual_ashrrev_i32 v13, 16, v13 :: v_dual_ashrrev_i32 v14, 16, v15
	s_delay_alu instid0(VALU_DEP_4) | instskip(NEXT) | instid1(VALU_DEP_3)
	v_xor_b32_e32 v18, v9, v10
	v_dual_ashrrev_i32 v12, 16, v12 :: v_dual_bitop2_b32 v15, v6, v7 bitop3:0x14
	v_cvt_f32_i32_e32 v7, v7
	v_cvt_f32_i32_e32 v10, v10
	v_dual_ashrrev_i32 v11, 16, v11 :: v_dual_bitop2_b32 v19, v13, v14 bitop3:0x14
	v_cvt_f32_i32_e32 v6, v6
	s_delay_alu instid0(VALU_DEP_4)
	v_rcp_iflag_f32_e32 v20, v7
	v_dual_ashrrev_i32 v15, 30, v15 :: v_dual_ashrrev_i32 v18, 30, v18
	v_cvt_f32_i32_e32 v14, v14
	v_rcp_iflag_f32_e32 v21, v10
	v_dual_ashrrev_i32 v19, 30, v19 :: v_dual_bitop2_b32 v22, v11, v12 bitop3:0x14
	v_cvt_f32_i32_e32 v12, v12
	v_cvt_f32_i32_e32 v9, v9
	v_dual_mul_f32 v20, v6, v20 :: v_dual_bitop2_b32 v18, 1, v18 bitop3:0x54
	v_rcp_iflag_f32_e32 v23, v14
	s_delay_alu instid0(VALU_DEP_3)
	v_rcp_iflag_f32_e32 v24, v12
	v_cvt_f32_i32_e32 v13, v13
	v_cvt_f32_i32_e32 v11, v11
	v_dual_mul_f32 v21, v9, v21 :: v_dual_bitop2_b32 v19, 1, v19 bitop3:0x54
	v_trunc_f32_e32 v20, v20
	v_dual_ashrrev_i32 v22, 30, v22 :: v_dual_bitop2_b32 v15, 1, v15 bitop3:0x54
	v_mul_f32_e32 v23, v13, v23
	s_delay_alu instid0(VALU_DEP_4) | instskip(NEXT) | instid1(VALU_DEP_4)
	v_trunc_f32_e32 v21, v21
	v_dual_mul_f32 v24, v11, v24 :: v_dual_fma_f32 v6, -v20, v7, v6
	s_delay_alu instid0(VALU_DEP_4) | instskip(NEXT) | instid1(VALU_DEP_4)
	v_or_b32_e32 v22, 1, v22
	v_trunc_f32_e32 v23, v23
	v_cvt_i32_f32_e32 v20, v20
	s_delay_alu instid0(VALU_DEP_4)
	v_trunc_f32_e32 v24, v24
	v_cmp_ge_f32_e64 vcc_lo, |v6|, |v7|
	v_fma_f32 v9, -v21, v10, v9
	v_fma_f32 v13, -v23, v14, v13
	v_cvt_i32_f32_e32 v21, v21
	v_cvt_i32_f32_e32 v23, v23
	v_cndmask_b32_e32 v6, 0, v15, vcc_lo
	v_cmp_ge_f32_e64 vcc_lo, |v9|, |v10|
	v_fma_f32 v9, -v24, v12, v11
	v_cvt_i32_f32_e32 v10, v24
	v_cndmask_b32_e32 v7, 0, v18, vcc_lo
	v_cmp_ge_f32_e64 vcc_lo, |v13|, |v14|
	v_cndmask_b32_e32 v11, 0, v19, vcc_lo
	v_cmp_ge_f32_e64 vcc_lo, |v9|, |v12|
	s_delay_alu instid0(VALU_DEP_4) | instskip(SKIP_1) | instid1(VALU_DEP_4)
	v_dual_add_nc_u32 v6, v20, v6 :: v_dual_add_nc_u32 v7, v21, v7
	v_dual_cndmask_b32 v9, 0, v22 :: v_dual_lshrrev_b32 v12, 16, v17
	v_add_nc_u32_e32 v11, v23, v11
	s_delay_alu instid0(VALU_DEP_3) | instskip(NEXT) | instid1(VALU_DEP_4)
	v_mad_u16 v13, v44, v6, v16
	v_mad_u16 v8, v44, v7, v8
	v_lshlrev_b64_e32 v[6:7], 2, v[0:1]
	v_add_nc_u32_e32 v9, v10, v9
	v_mad_u16 v10, v44, v11, v12
	v_and_b32_e32 v11, 0xffff, v13
	v_lshlrev_b32_e32 v8, 16, v8
	s_delay_alu instid0(VALU_DEP_4) | instskip(NEXT) | instid1(VALU_DEP_4)
	v_mad_u16 v9, v44, v9, v17
	v_lshlrev_b32_e32 v10, 16, v10
	v_cmp_ge_i64_e32 vcc_lo, v[6:7], v[2:3]
	s_delay_alu instid0(VALU_DEP_4) | instskip(SKIP_3) | instid1(VALU_DEP_4)
	v_or_b32_e32 v8, v8, v11
	v_add_nc_u64_e32 v[6:7], s[14:15], v[4:5]
	v_and_b32_e32 v9, 0xffff, v9
	v_add_nc_u64_e32 v[4:5], s[2:3], v[4:5]
	v_or3_b32 v8, 0, v8, 0
	s_or_b32 s4, vcc_lo, s4
	s_delay_alu instid0(VALU_DEP_3)
	v_or3_b32 v9, v9, 0, v10
	global_store_b64 v[6:7], v[8:9], off
	s_wait_xcnt 0x0
	s_and_not1_b32 exec_lo, exec_lo, s4
	s_cbranch_execnz .LBB114_48
.LBB114_49:
	s_endpgm
	.section	.rodata,"a",@progbits
	.p2align	6, 0x0
	.amdhsa_kernel _ZN2at6native12_GLOBAL__N_125multi_tensor_apply_kernelINS1_28TensorListScalarListMetadataIsLi4EEENS1_28PointwiseOpScalarListFunctorIsLi4ELi3ELi3EEEJSt7dividesIsEEEEvT_T0_DpT1_
		.amdhsa_group_segment_fixed_size 0
		.amdhsa_private_segment_fixed_size 0
		.amdhsa_kernarg_size 3376
		.amdhsa_user_sgpr_count 2
		.amdhsa_user_sgpr_dispatch_ptr 0
		.amdhsa_user_sgpr_queue_ptr 0
		.amdhsa_user_sgpr_kernarg_segment_ptr 1
		.amdhsa_user_sgpr_dispatch_id 0
		.amdhsa_user_sgpr_kernarg_preload_length 0
		.amdhsa_user_sgpr_kernarg_preload_offset 0
		.amdhsa_user_sgpr_private_segment_size 0
		.amdhsa_wavefront_size32 1
		.amdhsa_uses_dynamic_stack 0
		.amdhsa_enable_private_segment 0
		.amdhsa_system_sgpr_workgroup_id_x 1
		.amdhsa_system_sgpr_workgroup_id_y 0
		.amdhsa_system_sgpr_workgroup_id_z 0
		.amdhsa_system_sgpr_workgroup_info 0
		.amdhsa_system_vgpr_workitem_id 0
		.amdhsa_next_free_vgpr 62
		.amdhsa_next_free_sgpr 26
		.amdhsa_named_barrier_count 0
		.amdhsa_reserve_vcc 1
		.amdhsa_float_round_mode_32 0
		.amdhsa_float_round_mode_16_64 0
		.amdhsa_float_denorm_mode_32 3
		.amdhsa_float_denorm_mode_16_64 3
		.amdhsa_fp16_overflow 0
		.amdhsa_memory_ordered 1
		.amdhsa_forward_progress 1
		.amdhsa_inst_pref_size 20
		.amdhsa_round_robin_scheduling 0
		.amdhsa_exception_fp_ieee_invalid_op 0
		.amdhsa_exception_fp_denorm_src 0
		.amdhsa_exception_fp_ieee_div_zero 0
		.amdhsa_exception_fp_ieee_overflow 0
		.amdhsa_exception_fp_ieee_underflow 0
		.amdhsa_exception_fp_ieee_inexact 0
		.amdhsa_exception_int_div_zero 0
	.end_amdhsa_kernel
	.section	.text._ZN2at6native12_GLOBAL__N_125multi_tensor_apply_kernelINS1_28TensorListScalarListMetadataIsLi4EEENS1_28PointwiseOpScalarListFunctorIsLi4ELi3ELi3EEEJSt7dividesIsEEEEvT_T0_DpT1_,"axG",@progbits,_ZN2at6native12_GLOBAL__N_125multi_tensor_apply_kernelINS1_28TensorListScalarListMetadataIsLi4EEENS1_28PointwiseOpScalarListFunctorIsLi4ELi3ELi3EEEJSt7dividesIsEEEEvT_T0_DpT1_,comdat
.Lfunc_end114:
	.size	_ZN2at6native12_GLOBAL__N_125multi_tensor_apply_kernelINS1_28TensorListScalarListMetadataIsLi4EEENS1_28PointwiseOpScalarListFunctorIsLi4ELi3ELi3EEEJSt7dividesIsEEEEvT_T0_DpT1_, .Lfunc_end114-_ZN2at6native12_GLOBAL__N_125multi_tensor_apply_kernelINS1_28TensorListScalarListMetadataIsLi4EEENS1_28PointwiseOpScalarListFunctorIsLi4ELi3ELi3EEEJSt7dividesIsEEEEvT_T0_DpT1_
                                        ; -- End function
	.set _ZN2at6native12_GLOBAL__N_125multi_tensor_apply_kernelINS1_28TensorListScalarListMetadataIsLi4EEENS1_28PointwiseOpScalarListFunctorIsLi4ELi3ELi3EEEJSt7dividesIsEEEEvT_T0_DpT1_.num_vgpr, 62
	.set _ZN2at6native12_GLOBAL__N_125multi_tensor_apply_kernelINS1_28TensorListScalarListMetadataIsLi4EEENS1_28PointwiseOpScalarListFunctorIsLi4ELi3ELi3EEEJSt7dividesIsEEEEvT_T0_DpT1_.num_agpr, 0
	.set _ZN2at6native12_GLOBAL__N_125multi_tensor_apply_kernelINS1_28TensorListScalarListMetadataIsLi4EEENS1_28PointwiseOpScalarListFunctorIsLi4ELi3ELi3EEEJSt7dividesIsEEEEvT_T0_DpT1_.numbered_sgpr, 26
	.set _ZN2at6native12_GLOBAL__N_125multi_tensor_apply_kernelINS1_28TensorListScalarListMetadataIsLi4EEENS1_28PointwiseOpScalarListFunctorIsLi4ELi3ELi3EEEJSt7dividesIsEEEEvT_T0_DpT1_.num_named_barrier, 0
	.set _ZN2at6native12_GLOBAL__N_125multi_tensor_apply_kernelINS1_28TensorListScalarListMetadataIsLi4EEENS1_28PointwiseOpScalarListFunctorIsLi4ELi3ELi3EEEJSt7dividesIsEEEEvT_T0_DpT1_.private_seg_size, 0
	.set _ZN2at6native12_GLOBAL__N_125multi_tensor_apply_kernelINS1_28TensorListScalarListMetadataIsLi4EEENS1_28PointwiseOpScalarListFunctorIsLi4ELi3ELi3EEEJSt7dividesIsEEEEvT_T0_DpT1_.uses_vcc, 1
	.set _ZN2at6native12_GLOBAL__N_125multi_tensor_apply_kernelINS1_28TensorListScalarListMetadataIsLi4EEENS1_28PointwiseOpScalarListFunctorIsLi4ELi3ELi3EEEJSt7dividesIsEEEEvT_T0_DpT1_.uses_flat_scratch, 0
	.set _ZN2at6native12_GLOBAL__N_125multi_tensor_apply_kernelINS1_28TensorListScalarListMetadataIsLi4EEENS1_28PointwiseOpScalarListFunctorIsLi4ELi3ELi3EEEJSt7dividesIsEEEEvT_T0_DpT1_.has_dyn_sized_stack, 0
	.set _ZN2at6native12_GLOBAL__N_125multi_tensor_apply_kernelINS1_28TensorListScalarListMetadataIsLi4EEENS1_28PointwiseOpScalarListFunctorIsLi4ELi3ELi3EEEJSt7dividesIsEEEEvT_T0_DpT1_.has_recursion, 0
	.set _ZN2at6native12_GLOBAL__N_125multi_tensor_apply_kernelINS1_28TensorListScalarListMetadataIsLi4EEENS1_28PointwiseOpScalarListFunctorIsLi4ELi3ELi3EEEJSt7dividesIsEEEEvT_T0_DpT1_.has_indirect_call, 0
	.section	.AMDGPU.csdata,"",@progbits
; Kernel info:
; codeLenInByte = 2472
; TotalNumSgprs: 28
; NumVgprs: 62
; ScratchSize: 0
; MemoryBound: 0
; FloatMode: 240
; IeeeMode: 1
; LDSByteSize: 0 bytes/workgroup (compile time only)
; SGPRBlocks: 0
; VGPRBlocks: 3
; NumSGPRsForWavesPerEU: 28
; NumVGPRsForWavesPerEU: 62
; NamedBarCnt: 0
; Occupancy: 16
; WaveLimiterHint : 0
; COMPUTE_PGM_RSRC2:SCRATCH_EN: 0
; COMPUTE_PGM_RSRC2:USER_SGPR: 2
; COMPUTE_PGM_RSRC2:TRAP_HANDLER: 0
; COMPUTE_PGM_RSRC2:TGID_X_EN: 1
; COMPUTE_PGM_RSRC2:TGID_Y_EN: 0
; COMPUTE_PGM_RSRC2:TGID_Z_EN: 0
; COMPUTE_PGM_RSRC2:TIDIG_COMP_CNT: 0
	.section	.text._ZN2at6native12_GLOBAL__N_125multi_tensor_apply_kernelINS1_28TensorListScalarListMetadataIdLi4EEENS1_28PointwiseOpScalarListFunctorIdLi4ELi3ELi3EEEJSt7dividesIdEEEEvT_T0_DpT1_,"axG",@progbits,_ZN2at6native12_GLOBAL__N_125multi_tensor_apply_kernelINS1_28TensorListScalarListMetadataIdLi4EEENS1_28PointwiseOpScalarListFunctorIdLi4ELi3ELi3EEEJSt7dividesIdEEEEvT_T0_DpT1_,comdat
	.globl	_ZN2at6native12_GLOBAL__N_125multi_tensor_apply_kernelINS1_28TensorListScalarListMetadataIdLi4EEENS1_28PointwiseOpScalarListFunctorIdLi4ELi3ELi3EEEJSt7dividesIdEEEEvT_T0_DpT1_ ; -- Begin function _ZN2at6native12_GLOBAL__N_125multi_tensor_apply_kernelINS1_28TensorListScalarListMetadataIdLi4EEENS1_28PointwiseOpScalarListFunctorIdLi4ELi3ELi3EEEJSt7dividesIdEEEEvT_T0_DpT1_
	.p2align	8
	.type	_ZN2at6native12_GLOBAL__N_125multi_tensor_apply_kernelINS1_28TensorListScalarListMetadataIdLi4EEENS1_28PointwiseOpScalarListFunctorIdLi4ELi3ELi3EEEJSt7dividesIdEEEEvT_T0_DpT1_,@function
_ZN2at6native12_GLOBAL__N_125multi_tensor_apply_kernelINS1_28TensorListScalarListMetadataIdLi4EEENS1_28PointwiseOpScalarListFunctorIdLi4ELi3ELi3EEEJSt7dividesIdEEEEvT_T0_DpT1_: ; @_ZN2at6native12_GLOBAL__N_125multi_tensor_apply_kernelINS1_28TensorListScalarListMetadataIdLi4EEENS1_28PointwiseOpScalarListFunctorIdLi4ELi3ELi3EEEJSt7dividesIdEEEEvT_T0_DpT1_
; %bb.0:
	s_bfe_u32 s2, ttmp6, 0x4000c
	s_and_b32 s3, ttmp6, 15
	s_add_co_i32 s2, s2, 1
	s_getreg_b32 s4, hwreg(HW_REG_IB_STS2, 6, 4)
	s_mul_i32 s2, ttmp9, s2
	s_mov_b32 s19, 0
	s_add_co_i32 s3, s3, s2
	s_cmp_eq_u32 s4, 0
	s_cselect_b32 s18, ttmp9, s3
	s_load_u8 s10, s[0:1], s18 offset:0x6c0
	s_add_nc_u64 s[2:3], s[0:1], s[18:19]
	s_mul_u64 s[4:5], s[18:19], 3
	s_delay_alu instid0(SALU_CYCLE_1)
	s_add_nc_u64 s[8:9], s[2:3], s[4:5]
	s_load_b32 s24, s[8:9], 0x800
	s_wait_kmcnt 0x0
	s_clause 0x5
	s_load_b64 s[2:3], s[0:1], s10 offset:0x0 scale_offset
	s_load_b64 s[4:5], s[0:1], s10 offset:0x120 scale_offset
	;; [unrolled: 1-line block ×6, first 2 shown]
	s_ashr_i32 s25, s24, 31
	s_delay_alu instid0(SALU_CYCLE_1)
	s_lshl_b64 s[16:17], s[24:25], 19
	s_wait_kmcnt 0x0
	s_add_nc_u64 s[10:11], s[4:5], s[16:17]
	s_add_nc_u64 s[8:9], s[2:3], s[16:17]
	s_and_b32 s18, s10, 31
	s_and_b64 s[28:29], s[8:9], 31
	s_add_nc_u64 s[12:13], s[20:21], s[16:17]
	s_cmp_eq_u64 s[18:19], 0
	s_add_nc_u64 s[14:15], s[22:23], s[16:17]
	s_cselect_b32 s30, -1, 0
	s_or_b32 s18, s14, s12
	s_delay_alu instid0(SALU_CYCLE_1) | instskip(NEXT) | instid1(SALU_CYCLE_1)
	s_and_b32 s18, s18, 31
	s_cmp_eq_u32 s18, 0
	s_cselect_b32 s31, -1, 0
	s_and_b32 s18, s26, 3
	s_and_b32 s30, s31, s30
	s_or_b64 s[18:19], s[28:29], s[18:19]
	s_lshl_b64 s[24:25], s[24:25], 16
	s_cmp_eq_u64 s[18:19], 0
	s_cselect_b32 s18, -1, 0
	s_delay_alu instid0(SALU_CYCLE_1)
	s_and_b32 s28, s30, s18
	s_sub_nc_u64 s[18:19], s[26:27], s[24:25]
	s_and_b32 vcc_lo, exec_lo, s28
	s_mov_b32 s24, -1
	s_cbranch_vccnz .LBB115_45
; %bb.1:
	v_cmp_lt_i64_e64 s24, s[18:19], 1
	s_and_b32 vcc_lo, exec_lo, s24
	s_cbranch_vccnz .LBB115_44
; %bb.2:
	s_load_b32 s24, s[0:1], 0xd14
	v_min_i64 v[2:3], 0x10000, s[18:19]
	v_min_u64 v[4:5], 0x10000, s[18:19]
	v_cmp_neq_f64_e64 s26, s[6:7], 1.0
	v_dual_mov_b32 v1, 0 :: v_dual_lshlrev_b32 v14, 3, v0
	s_mov_b32 s25, 0
	s_delay_alu instid0(SALU_CYCLE_1) | instskip(NEXT) | instid1(VALU_DEP_1)
	s_mov_b32 s35, s25
	v_dual_mov_b32 v15, v1 :: v_dual_mov_b32 v43, v1
	s_mov_b32 s29, s25
	s_mov_b32 s31, s25
	s_delay_alu instid0(VALU_DEP_1) | instskip(SKIP_4) | instid1(SALU_CYCLE_1)
	v_add_nc_u64_e32 v[6:7], s[2:3], v[14:15]
	v_add_nc_u64_e32 v[8:9], s[4:5], v[14:15]
	;; [unrolled: 1-line block ×3, first 2 shown]
	s_wait_kmcnt 0x0
	s_and_b32 s24, s24, 0xffff
	v_add_nc_u64_e32 v[12:13], s[24:25], v[0:1]
	v_mad_nc_u64_u32 v[34:35], s24, 24, v[14:15]
	s_lshl_b32 s34, s24, 4
	s_mul_i32 s30, s24, 3
	v_add_nc_u64_e32 v[26:27], s[34:35], v[14:15]
	s_lshl_b32 s28, s24, 1
	v_add_nc_u64_e32 v[14:15], s[22:23], v[14:15]
	v_lshlrev_b32_e32 v42, 3, v12
	v_add_nc_u64_e32 v[16:17], s[30:31], v[0:1]
	v_add_nc_u64_e32 v[18:19], s[28:29], v[0:1]
	;; [unrolled: 1-line block ×14, first 2 shown]
	s_lshl_b32 s20, s24, 2
	s_mov_b32 s21, s25
	s_lshl_b32 s22, s24, 5
	s_mov_b32 s23, s25
	s_mov_b64 s[24:25], 0
	s_branch .LBB115_4
.LBB115_3:                              ;   in Loop: Header=BB115_4 Depth=1
	s_wait_xcnt 0x0
	s_or_b32 exec_lo, exec_lo, s2
	s_add_nc_u64 s[24:25], s[24:25], s[20:21]
	v_add_nc_u64_e32 v[6:7], s[22:23], v[6:7]
	v_cmp_ge_i64_e32 vcc_lo, s[24:25], v[2:3]
	v_add_nc_u64_e32 v[8:9], s[22:23], v[8:9]
	v_add_nc_u64_e32 v[10:11], s[22:23], v[10:11]
	v_add_nc_u64_e32 v[14:15], s[22:23], v[14:15]
	v_add_nc_u64_e32 v[28:29], s[22:23], v[28:29]
	v_add_nc_u64_e32 v[30:31], s[22:23], v[30:31]
	v_add_nc_u64_e32 v[32:33], s[22:23], v[32:33]
	v_add_nc_u64_e32 v[34:35], s[22:23], v[34:35]
	v_add_nc_u64_e32 v[20:21], s[22:23], v[20:21]
	v_add_nc_u64_e32 v[22:23], s[22:23], v[22:23]
	v_add_nc_u64_e32 v[24:25], s[22:23], v[24:25]
	v_add_nc_u64_e32 v[26:27], s[22:23], v[26:27]
	v_add_nc_u64_e32 v[36:37], s[22:23], v[36:37]
	v_add_nc_u64_e32 v[38:39], s[22:23], v[38:39]
	v_add_nc_u64_e32 v[40:41], s[22:23], v[40:41]
	v_add_nc_u64_e32 v[42:43], s[22:23], v[42:43]
	s_cbranch_vccnz .LBB115_44
.LBB115_4:                              ; =>This Inner Loop Header: Depth=1
	v_add_nc_u64_e32 v[44:45], s[24:25], v[0:1]
	v_mov_b64_e32 v[64:65], 0
	v_mov_b64_e32 v[66:67], 0
	;; [unrolled: 1-line block ×3, first 2 shown]
	s_delay_alu instid0(VALU_DEP_4)
	v_cmp_lt_u64_e64 s2, v[44:45], v[4:5]
	s_and_saveexec_b32 s3, s2
	s_cbranch_execz .LBB115_6
; %bb.5:                                ;   in Loop: Header=BB115_4 Depth=1
	v_add_nc_u64_e32 v[44:45], s[16:17], v[6:7]
	v_add_nc_u64_e32 v[46:47], s[16:17], v[8:9]
	global_load_b64 v[50:51], v[44:45], off
	global_load_b64 v[66:67], v[46:47], off
.LBB115_6:                              ;   in Loop: Header=BB115_4 Depth=1
	s_wait_xcnt 0x0
	s_or_b32 exec_lo, exec_lo, s3
	s_and_saveexec_b32 s3, s2
	s_cbranch_execz .LBB115_8
; %bb.7:                                ;   in Loop: Header=BB115_4 Depth=1
	v_add_nc_u64_e32 v[44:45], s[16:17], v[10:11]
	global_load_b64 v[64:65], v[44:45], off
.LBB115_8:                              ;   in Loop: Header=BB115_4 Depth=1
	s_wait_xcnt 0x0
	s_or_b32 exec_lo, exec_lo, s3
	v_add_nc_u64_e32 v[44:45], s[24:25], v[12:13]
	v_mov_b64_e32 v[60:61], 0
	v_mov_b64_e32 v[62:63], 0
	;; [unrolled: 1-line block ×3, first 2 shown]
	s_delay_alu instid0(VALU_DEP_4)
	v_cmp_lt_u64_e64 s3, v[44:45], v[4:5]
	s_and_saveexec_b32 s4, s3
	s_cbranch_execz .LBB115_10
; %bb.9:                                ;   in Loop: Header=BB115_4 Depth=1
	v_add_nc_u64_e32 v[44:45], s[16:17], v[36:37]
	v_add_nc_u64_e32 v[46:47], s[16:17], v[38:39]
	global_load_b64 v[48:49], v[44:45], off
	global_load_b64 v[62:63], v[46:47], off
.LBB115_10:                             ;   in Loop: Header=BB115_4 Depth=1
	s_wait_xcnt 0x0
	s_or_b32 exec_lo, exec_lo, s4
	s_and_saveexec_b32 s4, s3
	s_cbranch_execz .LBB115_12
; %bb.11:                               ;   in Loop: Header=BB115_4 Depth=1
	v_add_nc_u64_e32 v[44:45], s[16:17], v[40:41]
	global_load_b64 v[60:61], v[44:45], off
.LBB115_12:                             ;   in Loop: Header=BB115_4 Depth=1
	s_wait_xcnt 0x0
	s_or_b32 exec_lo, exec_lo, s4
	v_add_nc_u64_e32 v[44:45], s[24:25], v[18:19]
	v_mov_b64_e32 v[56:57], 0
	v_mov_b64_e32 v[58:59], 0
	;; [unrolled: 1-line block ×3, first 2 shown]
	s_delay_alu instid0(VALU_DEP_4)
	v_cmp_lt_u64_e64 s4, v[44:45], v[4:5]
	s_and_saveexec_b32 s5, s4
	s_cbranch_execz .LBB115_14
; %bb.13:                               ;   in Loop: Header=BB115_4 Depth=1
	v_add_nc_u64_e32 v[44:45], s[16:17], v[20:21]
	v_add_nc_u64_e32 v[52:53], s[16:17], v[22:23]
	global_load_b64 v[46:47], v[44:45], off
	global_load_b64 v[58:59], v[52:53], off
.LBB115_14:                             ;   in Loop: Header=BB115_4 Depth=1
	s_wait_xcnt 0x0
	s_or_b32 exec_lo, exec_lo, s5
	s_and_saveexec_b32 s5, s4
	s_cbranch_execz .LBB115_16
; %bb.15:                               ;   in Loop: Header=BB115_4 Depth=1
	v_add_nc_u64_e32 v[44:45], s[16:17], v[24:25]
	global_load_b64 v[56:57], v[44:45], off
.LBB115_16:                             ;   in Loop: Header=BB115_4 Depth=1
	s_wait_xcnt 0x0
	s_or_b32 exec_lo, exec_lo, s5
	v_add_nc_u64_e32 v[44:45], s[24:25], v[16:17]
	v_mov_b64_e32 v[52:53], 0
	v_mov_b64_e32 v[54:55], 0
	s_delay_alu instid0(VALU_DEP_3)
	v_cmp_lt_u64_e64 s5, v[44:45], v[4:5]
	v_mov_b64_e32 v[44:45], 0
	s_and_saveexec_b32 s27, s5
	s_cbranch_execz .LBB115_18
; %bb.17:                               ;   in Loop: Header=BB115_4 Depth=1
	v_add_nc_u64_e32 v[68:69], s[16:17], v[28:29]
	v_add_nc_u64_e32 v[70:71], s[16:17], v[30:31]
	global_load_b64 v[44:45], v[68:69], off
	global_load_b64 v[54:55], v[70:71], off
.LBB115_18:                             ;   in Loop: Header=BB115_4 Depth=1
	s_wait_xcnt 0x0
	s_or_b32 exec_lo, exec_lo, s27
	s_and_saveexec_b32 s27, s5
	s_cbranch_execz .LBB115_20
; %bb.19:                               ;   in Loop: Header=BB115_4 Depth=1
	v_add_nc_u64_e32 v[52:53], s[16:17], v[32:33]
	global_load_b64 v[52:53], v[52:53], off
.LBB115_20:                             ;   in Loop: Header=BB115_4 Depth=1
	s_wait_xcnt 0x0
	s_or_b32 exec_lo, exec_lo, s27
	s_wait_loadcnt 0x0
	v_div_scale_f64 v[68:69], null, v[64:65], v[64:65], v[66:67]
	s_delay_alu instid0(VALU_DEP_1) | instskip(SKIP_1) | instid1(TRANS32_DEP_1)
	v_rcp_f64_e32 v[70:71], v[68:69]
	v_nop
	v_fma_f64 v[72:73], -v[68:69], v[70:71], 1.0
	s_delay_alu instid0(VALU_DEP_1) | instskip(NEXT) | instid1(VALU_DEP_1)
	v_fmac_f64_e32 v[70:71], v[70:71], v[72:73]
	v_fma_f64 v[72:73], -v[68:69], v[70:71], 1.0
	s_delay_alu instid0(VALU_DEP_1) | instskip(SKIP_1) | instid1(VALU_DEP_1)
	v_fmac_f64_e32 v[70:71], v[70:71], v[72:73]
	v_div_scale_f64 v[72:73], vcc_lo, v[66:67], v[64:65], v[66:67]
	v_mul_f64_e32 v[74:75], v[72:73], v[70:71]
	s_delay_alu instid0(VALU_DEP_1) | instskip(NEXT) | instid1(VALU_DEP_1)
	v_fma_f64 v[68:69], -v[68:69], v[74:75], v[72:73]
	v_div_fmas_f64 v[68:69], v[68:69], v[70:71], v[74:75]
	s_and_b32 vcc_lo, exec_lo, s26
	s_delay_alu instid0(VALU_DEP_1)
	v_div_fixup_f64 v[66:67], v[68:69], v[64:65], v[66:67]
	s_cbranch_vccz .LBB115_40
; %bb.21:                               ;   in Loop: Header=BB115_4 Depth=1
	s_delay_alu instid0(VALU_DEP_1)
	v_fma_f64 v[64:65], s[6:7], v[66:67], v[50:51]
	s_cbranch_execnz .LBB115_23
.LBB115_22:                             ;   in Loop: Header=BB115_4 Depth=1
	s_delay_alu instid0(VALU_DEP_1)
	v_add_f64_e32 v[64:65], v[50:51], v[66:67]
.LBB115_23:                             ;   in Loop: Header=BB115_4 Depth=1
	v_div_scale_f64 v[50:51], null, v[60:61], v[60:61], v[62:63]
	s_delay_alu instid0(VALU_DEP_1) | instskip(SKIP_1) | instid1(TRANS32_DEP_1)
	v_rcp_f64_e32 v[66:67], v[50:51]
	v_nop
	v_fma_f64 v[68:69], -v[50:51], v[66:67], 1.0
	s_delay_alu instid0(VALU_DEP_1) | instskip(NEXT) | instid1(VALU_DEP_1)
	v_fmac_f64_e32 v[66:67], v[66:67], v[68:69]
	v_fma_f64 v[68:69], -v[50:51], v[66:67], 1.0
	s_delay_alu instid0(VALU_DEP_1) | instskip(SKIP_1) | instid1(VALU_DEP_1)
	v_fmac_f64_e32 v[66:67], v[66:67], v[68:69]
	v_div_scale_f64 v[68:69], vcc_lo, v[62:63], v[60:61], v[62:63]
	v_mul_f64_e32 v[70:71], v[68:69], v[66:67]
	s_delay_alu instid0(VALU_DEP_1) | instskip(NEXT) | instid1(VALU_DEP_1)
	v_fma_f64 v[50:51], -v[50:51], v[70:71], v[68:69]
	v_div_fmas_f64 v[50:51], v[50:51], v[66:67], v[70:71]
	s_and_not1_b32 vcc_lo, exec_lo, s26
	s_delay_alu instid0(VALU_DEP_1)
	v_div_fixup_f64 v[60:61], v[50:51], v[60:61], v[62:63]
	s_cbranch_vccnz .LBB115_41
; %bb.24:                               ;   in Loop: Header=BB115_4 Depth=1
	s_delay_alu instid0(VALU_DEP_1)
	v_fma_f64 v[50:51], s[6:7], v[60:61], v[48:49]
	s_cbranch_execnz .LBB115_26
.LBB115_25:                             ;   in Loop: Header=BB115_4 Depth=1
	s_delay_alu instid0(VALU_DEP_1)
	v_add_f64_e32 v[50:51], v[48:49], v[60:61]
.LBB115_26:                             ;   in Loop: Header=BB115_4 Depth=1
	v_div_scale_f64 v[48:49], null, v[56:57], v[56:57], v[58:59]
	s_delay_alu instid0(VALU_DEP_1) | instskip(SKIP_1) | instid1(TRANS32_DEP_1)
	v_rcp_f64_e32 v[60:61], v[48:49]
	v_nop
	v_fma_f64 v[62:63], -v[48:49], v[60:61], 1.0
	s_delay_alu instid0(VALU_DEP_1) | instskip(NEXT) | instid1(VALU_DEP_1)
	v_fmac_f64_e32 v[60:61], v[60:61], v[62:63]
	v_fma_f64 v[62:63], -v[48:49], v[60:61], 1.0
	s_delay_alu instid0(VALU_DEP_1) | instskip(SKIP_1) | instid1(VALU_DEP_1)
	v_fmac_f64_e32 v[60:61], v[60:61], v[62:63]
	v_div_scale_f64 v[62:63], vcc_lo, v[58:59], v[56:57], v[58:59]
	v_mul_f64_e32 v[66:67], v[62:63], v[60:61]
	s_delay_alu instid0(VALU_DEP_1) | instskip(NEXT) | instid1(VALU_DEP_1)
	v_fma_f64 v[48:49], -v[48:49], v[66:67], v[62:63]
	v_div_fmas_f64 v[48:49], v[48:49], v[60:61], v[66:67]
	s_and_not1_b32 vcc_lo, exec_lo, s26
	s_delay_alu instid0(VALU_DEP_1)
	v_div_fixup_f64 v[56:57], v[48:49], v[56:57], v[58:59]
	s_cbranch_vccnz .LBB115_42
; %bb.27:                               ;   in Loop: Header=BB115_4 Depth=1
	s_delay_alu instid0(VALU_DEP_1)
	v_fma_f64 v[48:49], s[6:7], v[56:57], v[46:47]
	s_cbranch_execnz .LBB115_29
.LBB115_28:                             ;   in Loop: Header=BB115_4 Depth=1
	s_delay_alu instid0(VALU_DEP_1)
	v_add_f64_e32 v[48:49], v[46:47], v[56:57]
.LBB115_29:                             ;   in Loop: Header=BB115_4 Depth=1
	v_div_scale_f64 v[46:47], null, v[52:53], v[52:53], v[54:55]
	s_delay_alu instid0(VALU_DEP_1) | instskip(SKIP_1) | instid1(TRANS32_DEP_1)
	v_rcp_f64_e32 v[56:57], v[46:47]
	v_nop
	v_fma_f64 v[58:59], -v[46:47], v[56:57], 1.0
	s_delay_alu instid0(VALU_DEP_1) | instskip(NEXT) | instid1(VALU_DEP_1)
	v_fmac_f64_e32 v[56:57], v[56:57], v[58:59]
	v_fma_f64 v[58:59], -v[46:47], v[56:57], 1.0
	s_delay_alu instid0(VALU_DEP_1) | instskip(SKIP_1) | instid1(VALU_DEP_1)
	v_fmac_f64_e32 v[56:57], v[56:57], v[58:59]
	v_div_scale_f64 v[58:59], vcc_lo, v[54:55], v[52:53], v[54:55]
	v_mul_f64_e32 v[60:61], v[58:59], v[56:57]
	s_delay_alu instid0(VALU_DEP_1) | instskip(NEXT) | instid1(VALU_DEP_1)
	v_fma_f64 v[46:47], -v[46:47], v[60:61], v[58:59]
	v_div_fmas_f64 v[46:47], v[46:47], v[56:57], v[60:61]
	s_and_not1_b32 vcc_lo, exec_lo, s26
	s_delay_alu instid0(VALU_DEP_1)
	v_div_fixup_f64 v[52:53], v[46:47], v[52:53], v[54:55]
	s_cbranch_vccnz .LBB115_43
; %bb.30:                               ;   in Loop: Header=BB115_4 Depth=1
	s_delay_alu instid0(VALU_DEP_1)
	v_fma_f64 v[46:47], s[6:7], v[52:53], v[44:45]
	s_cbranch_execnz .LBB115_32
.LBB115_31:                             ;   in Loop: Header=BB115_4 Depth=1
	s_delay_alu instid0(VALU_DEP_1)
	v_add_f64_e32 v[46:47], v[44:45], v[52:53]
.LBB115_32:                             ;   in Loop: Header=BB115_4 Depth=1
	s_and_saveexec_b32 s27, s2
	s_delay_alu instid0(SALU_CYCLE_1)
	s_xor_b32 s2, exec_lo, s27
	s_cbranch_execnz .LBB115_36
; %bb.33:                               ;   in Loop: Header=BB115_4 Depth=1
	s_or_b32 exec_lo, exec_lo, s2
	s_and_saveexec_b32 s2, s3
	s_cbranch_execnz .LBB115_37
.LBB115_34:                             ;   in Loop: Header=BB115_4 Depth=1
	s_or_b32 exec_lo, exec_lo, s2
	s_and_saveexec_b32 s2, s4
	s_cbranch_execnz .LBB115_38
.LBB115_35:                             ;   in Loop: Header=BB115_4 Depth=1
	s_or_b32 exec_lo, exec_lo, s2
	s_and_saveexec_b32 s2, s5
	s_cbranch_execz .LBB115_3
	s_branch .LBB115_39
.LBB115_36:                             ;   in Loop: Header=BB115_4 Depth=1
	v_add_nc_u64_e32 v[44:45], s[16:17], v[14:15]
	global_store_b64 v[44:45], v[64:65], off
	s_wait_xcnt 0x0
	s_or_b32 exec_lo, exec_lo, s2
	s_and_saveexec_b32 s2, s3
	s_cbranch_execz .LBB115_34
.LBB115_37:                             ;   in Loop: Header=BB115_4 Depth=1
	v_add_nc_u64_e32 v[44:45], s[16:17], v[42:43]
	global_store_b64 v[44:45], v[50:51], off
	s_wait_xcnt 0x0
	s_or_b32 exec_lo, exec_lo, s2
	s_and_saveexec_b32 s2, s4
	s_cbranch_execz .LBB115_35
.LBB115_38:                             ;   in Loop: Header=BB115_4 Depth=1
	v_add_nc_u64_e32 v[44:45], s[16:17], v[26:27]
	global_store_b64 v[44:45], v[48:49], off
	s_wait_xcnt 0x0
	s_or_b32 exec_lo, exec_lo, s2
	s_and_saveexec_b32 s2, s5
	s_cbranch_execz .LBB115_3
.LBB115_39:                             ;   in Loop: Header=BB115_4 Depth=1
	v_add_nc_u64_e32 v[44:45], s[16:17], v[34:35]
	global_store_b64 v[44:45], v[46:47], off
	s_branch .LBB115_3
.LBB115_40:                             ;   in Loop: Header=BB115_4 Depth=1
                                        ; implicit-def: $vgpr64_vgpr65
	s_branch .LBB115_22
.LBB115_41:                             ;   in Loop: Header=BB115_4 Depth=1
                                        ; implicit-def: $vgpr50_vgpr51
	s_branch .LBB115_25
.LBB115_42:                             ;   in Loop: Header=BB115_4 Depth=1
                                        ; implicit-def: $vgpr48_vgpr49
	s_branch .LBB115_28
.LBB115_43:                             ;   in Loop: Header=BB115_4 Depth=1
                                        ; implicit-def: $vgpr46_vgpr47
	s_branch .LBB115_31
.LBB115_44:
	s_mov_b32 s24, 0
.LBB115_45:
	s_delay_alu instid0(SALU_CYCLE_1)
	s_and_not1_b32 vcc_lo, exec_lo, s24
	s_cbranch_vccnz .LBB115_65
; %bb.46:
	v_min_i64 v[26:27], 0x10000, s[18:19]
	v_dual_mov_b32 v29, 0 :: v_dual_lshlrev_b32 v28, 2, v0
	s_mov_b32 s2, exec_lo
	s_delay_alu instid0(VALU_DEP_1)
	v_cmpx_lt_i64_e64 v[28:29], v[26:27]
	s_cbranch_execz .LBB115_65
; %bb.47:
	v_cmp_neq_f64_e64 s4, s[6:7], 1.0
	s_load_b32 s0, s[0:1], 0xd14
	v_dual_mov_b32 v1, v29 :: v_dual_lshlrev_b32 v28, 5, v0
	s_wait_xcnt 0x0
	s_mov_b32 s1, 0
	s_delay_alu instid0(SALU_CYCLE_1) | instskip(SKIP_3) | instid1(SALU_CYCLE_1)
	s_mov_b32 s3, s1
	s_mov_b32 s5, s1
	s_wait_kmcnt 0x0
	s_and_b32 s0, s0, 0xffff
	s_lshl_b32 s2, s0, 5
	s_branch .LBB115_49
.LBB115_48:                             ;   in Loop: Header=BB115_49 Depth=1
	v_add_nc_u64_e32 v[0:1], s[0:1], v[0:1]
	s_add_nc_u64 s[8:9], s[8:9], s[2:3]
	s_add_nc_u64 s[12:13], s[12:13], s[2:3]
	;; [unrolled: 1-line block ×3, first 2 shown]
	s_delay_alu instid0(VALU_DEP_1) | instskip(NEXT) | instid1(VALU_DEP_1)
	v_lshlrev_b64_e32 v[6:7], 2, v[0:1]
	v_cmp_ge_i64_e32 vcc_lo, v[6:7], v[26:27]
	v_add_nc_u64_e32 v[6:7], s[14:15], v[28:29]
	s_add_nc_u64 s[14:15], s[14:15], s[2:3]
	s_clause 0x1
	global_store_b128 v[6:7], v[2:5], off
	global_store_b128 v[6:7], v[10:13], off offset:16
	s_or_b32 s5, vcc_lo, s5
	s_wait_xcnt 0x0
	s_and_not1_b32 exec_lo, exec_lo, s5
	s_cbranch_execz .LBB115_65
.LBB115_49:                             ; =>This Inner Loop Header: Depth=1
	v_add_nc_u64_e32 v[30:31], s[10:11], v[28:29]
	v_add_nc_u64_e32 v[32:33], s[12:13], v[28:29]
	;; [unrolled: 1-line block ×3, first 2 shown]
	global_load_b128 v[2:5], v[30:31], off
	global_load_b128 v[22:25], v[32:33], off
	global_load_b128 v[10:13], v[30:31], off offset:16
	global_load_b128 v[14:17], v[32:33], off offset:16
	s_clause 0x1
	global_load_b128 v[6:9], v[34:35], off offset:16
	global_load_b128 v[18:21], v[34:35], off
	s_wait_loadcnt 0x4
	v_div_scale_f64 v[36:37], null, v[22:23], v[22:23], v[2:3]
	s_wait_xcnt 0x3
	s_delay_alu instid0(VALU_DEP_1) | instskip(SKIP_2) | instid1(TRANS32_DEP_1)
	v_rcp_f64_e32 v[30:31], v[36:37]
	s_wait_xcnt 0x2
	v_nop
	v_fma_f64 v[32:33], -v[36:37], v[30:31], 1.0
	s_delay_alu instid0(VALU_DEP_1) | instskip(NEXT) | instid1(VALU_DEP_1)
	v_fmac_f64_e32 v[30:31], v[30:31], v[32:33]
	v_fma_f64 v[32:33], -v[36:37], v[30:31], 1.0
	s_delay_alu instid0(VALU_DEP_1) | instskip(SKIP_2) | instid1(VALU_DEP_1)
	v_fmac_f64_e32 v[30:31], v[30:31], v[32:33]
	v_div_scale_f64 v[32:33], vcc_lo, v[2:3], v[22:23], v[2:3]
	s_wait_xcnt 0x0
	v_mul_f64_e32 v[34:35], v[32:33], v[30:31]
	s_delay_alu instid0(VALU_DEP_1) | instskip(NEXT) | instid1(VALU_DEP_1)
	v_fma_f64 v[32:33], -v[36:37], v[34:35], v[32:33]
	v_div_fmas_f64 v[30:31], v[32:33], v[30:31], v[34:35]
	s_and_b32 vcc_lo, exec_lo, s4
	s_delay_alu instid0(VALU_DEP_1)
	v_div_fixup_f64 v[22:23], v[30:31], v[22:23], v[2:3]
	s_cbranch_vccz .LBB115_60
; %bb.50:                               ;   in Loop: Header=BB115_49 Depth=1
	s_wait_loadcnt 0x0
	s_delay_alu instid0(VALU_DEP_1)
	v_fma_f64 v[2:3], s[6:7], v[22:23], v[18:19]
	s_cbranch_execnz .LBB115_52
.LBB115_51:                             ;   in Loop: Header=BB115_49 Depth=1
	s_wait_loadcnt 0x0
	s_delay_alu instid0(VALU_DEP_1)
	v_add_f64_e32 v[2:3], v[18:19], v[22:23]
.LBB115_52:                             ;   in Loop: Header=BB115_49 Depth=1
	s_wait_loadcnt 0x0
	v_div_scale_f64 v[18:19], null, v[24:25], v[24:25], v[4:5]
	s_delay_alu instid0(VALU_DEP_1) | instskip(SKIP_1) | instid1(TRANS32_DEP_1)
	v_rcp_f64_e32 v[22:23], v[18:19]
	v_nop
	v_fma_f64 v[30:31], -v[18:19], v[22:23], 1.0
	s_delay_alu instid0(VALU_DEP_1) | instskip(NEXT) | instid1(VALU_DEP_1)
	v_fmac_f64_e32 v[22:23], v[22:23], v[30:31]
	v_fma_f64 v[30:31], -v[18:19], v[22:23], 1.0
	s_delay_alu instid0(VALU_DEP_1) | instskip(SKIP_1) | instid1(VALU_DEP_1)
	v_fmac_f64_e32 v[22:23], v[22:23], v[30:31]
	v_div_scale_f64 v[30:31], vcc_lo, v[4:5], v[24:25], v[4:5]
	v_mul_f64_e32 v[32:33], v[30:31], v[22:23]
	s_delay_alu instid0(VALU_DEP_1) | instskip(NEXT) | instid1(VALU_DEP_1)
	v_fma_f64 v[18:19], -v[18:19], v[32:33], v[30:31]
	v_div_fmas_f64 v[18:19], v[18:19], v[22:23], v[32:33]
	s_and_not1_b32 vcc_lo, exec_lo, s4
	s_delay_alu instid0(VALU_DEP_1)
	v_div_fixup_f64 v[18:19], v[18:19], v[24:25], v[4:5]
	s_cbranch_vccnz .LBB115_61
; %bb.53:                               ;   in Loop: Header=BB115_49 Depth=1
	s_delay_alu instid0(VALU_DEP_1)
	v_fma_f64 v[4:5], s[6:7], v[18:19], v[20:21]
	s_cbranch_execnz .LBB115_55
.LBB115_54:                             ;   in Loop: Header=BB115_49 Depth=1
	s_delay_alu instid0(VALU_DEP_1)
	v_add_f64_e32 v[4:5], v[20:21], v[18:19]
.LBB115_55:                             ;   in Loop: Header=BB115_49 Depth=1
	v_div_scale_f64 v[18:19], null, v[14:15], v[14:15], v[10:11]
	s_delay_alu instid0(VALU_DEP_1) | instskip(SKIP_1) | instid1(TRANS32_DEP_1)
	v_rcp_f64_e32 v[20:21], v[18:19]
	v_nop
	v_fma_f64 v[22:23], -v[18:19], v[20:21], 1.0
	s_delay_alu instid0(VALU_DEP_1) | instskip(NEXT) | instid1(VALU_DEP_1)
	v_fmac_f64_e32 v[20:21], v[20:21], v[22:23]
	v_fma_f64 v[22:23], -v[18:19], v[20:21], 1.0
	s_delay_alu instid0(VALU_DEP_1) | instskip(SKIP_1) | instid1(VALU_DEP_1)
	v_fmac_f64_e32 v[20:21], v[20:21], v[22:23]
	v_div_scale_f64 v[22:23], vcc_lo, v[10:11], v[14:15], v[10:11]
	v_mul_f64_e32 v[24:25], v[22:23], v[20:21]
	s_delay_alu instid0(VALU_DEP_1) | instskip(NEXT) | instid1(VALU_DEP_1)
	v_fma_f64 v[18:19], -v[18:19], v[24:25], v[22:23]
	v_div_fmas_f64 v[18:19], v[18:19], v[20:21], v[24:25]
	s_and_not1_b32 vcc_lo, exec_lo, s4
	s_delay_alu instid0(VALU_DEP_1)
	v_div_fixup_f64 v[14:15], v[18:19], v[14:15], v[10:11]
	s_cbranch_vccnz .LBB115_62
; %bb.56:                               ;   in Loop: Header=BB115_49 Depth=1
	s_delay_alu instid0(VALU_DEP_1)
	v_fma_f64 v[10:11], s[6:7], v[14:15], v[6:7]
	s_cbranch_execnz .LBB115_58
.LBB115_57:                             ;   in Loop: Header=BB115_49 Depth=1
	s_delay_alu instid0(VALU_DEP_1)
	v_add_f64_e32 v[10:11], v[6:7], v[14:15]
.LBB115_58:                             ;   in Loop: Header=BB115_49 Depth=1
	v_div_scale_f64 v[6:7], null, v[16:17], v[16:17], v[12:13]
	s_delay_alu instid0(VALU_DEP_1) | instskip(SKIP_1) | instid1(TRANS32_DEP_1)
	v_rcp_f64_e32 v[14:15], v[6:7]
	v_nop
	v_fma_f64 v[18:19], -v[6:7], v[14:15], 1.0
	s_delay_alu instid0(VALU_DEP_1) | instskip(NEXT) | instid1(VALU_DEP_1)
	v_fmac_f64_e32 v[14:15], v[14:15], v[18:19]
	v_fma_f64 v[18:19], -v[6:7], v[14:15], 1.0
	s_delay_alu instid0(VALU_DEP_1) | instskip(SKIP_1) | instid1(VALU_DEP_1)
	v_fmac_f64_e32 v[14:15], v[14:15], v[18:19]
	v_div_scale_f64 v[18:19], vcc_lo, v[12:13], v[16:17], v[12:13]
	v_mul_f64_e32 v[20:21], v[18:19], v[14:15]
	s_delay_alu instid0(VALU_DEP_1) | instskip(NEXT) | instid1(VALU_DEP_1)
	v_fma_f64 v[6:7], -v[6:7], v[20:21], v[18:19]
	v_div_fmas_f64 v[6:7], v[6:7], v[14:15], v[20:21]
	s_and_not1_b32 vcc_lo, exec_lo, s4
	s_delay_alu instid0(VALU_DEP_1)
	v_div_fixup_f64 v[6:7], v[6:7], v[16:17], v[12:13]
	s_cbranch_vccnz .LBB115_63
; %bb.59:                               ;   in Loop: Header=BB115_49 Depth=1
	s_delay_alu instid0(VALU_DEP_1)
	v_fma_f64 v[12:13], s[6:7], v[6:7], v[8:9]
	s_cbranch_execnz .LBB115_48
	s_branch .LBB115_64
.LBB115_60:                             ;   in Loop: Header=BB115_49 Depth=1
                                        ; implicit-def: $vgpr2_vgpr3
	s_branch .LBB115_51
.LBB115_61:                             ;   in Loop: Header=BB115_49 Depth=1
	s_branch .LBB115_54
.LBB115_62:                             ;   in Loop: Header=BB115_49 Depth=1
                                        ; implicit-def: $vgpr10_vgpr11
	s_branch .LBB115_57
.LBB115_63:                             ;   in Loop: Header=BB115_49 Depth=1
.LBB115_64:                             ;   in Loop: Header=BB115_49 Depth=1
	s_delay_alu instid0(VALU_DEP_1)
	v_add_f64_e32 v[12:13], v[8:9], v[6:7]
	s_branch .LBB115_48
.LBB115_65:
	s_sendmsg sendmsg(MSG_DEALLOC_VGPRS)
	s_endpgm
	.section	.rodata,"a",@progbits
	.p2align	6, 0x0
	.amdhsa_kernel _ZN2at6native12_GLOBAL__N_125multi_tensor_apply_kernelINS1_28TensorListScalarListMetadataIdLi4EEENS1_28PointwiseOpScalarListFunctorIdLi4ELi3ELi3EEEJSt7dividesIdEEEEvT_T0_DpT1_
		.amdhsa_group_segment_fixed_size 0
		.amdhsa_private_segment_fixed_size 0
		.amdhsa_kernarg_size 3592
		.amdhsa_user_sgpr_count 2
		.amdhsa_user_sgpr_dispatch_ptr 0
		.amdhsa_user_sgpr_queue_ptr 0
		.amdhsa_user_sgpr_kernarg_segment_ptr 1
		.amdhsa_user_sgpr_dispatch_id 0
		.amdhsa_user_sgpr_kernarg_preload_length 0
		.amdhsa_user_sgpr_kernarg_preload_offset 0
		.amdhsa_user_sgpr_private_segment_size 0
		.amdhsa_wavefront_size32 1
		.amdhsa_uses_dynamic_stack 0
		.amdhsa_enable_private_segment 0
		.amdhsa_system_sgpr_workgroup_id_x 1
		.amdhsa_system_sgpr_workgroup_id_y 0
		.amdhsa_system_sgpr_workgroup_id_z 0
		.amdhsa_system_sgpr_workgroup_info 0
		.amdhsa_system_vgpr_workitem_id 0
		.amdhsa_next_free_vgpr 76
		.amdhsa_next_free_sgpr 36
		.amdhsa_named_barrier_count 0
		.amdhsa_reserve_vcc 1
		.amdhsa_float_round_mode_32 0
		.amdhsa_float_round_mode_16_64 0
		.amdhsa_float_denorm_mode_32 3
		.amdhsa_float_denorm_mode_16_64 3
		.amdhsa_fp16_overflow 0
		.amdhsa_memory_ordered 1
		.amdhsa_forward_progress 1
		.amdhsa_inst_pref_size 20
		.amdhsa_round_robin_scheduling 0
		.amdhsa_exception_fp_ieee_invalid_op 0
		.amdhsa_exception_fp_denorm_src 0
		.amdhsa_exception_fp_ieee_div_zero 0
		.amdhsa_exception_fp_ieee_overflow 0
		.amdhsa_exception_fp_ieee_underflow 0
		.amdhsa_exception_fp_ieee_inexact 0
		.amdhsa_exception_int_div_zero 0
	.end_amdhsa_kernel
	.section	.text._ZN2at6native12_GLOBAL__N_125multi_tensor_apply_kernelINS1_28TensorListScalarListMetadataIdLi4EEENS1_28PointwiseOpScalarListFunctorIdLi4ELi3ELi3EEEJSt7dividesIdEEEEvT_T0_DpT1_,"axG",@progbits,_ZN2at6native12_GLOBAL__N_125multi_tensor_apply_kernelINS1_28TensorListScalarListMetadataIdLi4EEENS1_28PointwiseOpScalarListFunctorIdLi4ELi3ELi3EEEJSt7dividesIdEEEEvT_T0_DpT1_,comdat
.Lfunc_end115:
	.size	_ZN2at6native12_GLOBAL__N_125multi_tensor_apply_kernelINS1_28TensorListScalarListMetadataIdLi4EEENS1_28PointwiseOpScalarListFunctorIdLi4ELi3ELi3EEEJSt7dividesIdEEEEvT_T0_DpT1_, .Lfunc_end115-_ZN2at6native12_GLOBAL__N_125multi_tensor_apply_kernelINS1_28TensorListScalarListMetadataIdLi4EEENS1_28PointwiseOpScalarListFunctorIdLi4ELi3ELi3EEEJSt7dividesIdEEEEvT_T0_DpT1_
                                        ; -- End function
	.set _ZN2at6native12_GLOBAL__N_125multi_tensor_apply_kernelINS1_28TensorListScalarListMetadataIdLi4EEENS1_28PointwiseOpScalarListFunctorIdLi4ELi3ELi3EEEJSt7dividesIdEEEEvT_T0_DpT1_.num_vgpr, 76
	.set _ZN2at6native12_GLOBAL__N_125multi_tensor_apply_kernelINS1_28TensorListScalarListMetadataIdLi4EEENS1_28PointwiseOpScalarListFunctorIdLi4ELi3ELi3EEEJSt7dividesIdEEEEvT_T0_DpT1_.num_agpr, 0
	.set _ZN2at6native12_GLOBAL__N_125multi_tensor_apply_kernelINS1_28TensorListScalarListMetadataIdLi4EEENS1_28PointwiseOpScalarListFunctorIdLi4ELi3ELi3EEEJSt7dividesIdEEEEvT_T0_DpT1_.numbered_sgpr, 36
	.set _ZN2at6native12_GLOBAL__N_125multi_tensor_apply_kernelINS1_28TensorListScalarListMetadataIdLi4EEENS1_28PointwiseOpScalarListFunctorIdLi4ELi3ELi3EEEJSt7dividesIdEEEEvT_T0_DpT1_.num_named_barrier, 0
	.set _ZN2at6native12_GLOBAL__N_125multi_tensor_apply_kernelINS1_28TensorListScalarListMetadataIdLi4EEENS1_28PointwiseOpScalarListFunctorIdLi4ELi3ELi3EEEJSt7dividesIdEEEEvT_T0_DpT1_.private_seg_size, 0
	.set _ZN2at6native12_GLOBAL__N_125multi_tensor_apply_kernelINS1_28TensorListScalarListMetadataIdLi4EEENS1_28PointwiseOpScalarListFunctorIdLi4ELi3ELi3EEEJSt7dividesIdEEEEvT_T0_DpT1_.uses_vcc, 1
	.set _ZN2at6native12_GLOBAL__N_125multi_tensor_apply_kernelINS1_28TensorListScalarListMetadataIdLi4EEENS1_28PointwiseOpScalarListFunctorIdLi4ELi3ELi3EEEJSt7dividesIdEEEEvT_T0_DpT1_.uses_flat_scratch, 0
	.set _ZN2at6native12_GLOBAL__N_125multi_tensor_apply_kernelINS1_28TensorListScalarListMetadataIdLi4EEENS1_28PointwiseOpScalarListFunctorIdLi4ELi3ELi3EEEJSt7dividesIdEEEEvT_T0_DpT1_.has_dyn_sized_stack, 0
	.set _ZN2at6native12_GLOBAL__N_125multi_tensor_apply_kernelINS1_28TensorListScalarListMetadataIdLi4EEENS1_28PointwiseOpScalarListFunctorIdLi4ELi3ELi3EEEJSt7dividesIdEEEEvT_T0_DpT1_.has_recursion, 0
	.set _ZN2at6native12_GLOBAL__N_125multi_tensor_apply_kernelINS1_28TensorListScalarListMetadataIdLi4EEENS1_28PointwiseOpScalarListFunctorIdLi4ELi3ELi3EEEJSt7dividesIdEEEEvT_T0_DpT1_.has_indirect_call, 0
	.section	.AMDGPU.csdata,"",@progbits
; Kernel info:
; codeLenInByte = 2560
; TotalNumSgprs: 38
; NumVgprs: 76
; ScratchSize: 0
; MemoryBound: 1
; FloatMode: 240
; IeeeMode: 1
; LDSByteSize: 0 bytes/workgroup (compile time only)
; SGPRBlocks: 0
; VGPRBlocks: 4
; NumSGPRsForWavesPerEU: 38
; NumVGPRsForWavesPerEU: 76
; NamedBarCnt: 0
; Occupancy: 12
; WaveLimiterHint : 1
; COMPUTE_PGM_RSRC2:SCRATCH_EN: 0
; COMPUTE_PGM_RSRC2:USER_SGPR: 2
; COMPUTE_PGM_RSRC2:TRAP_HANDLER: 0
; COMPUTE_PGM_RSRC2:TGID_X_EN: 1
; COMPUTE_PGM_RSRC2:TGID_Y_EN: 0
; COMPUTE_PGM_RSRC2:TGID_Z_EN: 0
; COMPUTE_PGM_RSRC2:TIDIG_COMP_CNT: 0
	.section	.text._ZN2at6native12_GLOBAL__N_125multi_tensor_apply_kernelINS1_28TensorListScalarListMetadataIfLi4EEENS1_28PointwiseOpScalarListFunctorIfLi4ELi3ELi3EEEJSt7dividesIfEEEEvT_T0_DpT1_,"axG",@progbits,_ZN2at6native12_GLOBAL__N_125multi_tensor_apply_kernelINS1_28TensorListScalarListMetadataIfLi4EEENS1_28PointwiseOpScalarListFunctorIfLi4ELi3ELi3EEEJSt7dividesIfEEEEvT_T0_DpT1_,comdat
	.globl	_ZN2at6native12_GLOBAL__N_125multi_tensor_apply_kernelINS1_28TensorListScalarListMetadataIfLi4EEENS1_28PointwiseOpScalarListFunctorIfLi4ELi3ELi3EEEJSt7dividesIfEEEEvT_T0_DpT1_ ; -- Begin function _ZN2at6native12_GLOBAL__N_125multi_tensor_apply_kernelINS1_28TensorListScalarListMetadataIfLi4EEENS1_28PointwiseOpScalarListFunctorIfLi4ELi3ELi3EEEJSt7dividesIfEEEEvT_T0_DpT1_
	.p2align	8
	.type	_ZN2at6native12_GLOBAL__N_125multi_tensor_apply_kernelINS1_28TensorListScalarListMetadataIfLi4EEENS1_28PointwiseOpScalarListFunctorIfLi4ELi3ELi3EEEJSt7dividesIfEEEEvT_T0_DpT1_,@function
_ZN2at6native12_GLOBAL__N_125multi_tensor_apply_kernelINS1_28TensorListScalarListMetadataIfLi4EEENS1_28PointwiseOpScalarListFunctorIfLi4ELi3ELi3EEEJSt7dividesIfEEEEvT_T0_DpT1_: ; @_ZN2at6native12_GLOBAL__N_125multi_tensor_apply_kernelINS1_28TensorListScalarListMetadataIfLi4EEENS1_28PointwiseOpScalarListFunctorIfLi4ELi3ELi3EEEJSt7dividesIfEEEEvT_T0_DpT1_
; %bb.0:
	s_bfe_u32 s2, ttmp6, 0x4000c
	s_and_b32 s3, ttmp6, 15
	s_add_co_i32 s2, s2, 1
	s_getreg_b32 s4, hwreg(HW_REG_IB_STS2, 6, 4)
	s_mul_i32 s2, ttmp9, s2
	s_delay_alu instid0(SALU_CYCLE_1)
	s_add_co_i32 s3, s3, s2
	s_cmp_eq_u32 s4, 0
	s_cselect_b32 s2, ttmp9, s3
	s_mov_b32 s3, 0
	s_load_u8 s24, s[0:1], s2 offset:0x630
	s_add_nc_u64 s[4:5], s[0:1], s[2:3]
	s_mul_u64 s[6:7], s[2:3], 3
	s_delay_alu instid0(SALU_CYCLE_1)
	s_add_nc_u64 s[4:5], s[4:5], s[6:7]
	s_load_b32 s18, s[4:5], 0x770
	s_wait_kmcnt 0x0
	s_clause 0x4
	s_load_b64 s[10:11], s[0:1], s24 offset:0x120 scale_offset
	s_load_b64 s[12:13], s[0:1], s24 offset:0x0 scale_offset
	;; [unrolled: 1-line block ×5, first 2 shown]
	s_lshl_b32 s2, s24, 3
	s_delay_alu instid0(SALU_CYCLE_1) | instskip(SKIP_1) | instid1(SALU_CYCLE_1)
	s_add_nc_u64 s[16:17], s[0:1], s[2:3]
	s_ashr_i32 s19, s18, 31
	s_lshl_b64 s[14:15], s[18:19], 18
	s_wait_kmcnt 0x0
	s_add_nc_u64 s[4:5], s[10:11], s[14:15]
	s_add_nc_u64 s[22:23], s[6:7], s[14:15]
	s_and_b32 s2, s4, 15
	s_and_b64 s[4:5], s[12:13], 15
	s_cmp_eq_u64 s[2:3], 0
	s_cselect_b32 s25, -1, 0
	s_or_b32 s2, s8, s22
	s_delay_alu instid0(SALU_CYCLE_1) | instskip(NEXT) | instid1(SALU_CYCLE_1)
	s_and_b32 s2, s2, 15
	s_cmp_eq_u32 s2, 0
	s_cselect_b32 s26, -1, 0
	s_lshl_b32 s2, s24, 2
	s_delay_alu instid0(SALU_CYCLE_1)
	s_sub_nc_u64 s[22:23], 0, s[2:3]
	s_and_b32 s2, s20, 3
	s_add_nc_u64 s[16:17], s[16:17], s[22:23]
	s_or_b64 s[2:3], s[4:5], s[2:3]
	s_load_b32 s16, s[16:17], 0x5a0
	s_wait_xcnt 0x0
	s_and_b32 s17, s26, s25
	s_lshl_b64 s[4:5], s[18:19], 16
	s_cmp_eq_u64 s[2:3], 0
	s_sub_nc_u64 s[18:19], s[20:21], s[4:5]
	s_cselect_b32 s2, -1, 0
	s_delay_alu instid0(SALU_CYCLE_1) | instskip(NEXT) | instid1(SALU_CYCLE_1)
	s_and_b32 s2, s17, s2
	s_and_b32 vcc_lo, exec_lo, s2
	s_mov_b32 s2, -1
	s_cbranch_vccnz .LBB116_29
; %bb.1:
	v_cmp_lt_i64_e64 s2, s[18:19], 1
	s_and_b32 vcc_lo, exec_lo, s2
	s_cbranch_vccnz .LBB116_28
; %bb.2:
	s_load_b32 s2, s[0:1], 0xc84
	v_min_i64 v[2:3], 0x10000, s[18:19]
	v_min_u64 v[4:5], 0x10000, s[18:19]
	v_dual_mov_b32 v1, 0 :: v_dual_lshlrev_b32 v20, 2, v0
	s_mov_b32 s23, 0
	s_mov_b64 s[24:25], 0
	s_mov_b32 s3, s23
	s_delay_alu instid0(VALU_DEP_1) | instskip(SKIP_2) | instid1(VALU_DEP_1)
	v_dual_mov_b32 v21, v1 :: v_dual_mov_b32 v43, v1
	s_mov_b32 s21, s23
	s_mov_b32 s5, s23
	v_add_nc_u64_e32 v[6:7], s[12:13], v[20:21]
	v_add_nc_u64_e32 v[8:9], s[10:11], v[20:21]
	;; [unrolled: 1-line block ×4, first 2 shown]
	s_wait_kmcnt 0x0
	s_and_b32 s22, s2, 0xffff
	s_delay_alu instid0(SALU_CYCLE_1)
	s_lshl_b32 s4, s22, 1
	s_cmp_eq_f32 s16, 1.0
	v_add_nc_u64_e32 v[12:13], s[22:23], v[0:1]
	v_mad_nc_u64_u32 v[26:27], s22, 12, v[20:21]
	s_mul_i32 s2, s22, 3
	v_add_nc_u64_e32 v[18:19], s[4:5], v[0:1]
	v_add_nc_u64_e32 v[16:17], s[2:3], v[0:1]
	s_cselect_b32 s2, -1, 0
	s_lshl_b32 s20, s22, 3
	v_lshlrev_b32_e32 v42, 2, v12
	v_add_nc_u64_e32 v[38:39], s[20:21], v[20:21]
	s_lshl_b32 s20, s22, 2
	s_lshl_b32 s22, s22, 4
	v_add_nc_u64_e32 v[20:21], s[12:13], v[26:27]
	v_add_nc_u64_e32 v[22:23], s[10:11], v[26:27]
	;; [unrolled: 1-line block ×12, first 2 shown]
	s_branch .LBB116_4
.LBB116_3:                              ;   in Loop: Header=BB116_4 Depth=1
	s_wait_xcnt 0x0
	s_or_b32 exec_lo, exec_lo, s3
	s_add_nc_u64 s[24:25], s[24:25], s[20:21]
	v_add_nc_u64_e32 v[6:7], s[22:23], v[6:7]
	v_cmp_lt_i64_e32 vcc_lo, s[24:25], v[2:3]
	v_add_nc_u64_e32 v[8:9], s[22:23], v[8:9]
	v_add_nc_u64_e32 v[10:11], s[22:23], v[10:11]
	;; [unrolled: 1-line block ×15, first 2 shown]
	s_cbranch_vccz .LBB116_28
.LBB116_4:                              ; =>This Inner Loop Header: Depth=1
	s_wait_loadcnt 0x0
	v_add_nc_u64_e32 v[44:45], s[24:25], v[0:1]
	v_mov_b32_e32 v47, 0
	s_delay_alu instid0(VALU_DEP_2)
	v_cmp_lt_u64_e32 vcc_lo, v[44:45], v[4:5]
	v_mov_b32_e32 v45, 0
	s_and_saveexec_b32 s3, vcc_lo
	s_cbranch_execz .LBB116_6
; %bb.5:                                ;   in Loop: Header=BB116_4 Depth=1
	v_add_nc_u64_e32 v[48:49], s[14:15], v[6:7]
	v_add_nc_u64_e32 v[50:51], s[14:15], v[8:9]
	global_load_b32 v45, v[48:49], off
	global_load_b32 v47, v[50:51], off
.LBB116_6:                              ;   in Loop: Header=BB116_4 Depth=1
	s_wait_xcnt 0x0
	s_or_b32 exec_lo, exec_lo, s3
	v_dual_mov_b32 v44, 0 :: v_dual_mov_b32 v52, 0
	s_and_saveexec_b32 s3, vcc_lo
	s_cbranch_execz .LBB116_8
; %bb.7:                                ;   in Loop: Header=BB116_4 Depth=1
	v_add_nc_u64_e32 v[48:49], s[14:15], v[10:11]
	global_load_b32 v52, v[48:49], off
.LBB116_8:                              ;   in Loop: Header=BB116_4 Depth=1
	s_wait_xcnt 0x0
	s_or_b32 exec_lo, exec_lo, s3
	v_add_nc_u64_e32 v[48:49], s[24:25], v[12:13]
	s_delay_alu instid0(VALU_DEP_1)
	v_cmp_lt_u64_e64 s3, v[48:49], v[4:5]
	v_mov_b32_e32 v48, 0
	s_and_saveexec_b32 s4, s3
	s_cbranch_execz .LBB116_10
; %bb.9:                                ;   in Loop: Header=BB116_4 Depth=1
	v_add_nc_u64_e32 v[50:51], s[14:15], v[28:29]
	v_add_nc_u64_e32 v[54:55], s[14:15], v[30:31]
	global_load_b32 v48, v[50:51], off
	global_load_b32 v44, v[54:55], off
.LBB116_10:                             ;   in Loop: Header=BB116_4 Depth=1
	s_wait_xcnt 0x0
	s_or_b32 exec_lo, exec_lo, s4
	v_dual_mov_b32 v46, 0 :: v_dual_mov_b32 v53, 0
	s_and_saveexec_b32 s4, s3
	s_cbranch_execz .LBB116_12
; %bb.11:                               ;   in Loop: Header=BB116_4 Depth=1
	v_add_nc_u64_e32 v[50:51], s[14:15], v[40:41]
	global_load_b32 v53, v[50:51], off
.LBB116_12:                             ;   in Loop: Header=BB116_4 Depth=1
	s_wait_xcnt 0x0
	s_or_b32 exec_lo, exec_lo, s4
	v_add_nc_u64_e32 v[50:51], s[24:25], v[18:19]
	s_delay_alu instid0(VALU_DEP_1)
	v_cmp_lt_u64_e64 s4, v[50:51], v[4:5]
	v_mov_b32_e32 v50, 0
	s_and_saveexec_b32 s5, s4
	s_cbranch_execz .LBB116_14
; %bb.13:                               ;   in Loop: Header=BB116_4 Depth=1
	v_add_nc_u64_e32 v[54:55], s[14:15], v[32:33]
	v_add_nc_u64_e32 v[56:57], s[14:15], v[34:35]
	global_load_b32 v50, v[54:55], off
	global_load_b32 v46, v[56:57], off
.LBB116_14:                             ;   in Loop: Header=BB116_4 Depth=1
	s_wait_xcnt 0x0
	s_or_b32 exec_lo, exec_lo, s5
	v_dual_mov_b32 v49, 0 :: v_dual_mov_b32 v54, 0
	s_and_saveexec_b32 s5, s4
	s_cbranch_execz .LBB116_16
; %bb.15:                               ;   in Loop: Header=BB116_4 Depth=1
	v_add_nc_u64_e32 v[54:55], s[14:15], v[36:37]
	global_load_b32 v54, v[54:55], off
.LBB116_16:                             ;   in Loop: Header=BB116_4 Depth=1
	s_wait_xcnt 0x0
	s_or_b32 exec_lo, exec_lo, s5
	v_add_nc_u64_e32 v[56:57], s[24:25], v[16:17]
	v_mov_b32_e32 v51, 0
	s_delay_alu instid0(VALU_DEP_2)
	v_cmp_lt_u64_e64 s5, v[56:57], v[4:5]
	s_and_saveexec_b32 s17, s5
	s_cbranch_execnz .LBB116_22
; %bb.17:                               ;   in Loop: Header=BB116_4 Depth=1
	s_or_b32 exec_lo, exec_lo, s17
	v_mov_b32_e32 v55, 0
	s_and_saveexec_b32 s17, s5
	s_cbranch_execnz .LBB116_23
.LBB116_18:                             ;   in Loop: Header=BB116_4 Depth=1
	s_or_b32 exec_lo, exec_lo, s17
	s_and_saveexec_b32 s17, vcc_lo
	s_cbranch_execnz .LBB116_24
.LBB116_19:                             ;   in Loop: Header=BB116_4 Depth=1
	s_or_b32 exec_lo, exec_lo, s17
	s_and_saveexec_b32 s17, s3
	s_cbranch_execnz .LBB116_25
.LBB116_20:                             ;   in Loop: Header=BB116_4 Depth=1
	s_or_b32 exec_lo, exec_lo, s17
	s_and_saveexec_b32 s3, s4
	s_cbranch_execnz .LBB116_26
.LBB116_21:                             ;   in Loop: Header=BB116_4 Depth=1
	s_or_b32 exec_lo, exec_lo, s3
	s_and_saveexec_b32 s3, s5
	s_cbranch_execz .LBB116_3
	s_branch .LBB116_27
.LBB116_22:                             ;   in Loop: Header=BB116_4 Depth=1
	v_add_nc_u64_e32 v[56:57], s[14:15], v[20:21]
	v_add_nc_u64_e32 v[58:59], s[14:15], v[22:23]
	global_load_b32 v51, v[56:57], off
	global_load_b32 v49, v[58:59], off
	s_wait_xcnt 0x0
	s_or_b32 exec_lo, exec_lo, s17
	v_mov_b32_e32 v55, 0
	s_and_saveexec_b32 s17, s5
	s_cbranch_execz .LBB116_18
.LBB116_23:                             ;   in Loop: Header=BB116_4 Depth=1
	v_add_nc_u64_e32 v[56:57], s[14:15], v[24:25]
	global_load_b32 v55, v[56:57], off
	s_wait_xcnt 0x0
	s_or_b32 exec_lo, exec_lo, s17
	s_and_saveexec_b32 s17, vcc_lo
	s_cbranch_execz .LBB116_19
.LBB116_24:                             ;   in Loop: Header=BB116_4 Depth=1
	s_wait_loadcnt 0x0
	v_div_scale_f32 v56, null, v52, v52, v47
	v_div_scale_f32 v59, vcc_lo, v47, v52, v47
	s_delay_alu instid0(VALU_DEP_2) | instskip(SKIP_1) | instid1(TRANS32_DEP_1)
	v_rcp_f32_e32 v57, v56
	v_nop
	v_fma_f32 v58, -v56, v57, 1.0
	s_delay_alu instid0(VALU_DEP_1) | instskip(NEXT) | instid1(VALU_DEP_1)
	v_fmac_f32_e32 v57, v58, v57
	v_mul_f32_e32 v58, v59, v57
	s_delay_alu instid0(VALU_DEP_1) | instskip(NEXT) | instid1(VALU_DEP_1)
	v_fma_f32 v60, -v56, v58, v59
	v_fmac_f32_e32 v58, v60, v57
	s_delay_alu instid0(VALU_DEP_1) | instskip(NEXT) | instid1(VALU_DEP_1)
	v_fma_f32 v56, -v56, v58, v59
	v_div_fmas_f32 v56, v56, v57, v58
	s_delay_alu instid0(VALU_DEP_1) | instskip(SKIP_1) | instid1(VALU_DEP_2)
	v_div_fixup_f32 v47, v56, v52, v47
	v_add_nc_u64_e32 v[56:57], s[14:15], v[14:15]
	v_dual_add_f32 v52, v45, v47 :: v_dual_fmac_f32 v45, s16, v47
	s_delay_alu instid0(VALU_DEP_1)
	v_cndmask_b32_e64 v45, v45, v52, s2
	global_store_b32 v[56:57], v45, off
	s_wait_xcnt 0x0
	s_or_b32 exec_lo, exec_lo, s17
	s_and_saveexec_b32 s17, s3
	s_cbranch_execz .LBB116_20
.LBB116_25:                             ;   in Loop: Header=BB116_4 Depth=1
	s_wait_loadcnt 0x0
	v_div_scale_f32 v45, null, v53, v53, v44
	v_div_scale_f32 v56, vcc_lo, v44, v53, v44
	s_delay_alu instid0(VALU_DEP_2) | instskip(SKIP_1) | instid1(TRANS32_DEP_1)
	v_rcp_f32_e32 v47, v45
	v_nop
	v_fma_f32 v52, -v45, v47, 1.0
	s_delay_alu instid0(VALU_DEP_1) | instskip(NEXT) | instid1(VALU_DEP_1)
	v_fmac_f32_e32 v47, v52, v47
	v_mul_f32_e32 v52, v56, v47
	s_delay_alu instid0(VALU_DEP_1) | instskip(NEXT) | instid1(VALU_DEP_1)
	v_fma_f32 v57, -v45, v52, v56
	v_fmac_f32_e32 v52, v57, v47
	s_delay_alu instid0(VALU_DEP_1) | instskip(NEXT) | instid1(VALU_DEP_1)
	v_fma_f32 v45, -v45, v52, v56
	v_div_fmas_f32 v45, v45, v47, v52
	s_delay_alu instid0(VALU_DEP_1) | instskip(NEXT) | instid1(VALU_DEP_1)
	v_div_fixup_f32 v44, v45, v53, v44
	v_dual_add_f32 v47, v48, v44 :: v_dual_fmac_f32 v48, s16, v44
	v_add_nc_u64_e32 v[44:45], s[14:15], v[42:43]
	s_delay_alu instid0(VALU_DEP_2)
	v_cndmask_b32_e64 v47, v48, v47, s2
	global_store_b32 v[44:45], v47, off
	s_wait_xcnt 0x0
	s_or_b32 exec_lo, exec_lo, s17
	s_and_saveexec_b32 s3, s4
	s_cbranch_execz .LBB116_21
.LBB116_26:                             ;   in Loop: Header=BB116_4 Depth=1
	s_wait_loadcnt 0x0
	v_div_scale_f32 v44, null, v54, v54, v46
	v_div_scale_f32 v48, vcc_lo, v46, v54, v46
	s_delay_alu instid0(VALU_DEP_2) | instskip(SKIP_1) | instid1(TRANS32_DEP_1)
	v_rcp_f32_e32 v45, v44
	v_nop
	v_fma_f32 v47, -v44, v45, 1.0
	s_delay_alu instid0(VALU_DEP_1) | instskip(NEXT) | instid1(VALU_DEP_1)
	v_fmac_f32_e32 v45, v47, v45
	v_mul_f32_e32 v47, v48, v45
	s_delay_alu instid0(VALU_DEP_1) | instskip(NEXT) | instid1(VALU_DEP_1)
	v_fma_f32 v52, -v44, v47, v48
	v_fmac_f32_e32 v47, v52, v45
	s_delay_alu instid0(VALU_DEP_1) | instskip(NEXT) | instid1(VALU_DEP_1)
	v_fma_f32 v44, -v44, v47, v48
	v_div_fmas_f32 v44, v44, v45, v47
	s_delay_alu instid0(VALU_DEP_1) | instskip(NEXT) | instid1(VALU_DEP_1)
	v_div_fixup_f32 v44, v44, v54, v46
	v_dual_add_f32 v46, v50, v44 :: v_dual_fmac_f32 v50, s16, v44
	v_add_nc_u64_e32 v[44:45], s[14:15], v[38:39]
	s_delay_alu instid0(VALU_DEP_2)
	v_cndmask_b32_e64 v46, v50, v46, s2
	global_store_b32 v[44:45], v46, off
	s_wait_xcnt 0x0
	s_or_b32 exec_lo, exec_lo, s3
	s_and_saveexec_b32 s3, s5
	s_cbranch_execz .LBB116_3
.LBB116_27:                             ;   in Loop: Header=BB116_4 Depth=1
	s_wait_loadcnt 0x0
	v_div_scale_f32 v44, null, v55, v55, v49
	v_div_scale_f32 v47, vcc_lo, v49, v55, v49
	s_delay_alu instid0(VALU_DEP_2) | instskip(SKIP_1) | instid1(TRANS32_DEP_1)
	v_rcp_f32_e32 v45, v44
	v_nop
	v_fma_f32 v46, -v44, v45, 1.0
	s_delay_alu instid0(VALU_DEP_1) | instskip(NEXT) | instid1(VALU_DEP_1)
	v_fmac_f32_e32 v45, v46, v45
	v_mul_f32_e32 v46, v47, v45
	s_delay_alu instid0(VALU_DEP_1) | instskip(NEXT) | instid1(VALU_DEP_1)
	v_fma_f32 v48, -v44, v46, v47
	v_fmac_f32_e32 v46, v48, v45
	s_delay_alu instid0(VALU_DEP_1) | instskip(NEXT) | instid1(VALU_DEP_1)
	v_fma_f32 v44, -v44, v46, v47
	v_div_fmas_f32 v44, v44, v45, v46
	s_delay_alu instid0(VALU_DEP_1) | instskip(NEXT) | instid1(VALU_DEP_1)
	v_div_fixup_f32 v44, v44, v55, v49
	v_dual_add_f32 v46, v51, v44 :: v_dual_fmac_f32 v51, s16, v44
	v_add_nc_u64_e32 v[44:45], s[14:15], v[26:27]
	s_delay_alu instid0(VALU_DEP_2)
	v_cndmask_b32_e64 v46, v51, v46, s2
	global_store_b32 v[44:45], v46, off
	s_branch .LBB116_3
.LBB116_28:
	s_mov_b32 s2, 0
.LBB116_29:
	s_delay_alu instid0(SALU_CYCLE_1)
	s_and_not1_b32 vcc_lo, exec_lo, s2
	s_cbranch_vccnz .LBB116_33
; %bb.30:
	v_min_i64 v[2:3], 0x10000, s[18:19]
	v_dual_mov_b32 v7, 0 :: v_dual_lshlrev_b32 v6, 2, v0
	s_mov_b32 s2, exec_lo
	s_delay_alu instid0(VALU_DEP_1)
	v_cmpx_lt_i64_e64 v[6:7], v[2:3]
	s_cbranch_execz .LBB116_33
; %bb.31:
	s_load_b32 s1, s[0:1], 0xc84
	v_dual_mov_b32 v1, v7 :: v_dual_lshlrev_b32 v6, 4, v0
	s_wait_kmcnt 0x0
	s_mov_b32 s17, s16
	s_cmp_eq_f32 s16, 1.0
	v_mov_b64_e32 v[4:5], s[16:17]
	s_mov_b32 s5, 0
	v_add_nc_u64_e32 v[6:7], s[14:15], v[6:7]
	s_cselect_b32 s0, -1, 0
	s_add_nc_u64 s[12:13], s[12:13], 8
	s_add_nc_u64 s[10:11], s[10:11], 8
	s_mov_b32 s15, s5
	s_mov_b32 s16, s5
	s_and_b32 s4, s1, 0xffff
	s_delay_alu instid0(SALU_CYCLE_1)
	s_lshl_b32 s14, s4, 4
.LBB116_32:                             ; =>This Inner Loop Header: Depth=1
	v_add_nc_u64_e32 v[16:17], s[10:11], v[6:7]
	v_add_nc_u64_e32 v[18:19], s[6:7], v[6:7]
	;; [unrolled: 1-line block ×4, first 2 shown]
	global_load_b128 v[8:11], v[16:17], off offset:-8
	global_load_b128 v[12:15], v[18:19], off
	s_wait_xcnt 0x1
	v_add_nc_u64_e32 v[16:17], s[12:13], v[6:7]
	v_lshlrev_b64_e32 v[22:23], 2, v[0:1]
	v_add_nc_u64_e32 v[6:7], s[14:15], v[6:7]
	global_load_b128 v[16:19], v[16:17], off offset:-8
	s_wait_loadcnt 0x1
	v_div_scale_f32 v24, null, v13, v13, v9
	v_div_scale_f32 v26, null, v12, v12, v8
	;; [unrolled: 1-line block ×3, first 2 shown]
	s_delay_alu instid0(VALU_DEP_3) | instskip(SKIP_1) | instid1(VALU_DEP_3)
	v_rcp_f32_e32 v32, v24
	v_div_scale_f32 v30, null, v14, v14, v10
	v_rcp_f32_e32 v33, v26
	s_delay_alu instid0(VALU_DEP_2) | instskip(SKIP_1) | instid1(VALU_DEP_2)
	v_rcp_f32_e32 v34, v28
	v_div_scale_f32 v25, vcc_lo, v9, v13, v9
	v_rcp_f32_e32 v35, v30
	v_fma_f32 v36, -v24, v32, 1.0
	v_div_scale_f32 v27, s1, v8, v12, v8
	s_delay_alu instid0(TRANS32_DEP_3) | instskip(NEXT) | instid1(TRANS32_DEP_2)
	v_fma_f32 v37, -v26, v33, 1.0
	v_fma_f32 v38, -v28, v34, 1.0
	s_delay_alu instid0(VALU_DEP_4) | instskip(NEXT) | instid1(TRANS32_DEP_1)
	v_fmac_f32_e32 v32, v36, v32
	v_fma_f32 v39, -v30, v35, 1.0
	v_div_scale_f32 v29, s2, v11, v15, v11
	s_delay_alu instid0(VALU_DEP_4) | instskip(NEXT) | instid1(VALU_DEP_3)
	v_dual_fmac_f32 v33, v37, v33 :: v_dual_fmac_f32 v34, v38, v34
	v_dual_fmac_f32 v35, v39, v35 :: v_dual_mul_f32 v36, v25, v32
	v_div_scale_f32 v31, s3, v10, v14, v10
	s_delay_alu instid0(VALU_DEP_3) | instskip(NEXT) | instid1(VALU_DEP_2)
	v_dual_mul_f32 v37, v27, v33 :: v_dual_mul_f32 v38, v29, v34
	v_dual_fma_f32 v40, -v24, v36, v25 :: v_dual_mul_f32 v39, v31, v35
	s_delay_alu instid0(VALU_DEP_2) | instskip(NEXT) | instid1(VALU_DEP_2)
	v_dual_fma_f32 v41, -v26, v37, v27 :: v_dual_fma_f32 v42, -v28, v38, v29
	v_dual_fmac_f32 v36, v40, v32 :: v_dual_fma_f32 v43, -v30, v39, v31
	s_delay_alu instid0(VALU_DEP_2) | instskip(NEXT) | instid1(VALU_DEP_2)
	v_dual_fmac_f32 v37, v41, v33 :: v_dual_fmac_f32 v38, v42, v34
	v_dual_fma_f32 v24, -v24, v36, v25 :: v_dual_fmac_f32 v39, v43, v35
	s_delay_alu instid0(VALU_DEP_2) | instskip(NEXT) | instid1(VALU_DEP_2)
	v_dual_fma_f32 v25, -v26, v37, v27 :: v_dual_fma_f32 v26, -v28, v38, v29
	v_div_fmas_f32 v24, v24, v32, v36
	s_mov_b32 vcc_lo, s1
	s_delay_alu instid0(VALU_DEP_3) | instskip(NEXT) | instid1(VALU_DEP_3)
	v_fma_f32 v27, -v30, v39, v31
	v_div_fmas_f32 v25, v25, v33, v37
	s_mov_b32 vcc_lo, s2
	v_div_fixup_f32 v9, v24, v13, v9
	v_div_fmas_f32 v26, v26, v34, v38
	s_mov_b32 vcc_lo, s3
	v_div_fixup_f32 v8, v25, v12, v8
	v_div_fmas_f32 v13, v27, v35, v39
	v_cmp_ge_i64_e32 vcc_lo, v[22:23], v[2:3]
	v_div_fixup_f32 v11, v26, v15, v11
	s_delay_alu instid0(VALU_DEP_3)
	v_div_fixup_f32 v10, v13, v14, v10
	s_wait_loadcnt 0x0
	v_pk_add_f32 v[12:13], v[16:17], v[8:9]
	v_pk_fma_f32 v[8:9], v[4:5], v[8:9], v[16:17]
	s_or_b32 s16, vcc_lo, s16
	v_pk_add_f32 v[14:15], v[18:19], v[10:11]
	v_pk_fma_f32 v[10:11], v[4:5], v[10:11], v[18:19]
	s_delay_alu instid0(VALU_DEP_3) | instskip(NEXT) | instid1(VALU_DEP_2)
	v_dual_cndmask_b32 v9, v9, v13, s0 :: v_dual_cndmask_b32 v8, v8, v12, s0
	v_dual_cndmask_b32 v11, v11, v15, s0 :: v_dual_cndmask_b32 v10, v10, v14, s0
	global_store_b128 v[20:21], v[8:11], off
	s_wait_xcnt 0x0
	s_and_not1_b32 exec_lo, exec_lo, s16
	s_cbranch_execnz .LBB116_32
.LBB116_33:
	s_endpgm
	.section	.rodata,"a",@progbits
	.p2align	6, 0x0
	.amdhsa_kernel _ZN2at6native12_GLOBAL__N_125multi_tensor_apply_kernelINS1_28TensorListScalarListMetadataIfLi4EEENS1_28PointwiseOpScalarListFunctorIfLi4ELi3ELi3EEEJSt7dividesIfEEEEvT_T0_DpT1_
		.amdhsa_group_segment_fixed_size 0
		.amdhsa_private_segment_fixed_size 0
		.amdhsa_kernarg_size 3448
		.amdhsa_user_sgpr_count 2
		.amdhsa_user_sgpr_dispatch_ptr 0
		.amdhsa_user_sgpr_queue_ptr 0
		.amdhsa_user_sgpr_kernarg_segment_ptr 1
		.amdhsa_user_sgpr_dispatch_id 0
		.amdhsa_user_sgpr_kernarg_preload_length 0
		.amdhsa_user_sgpr_kernarg_preload_offset 0
		.amdhsa_user_sgpr_private_segment_size 0
		.amdhsa_wavefront_size32 1
		.amdhsa_uses_dynamic_stack 0
		.amdhsa_enable_private_segment 0
		.amdhsa_system_sgpr_workgroup_id_x 1
		.amdhsa_system_sgpr_workgroup_id_y 0
		.amdhsa_system_sgpr_workgroup_id_z 0
		.amdhsa_system_sgpr_workgroup_info 0
		.amdhsa_system_vgpr_workitem_id 0
		.amdhsa_next_free_vgpr 61
		.amdhsa_next_free_sgpr 27
		.amdhsa_named_barrier_count 0
		.amdhsa_reserve_vcc 1
		.amdhsa_float_round_mode_32 0
		.amdhsa_float_round_mode_16_64 0
		.amdhsa_float_denorm_mode_32 3
		.amdhsa_float_denorm_mode_16_64 3
		.amdhsa_fp16_overflow 0
		.amdhsa_memory_ordered 1
		.amdhsa_forward_progress 1
		.amdhsa_inst_pref_size 19
		.amdhsa_round_robin_scheduling 0
		.amdhsa_exception_fp_ieee_invalid_op 0
		.amdhsa_exception_fp_denorm_src 0
		.amdhsa_exception_fp_ieee_div_zero 0
		.amdhsa_exception_fp_ieee_overflow 0
		.amdhsa_exception_fp_ieee_underflow 0
		.amdhsa_exception_fp_ieee_inexact 0
		.amdhsa_exception_int_div_zero 0
	.end_amdhsa_kernel
	.section	.text._ZN2at6native12_GLOBAL__N_125multi_tensor_apply_kernelINS1_28TensorListScalarListMetadataIfLi4EEENS1_28PointwiseOpScalarListFunctorIfLi4ELi3ELi3EEEJSt7dividesIfEEEEvT_T0_DpT1_,"axG",@progbits,_ZN2at6native12_GLOBAL__N_125multi_tensor_apply_kernelINS1_28TensorListScalarListMetadataIfLi4EEENS1_28PointwiseOpScalarListFunctorIfLi4ELi3ELi3EEEJSt7dividesIfEEEEvT_T0_DpT1_,comdat
.Lfunc_end116:
	.size	_ZN2at6native12_GLOBAL__N_125multi_tensor_apply_kernelINS1_28TensorListScalarListMetadataIfLi4EEENS1_28PointwiseOpScalarListFunctorIfLi4ELi3ELi3EEEJSt7dividesIfEEEEvT_T0_DpT1_, .Lfunc_end116-_ZN2at6native12_GLOBAL__N_125multi_tensor_apply_kernelINS1_28TensorListScalarListMetadataIfLi4EEENS1_28PointwiseOpScalarListFunctorIfLi4ELi3ELi3EEEJSt7dividesIfEEEEvT_T0_DpT1_
                                        ; -- End function
	.set _ZN2at6native12_GLOBAL__N_125multi_tensor_apply_kernelINS1_28TensorListScalarListMetadataIfLi4EEENS1_28PointwiseOpScalarListFunctorIfLi4ELi3ELi3EEEJSt7dividesIfEEEEvT_T0_DpT1_.num_vgpr, 61
	.set _ZN2at6native12_GLOBAL__N_125multi_tensor_apply_kernelINS1_28TensorListScalarListMetadataIfLi4EEENS1_28PointwiseOpScalarListFunctorIfLi4ELi3ELi3EEEJSt7dividesIfEEEEvT_T0_DpT1_.num_agpr, 0
	.set _ZN2at6native12_GLOBAL__N_125multi_tensor_apply_kernelINS1_28TensorListScalarListMetadataIfLi4EEENS1_28PointwiseOpScalarListFunctorIfLi4ELi3ELi3EEEJSt7dividesIfEEEEvT_T0_DpT1_.numbered_sgpr, 27
	.set _ZN2at6native12_GLOBAL__N_125multi_tensor_apply_kernelINS1_28TensorListScalarListMetadataIfLi4EEENS1_28PointwiseOpScalarListFunctorIfLi4ELi3ELi3EEEJSt7dividesIfEEEEvT_T0_DpT1_.num_named_barrier, 0
	.set _ZN2at6native12_GLOBAL__N_125multi_tensor_apply_kernelINS1_28TensorListScalarListMetadataIfLi4EEENS1_28PointwiseOpScalarListFunctorIfLi4ELi3ELi3EEEJSt7dividesIfEEEEvT_T0_DpT1_.private_seg_size, 0
	.set _ZN2at6native12_GLOBAL__N_125multi_tensor_apply_kernelINS1_28TensorListScalarListMetadataIfLi4EEENS1_28PointwiseOpScalarListFunctorIfLi4ELi3ELi3EEEJSt7dividesIfEEEEvT_T0_DpT1_.uses_vcc, 1
	.set _ZN2at6native12_GLOBAL__N_125multi_tensor_apply_kernelINS1_28TensorListScalarListMetadataIfLi4EEENS1_28PointwiseOpScalarListFunctorIfLi4ELi3ELi3EEEJSt7dividesIfEEEEvT_T0_DpT1_.uses_flat_scratch, 0
	.set _ZN2at6native12_GLOBAL__N_125multi_tensor_apply_kernelINS1_28TensorListScalarListMetadataIfLi4EEENS1_28PointwiseOpScalarListFunctorIfLi4ELi3ELi3EEEJSt7dividesIfEEEEvT_T0_DpT1_.has_dyn_sized_stack, 0
	.set _ZN2at6native12_GLOBAL__N_125multi_tensor_apply_kernelINS1_28TensorListScalarListMetadataIfLi4EEENS1_28PointwiseOpScalarListFunctorIfLi4ELi3ELi3EEEJSt7dividesIfEEEEvT_T0_DpT1_.has_recursion, 0
	.set _ZN2at6native12_GLOBAL__N_125multi_tensor_apply_kernelINS1_28TensorListScalarListMetadataIfLi4EEENS1_28PointwiseOpScalarListFunctorIfLi4ELi3ELi3EEEJSt7dividesIfEEEEvT_T0_DpT1_.has_indirect_call, 0
	.section	.AMDGPU.csdata,"",@progbits
; Kernel info:
; codeLenInByte = 2336
; TotalNumSgprs: 29
; NumVgprs: 61
; ScratchSize: 0
; MemoryBound: 0
; FloatMode: 240
; IeeeMode: 1
; LDSByteSize: 0 bytes/workgroup (compile time only)
; SGPRBlocks: 0
; VGPRBlocks: 3
; NumSGPRsForWavesPerEU: 29
; NumVGPRsForWavesPerEU: 61
; NamedBarCnt: 0
; Occupancy: 16
; WaveLimiterHint : 0
; COMPUTE_PGM_RSRC2:SCRATCH_EN: 0
; COMPUTE_PGM_RSRC2:USER_SGPR: 2
; COMPUTE_PGM_RSRC2:TRAP_HANDLER: 0
; COMPUTE_PGM_RSRC2:TGID_X_EN: 1
; COMPUTE_PGM_RSRC2:TGID_Y_EN: 0
; COMPUTE_PGM_RSRC2:TGID_Z_EN: 0
; COMPUTE_PGM_RSRC2:TIDIG_COMP_CNT: 0
	.section	.text._ZN2at6native12_GLOBAL__N_125multi_tensor_apply_kernelINS1_28TensorListScalarListMetadataIN3c107complexIdEELi4EEENS1_28PointwiseOpScalarListFunctorIS6_Li4ELi3ELi3EEEJSt7dividesIS6_EEEEvT_T0_DpT1_,"axG",@progbits,_ZN2at6native12_GLOBAL__N_125multi_tensor_apply_kernelINS1_28TensorListScalarListMetadataIN3c107complexIdEELi4EEENS1_28PointwiseOpScalarListFunctorIS6_Li4ELi3ELi3EEEJSt7dividesIS6_EEEEvT_T0_DpT1_,comdat
	.globl	_ZN2at6native12_GLOBAL__N_125multi_tensor_apply_kernelINS1_28TensorListScalarListMetadataIN3c107complexIdEELi4EEENS1_28PointwiseOpScalarListFunctorIS6_Li4ELi3ELi3EEEJSt7dividesIS6_EEEEvT_T0_DpT1_ ; -- Begin function _ZN2at6native12_GLOBAL__N_125multi_tensor_apply_kernelINS1_28TensorListScalarListMetadataIN3c107complexIdEELi4EEENS1_28PointwiseOpScalarListFunctorIS6_Li4ELi3ELi3EEEJSt7dividesIS6_EEEEvT_T0_DpT1_
	.p2align	8
	.type	_ZN2at6native12_GLOBAL__N_125multi_tensor_apply_kernelINS1_28TensorListScalarListMetadataIN3c107complexIdEELi4EEENS1_28PointwiseOpScalarListFunctorIS6_Li4ELi3ELi3EEEJSt7dividesIS6_EEEEvT_T0_DpT1_,@function
_ZN2at6native12_GLOBAL__N_125multi_tensor_apply_kernelINS1_28TensorListScalarListMetadataIN3c107complexIdEELi4EEENS1_28PointwiseOpScalarListFunctorIS6_Li4ELi3ELi3EEEJSt7dividesIS6_EEEEvT_T0_DpT1_: ; @_ZN2at6native12_GLOBAL__N_125multi_tensor_apply_kernelINS1_28TensorListScalarListMetadataIN3c107complexIdEELi4EEENS1_28PointwiseOpScalarListFunctorIS6_Li4ELi3ELi3EEEJSt7dividesIS6_EEEEvT_T0_DpT1_
; %bb.0:
	s_bfe_u32 s2, ttmp6, 0x4000c
	s_and_b32 s3, ttmp6, 15
	s_add_co_i32 s2, s2, 1
	s_getreg_b32 s4, hwreg(HW_REG_IB_STS2, 6, 4)
	s_mul_i32 s2, ttmp9, s2
	s_delay_alu instid0(SALU_CYCLE_1)
	s_add_co_i32 s3, s3, s2
	s_cmp_eq_u32 s4, 0
	s_cselect_b32 s2, ttmp9, s3
	s_mov_b32 s3, 0
	s_load_u8 s12, s[0:1], s2 offset:0x7e0
	s_add_nc_u64 s[4:5], s[0:1], s[2:3]
	s_mul_u64 s[6:7], s[2:3], 3
	s_delay_alu instid0(SALU_CYCLE_1)
	s_add_nc_u64 s[4:5], s[4:5], s[6:7]
	s_load_b32 s6, s[4:5], 0x920
	s_wait_kmcnt 0x0
	s_clause 0x4
	s_load_b64 s[8:9], s[0:1], s12 offset:0x240 scale_offset
	s_load_b64 s[10:11], s[0:1], s12 offset:0x360 scale_offset
	;; [unrolled: 1-line block ×5, first 2 shown]
	s_lshl_b32 s2, s12, 3
	s_mov_b32 s5, s3
	s_add_nc_u64 s[24:25], s[0:1], s[2:3]
	s_ashr_i32 s7, s6, 31
	s_delay_alu instid0(SALU_CYCLE_1)
	s_lshl_b64 s[22:23], s[6:7], 20
	s_wait_kmcnt 0x0
	s_add_nc_u64 s[12:13], s[8:9], s[22:23]
	s_add_nc_u64 s[14:15], s[10:11], s[22:23]
	s_load_b128 s[8:11], s[24:25], s2 offset:0x5a0
	s_wait_xcnt 0x0
	s_or_b32 s2, s14, s12
	s_add_nc_u64 s[16:17], s[16:17], s[22:23]
	s_and_b32 s2, s2, 63
	s_and_b32 s4, s16, 63
	s_cmp_eq_u32 s2, 0
	s_add_nc_u64 s[18:19], s[18:19], s[22:23]
	s_cselect_b32 s24, -1, 0
	s_and_b64 s[22:23], s[18:19], 63
	s_cmp_eq_u64 s[4:5], 0
	s_cselect_b32 s4, -1, 0
	s_and_b32 s2, s20, 3
	s_and_b32 s24, s24, s4
	s_or_b64 s[2:3], s[22:23], s[2:3]
	s_lshl_b64 s[4:5], s[6:7], 16
	s_cmp_eq_u64 s[2:3], 0
	s_sub_nc_u64 s[20:21], s[20:21], s[4:5]
	s_cselect_b32 s2, -1, 0
	s_delay_alu instid0(SALU_CYCLE_1) | instskip(NEXT) | instid1(SALU_CYCLE_1)
	s_and_b32 s2, s24, s2
	s_and_b32 vcc_lo, exec_lo, s2
	s_mov_b32 s2, -1
	s_cbranch_vccnz .LBB117_109
; %bb.1:
	v_cmp_lt_i64_e64 s2, s[20:21], 1
	s_and_b32 vcc_lo, exec_lo, s2
	s_cbranch_vccnz .LBB117_108
; %bb.2:
	s_wait_kmcnt 0x0
	v_cmp_neq_f64_e64 s2, s[8:9], 1.0
	v_cmp_neq_f64_e64 s3, s[10:11], 0
	v_min_i64 v[50:51], 0x10000, s[20:21]
	v_min_u64 v[52:53], 0x10000, s[20:21]
	s_load_b32 s4, s[0:1], 0xe34
	v_mov_b32_e32 v1, 0
	s_mov_b32 s23, 0
	s_mov_b64 s[24:25], 0
	s_mov_b32 s27, s23
	s_mov_b32 s29, s23
	;; [unrolled: 1-line block ×3, first 2 shown]
	s_wait_kmcnt 0x0
	s_and_b32 s22, s4, 0xffff
	s_delay_alu instid0(SALU_CYCLE_1)
	s_lshl_b32 s26, s22, 1
	s_mul_i32 s28, s22, 3
	s_lshl_b32 s30, s22, 2
	s_or_b32 s33, s2, s3
	s_branch .LBB117_4
.LBB117_3:                              ;   in Loop: Header=BB117_4 Depth=1
	s_wait_xcnt 0x0
	s_or_b32 exec_lo, exec_lo, s2
	s_add_nc_u64 s[24:25], s[24:25], s[30:31]
	s_delay_alu instid0(SALU_CYCLE_1)
	v_cmp_ge_i64_e32 vcc_lo, s[24:25], v[50:51]
	s_cbranch_vccnz .LBB117_108
.LBB117_4:                              ; =>This Inner Loop Header: Depth=1
	v_add_nc_u64_e32 v[54:55], s[24:25], v[0:1]
	v_mov_b64_e32 v[48:49], 0
	v_mov_b64_e32 v[44:45], 0
	;; [unrolled: 1-line block ×5, first 2 shown]
	v_cmp_lt_u64_e64 s2, v[54:55], v[52:53]
	s_and_saveexec_b32 s3, s2
	s_cbranch_execz .LBB117_6
; %bb.5:                                ;   in Loop: Header=BB117_4 Depth=1
	v_lshlrev_b64_e32 v[2:3], 4, v[54:55]
	s_delay_alu instid0(VALU_DEP_1)
	v_add_nc_u64_e32 v[6:7], s[18:19], v[2:3]
	v_add_nc_u64_e32 v[8:9], s[16:17], v[2:3]
	global_load_b128 v[2:5], v[6:7], off
	global_load_b128 v[42:45], v[8:9], off
.LBB117_6:                              ;   in Loop: Header=BB117_4 Depth=1
	s_wait_xcnt 0x0
	s_or_b32 exec_lo, exec_lo, s3
	v_mov_b64_e32 v[46:47], 0
	s_and_saveexec_b32 s3, s2
	s_cbranch_execz .LBB117_8
; %bb.7:                                ;   in Loop: Header=BB117_4 Depth=1
	v_lshl_add_u64 v[6:7], v[54:55], 4, s[12:13]
	global_load_b128 v[46:49], v[6:7], off
.LBB117_8:                              ;   in Loop: Header=BB117_4 Depth=1
	s_wait_xcnt 0x0
	s_or_b32 exec_lo, exec_lo, s3
	v_add_nc_u64_e32 v[56:57], s[22:23], v[54:55]
	v_mov_b64_e32 v[40:41], 0
	v_mov_b64_e32 v[36:37], 0
	;; [unrolled: 1-line block ×5, first 2 shown]
	v_cmp_lt_u64_e64 s3, v[56:57], v[52:53]
	s_and_saveexec_b32 s4, s3
	s_cbranch_execz .LBB117_10
; %bb.9:                                ;   in Loop: Header=BB117_4 Depth=1
	v_lshlrev_b64_e32 v[6:7], 4, v[56:57]
	s_delay_alu instid0(VALU_DEP_1)
	v_add_nc_u64_e32 v[10:11], s[18:19], v[6:7]
	v_add_nc_u64_e32 v[12:13], s[16:17], v[6:7]
	global_load_b128 v[6:9], v[10:11], off
	global_load_b128 v[34:37], v[12:13], off
.LBB117_10:                             ;   in Loop: Header=BB117_4 Depth=1
	s_wait_xcnt 0x0
	s_or_b32 exec_lo, exec_lo, s4
	v_mov_b64_e32 v[38:39], 0
	s_and_saveexec_b32 s4, s3
	s_cbranch_execz .LBB117_12
; %bb.11:                               ;   in Loop: Header=BB117_4 Depth=1
	v_lshl_add_u64 v[10:11], v[56:57], 4, s[12:13]
	global_load_b128 v[38:41], v[10:11], off
.LBB117_12:                             ;   in Loop: Header=BB117_4 Depth=1
	s_wait_xcnt 0x0
	s_or_b32 exec_lo, exec_lo, s4
	v_add_nc_u64_e32 v[58:59], s[26:27], v[54:55]
	v_mov_b64_e32 v[32:33], 0
	v_mov_b64_e32 v[28:29], 0
	;; [unrolled: 1-line block ×5, first 2 shown]
	v_cmp_lt_u64_e64 s4, v[58:59], v[52:53]
	s_and_saveexec_b32 s5, s4
	s_cbranch_execz .LBB117_14
; %bb.13:                               ;   in Loop: Header=BB117_4 Depth=1
	v_lshlrev_b64_e32 v[10:11], 4, v[58:59]
	s_delay_alu instid0(VALU_DEP_1)
	v_add_nc_u64_e32 v[14:15], s[18:19], v[10:11]
	v_add_nc_u64_e32 v[16:17], s[16:17], v[10:11]
	global_load_b128 v[10:13], v[14:15], off
	global_load_b128 v[26:29], v[16:17], off
.LBB117_14:                             ;   in Loop: Header=BB117_4 Depth=1
	s_wait_xcnt 0x0
	s_or_b32 exec_lo, exec_lo, s5
	v_mov_b64_e32 v[30:31], 0
	s_and_saveexec_b32 s5, s4
	s_cbranch_execz .LBB117_16
; %bb.15:                               ;   in Loop: Header=BB117_4 Depth=1
	v_lshl_add_u64 v[14:15], v[58:59], 4, s[12:13]
	global_load_b128 v[30:33], v[14:15], off
.LBB117_16:                             ;   in Loop: Header=BB117_4 Depth=1
	s_wait_xcnt 0x0
	s_or_b32 exec_lo, exec_lo, s5
	v_add_nc_u64_e32 v[60:61], s[28:29], v[54:55]
	v_mov_b64_e32 v[24:25], 0
	v_mov_b64_e32 v[20:21], 0
	;; [unrolled: 1-line block ×5, first 2 shown]
	v_cmp_lt_u64_e64 s5, v[60:61], v[52:53]
	s_and_saveexec_b32 s6, s5
	s_cbranch_execz .LBB117_18
; %bb.17:                               ;   in Loop: Header=BB117_4 Depth=1
	v_lshlrev_b64_e32 v[14:15], 4, v[60:61]
	s_delay_alu instid0(VALU_DEP_1)
	v_add_nc_u64_e32 v[22:23], s[18:19], v[14:15]
	v_add_nc_u64_e32 v[62:63], s[16:17], v[14:15]
	global_load_b128 v[14:17], v[22:23], off
	global_load_b128 v[18:21], v[62:63], off
.LBB117_18:                             ;   in Loop: Header=BB117_4 Depth=1
	s_wait_xcnt 0x0
	s_or_b32 exec_lo, exec_lo, s6
	v_mov_b64_e32 v[22:23], 0
	s_and_saveexec_b32 s6, s5
	s_cbranch_execz .LBB117_20
; %bb.19:                               ;   in Loop: Header=BB117_4 Depth=1
	v_lshl_add_u64 v[22:23], v[60:61], 4, s[12:13]
	global_load_b128 v[22:25], v[22:23], off
.LBB117_20:                             ;   in Loop: Header=BB117_4 Depth=1
	s_wait_xcnt 0x0
	s_or_b32 exec_lo, exec_lo, s6
	s_wait_loadcnt 0x0
	v_cmp_gt_f64_e32 vcc_lo, 0, v[46:47]
	v_xor_b32_e32 v62, 0x80000000, v47
	v_mov_b32_e32 v66, v46
	v_xor_b32_e32 v63, 0x80000000, v49
	s_mov_b32 s7, -1
                                        ; implicit-def: $vgpr64_vgpr65
	s_delay_alu instid0(VALU_DEP_3) | instskip(SKIP_1) | instid1(VALU_DEP_3)
	v_dual_mov_b32 v68, v48 :: v_dual_cndmask_b32 v67, v47, v62
	v_cmp_gt_f64_e32 vcc_lo, 0, v[48:49]
	v_cndmask_b32_e32 v69, v49, v63, vcc_lo
	s_and_b32 vcc_lo, exec_lo, s33
                                        ; implicit-def: $vgpr62_vgpr63
	s_delay_alu instid0(VALU_DEP_1)
	v_cmp_ge_f64_e64 s6, v[66:67], v[68:69]
	s_cbranch_vccz .LBB117_30
; %bb.21:                               ;   in Loop: Header=BB117_4 Depth=1
                                        ; implicit-def: $vgpr62_vgpr63
                                        ; implicit-def: $vgpr70_vgpr71
	s_and_saveexec_b32 s7, s6
	s_delay_alu instid0(SALU_CYCLE_1)
	s_xor_b32 s34, exec_lo, s7
	s_cbranch_execz .LBB117_27
; %bb.22:                               ;   in Loop: Header=BB117_4 Depth=1
	v_cmp_neq_f64_e32 vcc_lo, 0, v[46:47]
	v_cmp_neq_f64_e64 s7, 0, v[48:49]
                                        ; implicit-def: $vgpr62_vgpr63
                                        ; implicit-def: $vgpr70_vgpr71
	s_or_b32 s7, s7, vcc_lo
	s_delay_alu instid0(SALU_CYCLE_1) | instskip(NEXT) | instid1(SALU_CYCLE_1)
	s_and_saveexec_b32 s35, s7
	s_xor_b32 s7, exec_lo, s35
	s_cbranch_execz .LBB117_24
; %bb.23:                               ;   in Loop: Header=BB117_4 Depth=1
	v_div_scale_f64 v[62:63], null, v[46:47], v[46:47], v[48:49]
	v_div_scale_f64 v[72:73], vcc_lo, v[48:49], v[46:47], v[48:49]
	s_delay_alu instid0(VALU_DEP_2) | instskip(SKIP_1) | instid1(TRANS32_DEP_1)
	v_rcp_f64_e32 v[64:65], v[62:63]
	v_nop
	v_fma_f64 v[70:71], -v[62:63], v[64:65], 1.0
	s_delay_alu instid0(VALU_DEP_1) | instskip(NEXT) | instid1(VALU_DEP_1)
	v_fmac_f64_e32 v[64:65], v[64:65], v[70:71]
	v_fma_f64 v[70:71], -v[62:63], v[64:65], 1.0
	s_delay_alu instid0(VALU_DEP_1) | instskip(NEXT) | instid1(VALU_DEP_1)
	v_fmac_f64_e32 v[64:65], v[64:65], v[70:71]
	v_mul_f64_e32 v[70:71], v[72:73], v[64:65]
	s_delay_alu instid0(VALU_DEP_1) | instskip(NEXT) | instid1(VALU_DEP_1)
	v_fma_f64 v[62:63], -v[62:63], v[70:71], v[72:73]
	v_div_fmas_f64 v[62:63], v[62:63], v[64:65], v[70:71]
	s_delay_alu instid0(VALU_DEP_1) | instskip(NEXT) | instid1(VALU_DEP_1)
	v_div_fixup_f64 v[62:63], v[62:63], v[46:47], v[48:49]
	v_fma_f64 v[64:65], v[48:49], v[62:63], v[46:47]
	s_delay_alu instid0(VALU_DEP_1) | instskip(SKIP_1) | instid1(VALU_DEP_2)
	v_div_scale_f64 v[70:71], null, v[64:65], v[64:65], 1.0
	v_div_scale_f64 v[76:77], vcc_lo, 1.0, v[64:65], 1.0
	v_rcp_f64_e32 v[72:73], v[70:71]
	v_nop
	s_delay_alu instid0(TRANS32_DEP_1) | instskip(NEXT) | instid1(VALU_DEP_1)
	v_fma_f64 v[74:75], -v[70:71], v[72:73], 1.0
	v_fmac_f64_e32 v[72:73], v[72:73], v[74:75]
	s_delay_alu instid0(VALU_DEP_1) | instskip(NEXT) | instid1(VALU_DEP_1)
	v_fma_f64 v[74:75], -v[70:71], v[72:73], 1.0
	v_fmac_f64_e32 v[72:73], v[72:73], v[74:75]
	s_delay_alu instid0(VALU_DEP_1) | instskip(NEXT) | instid1(VALU_DEP_1)
	v_mul_f64_e32 v[74:75], v[76:77], v[72:73]
	v_fma_f64 v[70:71], -v[70:71], v[74:75], v[76:77]
	s_delay_alu instid0(VALU_DEP_1) | instskip(SKIP_2) | instid1(VALU_DEP_3)
	v_div_fmas_f64 v[70:71], v[70:71], v[72:73], v[74:75]
	v_fma_f64 v[72:73], v[44:45], v[62:63], v[42:43]
	v_fma_f64 v[62:63], -v[42:43], v[62:63], v[44:45]
	v_div_fixup_f64 v[64:65], v[70:71], v[64:65], 1.0
	s_delay_alu instid0(VALU_DEP_1) | instskip(NEXT) | instid1(VALU_DEP_3)
	v_mul_f64_e32 v[70:71], v[72:73], v[64:65]
	v_mul_f64_e32 v[62:63], v[62:63], v[64:65]
.LBB117_24:                             ;   in Loop: Header=BB117_4 Depth=1
	s_and_not1_saveexec_b32 s35, s7
	s_cbranch_execz .LBB117_26
; %bb.25:                               ;   in Loop: Header=BB117_4 Depth=1
	v_div_scale_f64 v[62:63], null, v[66:67], v[66:67], v[42:43]
	v_div_scale_f64 v[64:65], null, v[68:69], v[68:69], v[44:45]
	v_div_scale_f64 v[78:79], vcc_lo, v[42:43], v[66:67], v[42:43]
	s_delay_alu instid0(VALU_DEP_3) | instskip(NEXT) | instid1(VALU_DEP_2)
	v_rcp_f64_e32 v[70:71], v[62:63]
	v_rcp_f64_e32 v[72:73], v[64:65]
	s_delay_alu instid0(TRANS32_DEP_2) | instskip(NEXT) | instid1(TRANS32_DEP_1)
	v_fma_f64 v[74:75], -v[62:63], v[70:71], 1.0
	v_fma_f64 v[76:77], -v[64:65], v[72:73], 1.0
	s_delay_alu instid0(VALU_DEP_2) | instskip(NEXT) | instid1(VALU_DEP_2)
	v_fmac_f64_e32 v[70:71], v[70:71], v[74:75]
	v_fmac_f64_e32 v[72:73], v[72:73], v[76:77]
	s_delay_alu instid0(VALU_DEP_2) | instskip(NEXT) | instid1(VALU_DEP_2)
	v_fma_f64 v[74:75], -v[62:63], v[70:71], 1.0
	v_fma_f64 v[76:77], -v[64:65], v[72:73], 1.0
	s_delay_alu instid0(VALU_DEP_2) | instskip(SKIP_1) | instid1(VALU_DEP_3)
	v_fmac_f64_e32 v[70:71], v[70:71], v[74:75]
	v_div_scale_f64 v[74:75], s7, v[44:45], v[68:69], v[44:45]
	v_fmac_f64_e32 v[72:73], v[72:73], v[76:77]
	s_delay_alu instid0(VALU_DEP_3) | instskip(NEXT) | instid1(VALU_DEP_2)
	v_mul_f64_e32 v[76:77], v[78:79], v[70:71]
	v_mul_f64_e32 v[80:81], v[74:75], v[72:73]
	s_delay_alu instid0(VALU_DEP_2) | instskip(NEXT) | instid1(VALU_DEP_2)
	v_fma_f64 v[62:63], -v[62:63], v[76:77], v[78:79]
	v_fma_f64 v[64:65], -v[64:65], v[80:81], v[74:75]
	s_delay_alu instid0(VALU_DEP_2) | instskip(SKIP_1) | instid1(VALU_DEP_2)
	v_div_fmas_f64 v[62:63], v[62:63], v[70:71], v[76:77]
	s_mov_b32 vcc_lo, s7
	v_div_fmas_f64 v[64:65], v[64:65], v[72:73], v[80:81]
	s_delay_alu instid0(VALU_DEP_2) | instskip(NEXT) | instid1(VALU_DEP_2)
	v_div_fixup_f64 v[70:71], v[62:63], v[66:67], v[42:43]
	v_div_fixup_f64 v[62:63], v[64:65], v[68:69], v[44:45]
.LBB117_26:                             ;   in Loop: Header=BB117_4 Depth=1
	s_or_b32 exec_lo, exec_lo, s35
.LBB117_27:                             ;   in Loop: Header=BB117_4 Depth=1
	s_and_not1_saveexec_b32 s7, s34
	s_cbranch_execz .LBB117_29
; %bb.28:                               ;   in Loop: Header=BB117_4 Depth=1
	v_div_scale_f64 v[62:63], null, v[48:49], v[48:49], v[46:47]
	v_div_scale_f64 v[72:73], vcc_lo, v[46:47], v[48:49], v[46:47]
	s_delay_alu instid0(VALU_DEP_2) | instskip(SKIP_1) | instid1(TRANS32_DEP_1)
	v_rcp_f64_e32 v[64:65], v[62:63]
	v_nop
	v_fma_f64 v[70:71], -v[62:63], v[64:65], 1.0
	s_delay_alu instid0(VALU_DEP_1) | instskip(NEXT) | instid1(VALU_DEP_1)
	v_fmac_f64_e32 v[64:65], v[64:65], v[70:71]
	v_fma_f64 v[70:71], -v[62:63], v[64:65], 1.0
	s_delay_alu instid0(VALU_DEP_1) | instskip(NEXT) | instid1(VALU_DEP_1)
	v_fmac_f64_e32 v[64:65], v[64:65], v[70:71]
	v_mul_f64_e32 v[70:71], v[72:73], v[64:65]
	s_delay_alu instid0(VALU_DEP_1) | instskip(NEXT) | instid1(VALU_DEP_1)
	v_fma_f64 v[62:63], -v[62:63], v[70:71], v[72:73]
	v_div_fmas_f64 v[62:63], v[62:63], v[64:65], v[70:71]
	s_delay_alu instid0(VALU_DEP_1) | instskip(NEXT) | instid1(VALU_DEP_1)
	v_div_fixup_f64 v[62:63], v[62:63], v[48:49], v[46:47]
	v_fma_f64 v[64:65], v[46:47], v[62:63], v[48:49]
	s_delay_alu instid0(VALU_DEP_1) | instskip(SKIP_1) | instid1(VALU_DEP_2)
	v_div_scale_f64 v[70:71], null, v[64:65], v[64:65], 1.0
	v_div_scale_f64 v[76:77], vcc_lo, 1.0, v[64:65], 1.0
	v_rcp_f64_e32 v[72:73], v[70:71]
	v_nop
	s_delay_alu instid0(TRANS32_DEP_1) | instskip(NEXT) | instid1(VALU_DEP_1)
	v_fma_f64 v[74:75], -v[70:71], v[72:73], 1.0
	v_fmac_f64_e32 v[72:73], v[72:73], v[74:75]
	s_delay_alu instid0(VALU_DEP_1) | instskip(NEXT) | instid1(VALU_DEP_1)
	v_fma_f64 v[74:75], -v[70:71], v[72:73], 1.0
	v_fmac_f64_e32 v[72:73], v[72:73], v[74:75]
	s_delay_alu instid0(VALU_DEP_1) | instskip(NEXT) | instid1(VALU_DEP_1)
	v_mul_f64_e32 v[74:75], v[76:77], v[72:73]
	v_fma_f64 v[70:71], -v[70:71], v[74:75], v[76:77]
	s_delay_alu instid0(VALU_DEP_1) | instskip(SKIP_2) | instid1(VALU_DEP_3)
	v_div_fmas_f64 v[70:71], v[70:71], v[72:73], v[74:75]
	v_fma_f64 v[72:73], v[42:43], v[62:63], v[44:45]
	v_fma_f64 v[62:63], v[44:45], v[62:63], -v[42:43]
	v_div_fixup_f64 v[64:65], v[70:71], v[64:65], 1.0
	s_delay_alu instid0(VALU_DEP_1) | instskip(NEXT) | instid1(VALU_DEP_3)
	v_mul_f64_e32 v[70:71], v[72:73], v[64:65]
	v_mul_f64_e32 v[62:63], v[62:63], v[64:65]
.LBB117_29:                             ;   in Loop: Header=BB117_4 Depth=1
	s_or_b32 exec_lo, exec_lo, s7
	s_delay_alu instid0(VALU_DEP_1) | instskip(SKIP_2) | instid1(VALU_DEP_2)
	v_mul_f64_e32 v[64:65], s[10:11], v[62:63]
	v_mul_f64_e32 v[62:63], s[8:9], v[62:63]
	s_mov_b32 s7, 0
	v_fma_f64 v[64:65], s[8:9], v[70:71], -v[64:65]
	s_delay_alu instid0(VALU_DEP_2)
	v_fmac_f64_e32 v[62:63], s[10:11], v[70:71]
.LBB117_30:                             ;   in Loop: Header=BB117_4 Depth=1
	s_and_b32 vcc_lo, exec_lo, s7
	s_cbranch_vccz .LBB117_40
; %bb.31:                               ;   in Loop: Header=BB117_4 Depth=1
                                        ; implicit-def: $vgpr62_vgpr63
                                        ; implicit-def: $vgpr64_vgpr65
	s_and_saveexec_b32 s7, s6
	s_delay_alu instid0(SALU_CYCLE_1)
	s_xor_b32 s7, exec_lo, s7
	s_cbranch_execz .LBB117_37
; %bb.32:                               ;   in Loop: Header=BB117_4 Depth=1
	v_cmp_neq_f64_e32 vcc_lo, 0, v[46:47]
	v_cmp_neq_f64_e64 s6, 0, v[48:49]
                                        ; implicit-def: $vgpr62_vgpr63
                                        ; implicit-def: $vgpr64_vgpr65
	s_or_b32 s6, s6, vcc_lo
	s_delay_alu instid0(SALU_CYCLE_1) | instskip(NEXT) | instid1(SALU_CYCLE_1)
	s_and_saveexec_b32 s34, s6
	s_xor_b32 s6, exec_lo, s34
	s_cbranch_execz .LBB117_34
; %bb.33:                               ;   in Loop: Header=BB117_4 Depth=1
	v_div_scale_f64 v[62:63], null, v[46:47], v[46:47], v[48:49]
	v_div_scale_f64 v[68:69], vcc_lo, v[48:49], v[46:47], v[48:49]
	s_delay_alu instid0(VALU_DEP_2) | instskip(SKIP_1) | instid1(TRANS32_DEP_1)
	v_rcp_f64_e32 v[64:65], v[62:63]
	v_nop
	v_fma_f64 v[66:67], -v[62:63], v[64:65], 1.0
	s_delay_alu instid0(VALU_DEP_1) | instskip(NEXT) | instid1(VALU_DEP_1)
	v_fmac_f64_e32 v[64:65], v[64:65], v[66:67]
	v_fma_f64 v[66:67], -v[62:63], v[64:65], 1.0
	s_delay_alu instid0(VALU_DEP_1) | instskip(NEXT) | instid1(VALU_DEP_1)
	v_fmac_f64_e32 v[64:65], v[64:65], v[66:67]
	v_mul_f64_e32 v[66:67], v[68:69], v[64:65]
	s_delay_alu instid0(VALU_DEP_1) | instskip(NEXT) | instid1(VALU_DEP_1)
	v_fma_f64 v[62:63], -v[62:63], v[66:67], v[68:69]
	v_div_fmas_f64 v[62:63], v[62:63], v[64:65], v[66:67]
	s_delay_alu instid0(VALU_DEP_1) | instskip(NEXT) | instid1(VALU_DEP_1)
	v_div_fixup_f64 v[62:63], v[62:63], v[46:47], v[48:49]
	v_fmac_f64_e32 v[46:47], v[48:49], v[62:63]
	s_delay_alu instid0(VALU_DEP_1) | instskip(SKIP_1) | instid1(VALU_DEP_2)
	v_div_scale_f64 v[48:49], null, v[46:47], v[46:47], 1.0
	v_div_scale_f64 v[68:69], vcc_lo, 1.0, v[46:47], 1.0
	v_rcp_f64_e32 v[64:65], v[48:49]
	v_nop
	s_delay_alu instid0(TRANS32_DEP_1) | instskip(NEXT) | instid1(VALU_DEP_1)
	v_fma_f64 v[66:67], -v[48:49], v[64:65], 1.0
	v_fmac_f64_e32 v[64:65], v[64:65], v[66:67]
	s_delay_alu instid0(VALU_DEP_1) | instskip(NEXT) | instid1(VALU_DEP_1)
	v_fma_f64 v[66:67], -v[48:49], v[64:65], 1.0
	v_fmac_f64_e32 v[64:65], v[64:65], v[66:67]
	s_delay_alu instid0(VALU_DEP_1) | instskip(NEXT) | instid1(VALU_DEP_1)
	v_mul_f64_e32 v[66:67], v[68:69], v[64:65]
	v_fma_f64 v[48:49], -v[48:49], v[66:67], v[68:69]
                                        ; implicit-def: $vgpr68_vgpr69
	s_delay_alu instid0(VALU_DEP_1) | instskip(SKIP_2) | instid1(VALU_DEP_3)
	v_div_fmas_f64 v[48:49], v[48:49], v[64:65], v[66:67]
	v_fma_f64 v[64:65], v[44:45], v[62:63], v[42:43]
	v_fma_f64 v[42:43], -v[42:43], v[62:63], v[44:45]
                                        ; implicit-def: $vgpr66_vgpr67
	v_div_fixup_f64 v[46:47], v[48:49], v[46:47], 1.0
	s_delay_alu instid0(VALU_DEP_1) | instskip(NEXT) | instid1(VALU_DEP_3)
	v_mul_f64_e32 v[64:65], v[64:65], v[46:47]
	v_mul_f64_e32 v[62:63], v[42:43], v[46:47]
                                        ; implicit-def: $vgpr42_vgpr43
.LBB117_34:                             ;   in Loop: Header=BB117_4 Depth=1
	s_and_not1_saveexec_b32 s34, s6
	s_cbranch_execz .LBB117_36
; %bb.35:                               ;   in Loop: Header=BB117_4 Depth=1
	v_div_scale_f64 v[46:47], null, v[66:67], v[66:67], v[42:43]
	v_div_scale_f64 v[48:49], null, v[68:69], v[68:69], v[44:45]
	v_div_scale_f64 v[74:75], vcc_lo, v[42:43], v[66:67], v[42:43]
	s_delay_alu instid0(VALU_DEP_3) | instskip(NEXT) | instid1(VALU_DEP_2)
	v_rcp_f64_e32 v[62:63], v[46:47]
	v_rcp_f64_e32 v[64:65], v[48:49]
	s_delay_alu instid0(TRANS32_DEP_2) | instskip(NEXT) | instid1(TRANS32_DEP_1)
	v_fma_f64 v[70:71], -v[46:47], v[62:63], 1.0
	v_fma_f64 v[72:73], -v[48:49], v[64:65], 1.0
	s_delay_alu instid0(VALU_DEP_2) | instskip(NEXT) | instid1(VALU_DEP_2)
	v_fmac_f64_e32 v[62:63], v[62:63], v[70:71]
	v_fmac_f64_e32 v[64:65], v[64:65], v[72:73]
	s_delay_alu instid0(VALU_DEP_2) | instskip(NEXT) | instid1(VALU_DEP_2)
	v_fma_f64 v[70:71], -v[46:47], v[62:63], 1.0
	v_fma_f64 v[72:73], -v[48:49], v[64:65], 1.0
	s_delay_alu instid0(VALU_DEP_2) | instskip(SKIP_1) | instid1(VALU_DEP_3)
	v_fmac_f64_e32 v[62:63], v[62:63], v[70:71]
	v_div_scale_f64 v[70:71], s6, v[44:45], v[68:69], v[44:45]
	v_fmac_f64_e32 v[64:65], v[64:65], v[72:73]
	s_delay_alu instid0(VALU_DEP_3) | instskip(NEXT) | instid1(VALU_DEP_2)
	v_mul_f64_e32 v[72:73], v[74:75], v[62:63]
	v_mul_f64_e32 v[76:77], v[70:71], v[64:65]
	s_delay_alu instid0(VALU_DEP_2) | instskip(NEXT) | instid1(VALU_DEP_2)
	v_fma_f64 v[46:47], -v[46:47], v[72:73], v[74:75]
	v_fma_f64 v[48:49], -v[48:49], v[76:77], v[70:71]
	s_delay_alu instid0(VALU_DEP_2) | instskip(SKIP_1) | instid1(VALU_DEP_2)
	v_div_fmas_f64 v[46:47], v[46:47], v[62:63], v[72:73]
	s_mov_b32 vcc_lo, s6
	v_div_fmas_f64 v[48:49], v[48:49], v[64:65], v[76:77]
	s_delay_alu instid0(VALU_DEP_2) | instskip(NEXT) | instid1(VALU_DEP_2)
	v_div_fixup_f64 v[64:65], v[46:47], v[66:67], v[42:43]
	v_div_fixup_f64 v[62:63], v[48:49], v[68:69], v[44:45]
.LBB117_36:                             ;   in Loop: Header=BB117_4 Depth=1
	s_or_b32 exec_lo, exec_lo, s34
                                        ; implicit-def: $vgpr48_vgpr49
                                        ; implicit-def: $vgpr42_vgpr43
.LBB117_37:                             ;   in Loop: Header=BB117_4 Depth=1
	s_and_not1_saveexec_b32 s6, s7
	s_cbranch_execz .LBB117_39
; %bb.38:                               ;   in Loop: Header=BB117_4 Depth=1
	v_div_scale_f64 v[62:63], null, v[48:49], v[48:49], v[46:47]
	v_div_scale_f64 v[68:69], vcc_lo, v[46:47], v[48:49], v[46:47]
	s_delay_alu instid0(VALU_DEP_2) | instskip(SKIP_1) | instid1(TRANS32_DEP_1)
	v_rcp_f64_e32 v[64:65], v[62:63]
	v_nop
	v_fma_f64 v[66:67], -v[62:63], v[64:65], 1.0
	s_delay_alu instid0(VALU_DEP_1) | instskip(NEXT) | instid1(VALU_DEP_1)
	v_fmac_f64_e32 v[64:65], v[64:65], v[66:67]
	v_fma_f64 v[66:67], -v[62:63], v[64:65], 1.0
	s_delay_alu instid0(VALU_DEP_1) | instskip(NEXT) | instid1(VALU_DEP_1)
	v_fmac_f64_e32 v[64:65], v[64:65], v[66:67]
	v_mul_f64_e32 v[66:67], v[68:69], v[64:65]
	s_delay_alu instid0(VALU_DEP_1) | instskip(NEXT) | instid1(VALU_DEP_1)
	v_fma_f64 v[62:63], -v[62:63], v[66:67], v[68:69]
	v_div_fmas_f64 v[62:63], v[62:63], v[64:65], v[66:67]
	s_delay_alu instid0(VALU_DEP_1) | instskip(NEXT) | instid1(VALU_DEP_1)
	v_div_fixup_f64 v[62:63], v[62:63], v[48:49], v[46:47]
	v_fmac_f64_e32 v[48:49], v[46:47], v[62:63]
	s_delay_alu instid0(VALU_DEP_1) | instskip(SKIP_1) | instid1(VALU_DEP_2)
	v_div_scale_f64 v[46:47], null, v[48:49], v[48:49], 1.0
	v_div_scale_f64 v[68:69], vcc_lo, 1.0, v[48:49], 1.0
	v_rcp_f64_e32 v[64:65], v[46:47]
	v_nop
	s_delay_alu instid0(TRANS32_DEP_1) | instskip(NEXT) | instid1(VALU_DEP_1)
	v_fma_f64 v[66:67], -v[46:47], v[64:65], 1.0
	v_fmac_f64_e32 v[64:65], v[64:65], v[66:67]
	s_delay_alu instid0(VALU_DEP_1) | instskip(NEXT) | instid1(VALU_DEP_1)
	v_fma_f64 v[66:67], -v[46:47], v[64:65], 1.0
	v_fmac_f64_e32 v[64:65], v[64:65], v[66:67]
	s_delay_alu instid0(VALU_DEP_1) | instskip(NEXT) | instid1(VALU_DEP_1)
	v_mul_f64_e32 v[66:67], v[68:69], v[64:65]
	v_fma_f64 v[46:47], -v[46:47], v[66:67], v[68:69]
	s_delay_alu instid0(VALU_DEP_1) | instskip(SKIP_2) | instid1(VALU_DEP_3)
	v_div_fmas_f64 v[46:47], v[46:47], v[64:65], v[66:67]
	v_fma_f64 v[64:65], v[42:43], v[62:63], v[44:45]
	v_fma_f64 v[42:43], v[44:45], v[62:63], -v[42:43]
	v_div_fixup_f64 v[46:47], v[46:47], v[48:49], 1.0
	s_delay_alu instid0(VALU_DEP_1) | instskip(NEXT) | instid1(VALU_DEP_3)
	v_mul_f64_e32 v[64:65], v[64:65], v[46:47]
	v_mul_f64_e32 v[62:63], v[42:43], v[46:47]
.LBB117_39:                             ;   in Loop: Header=BB117_4 Depth=1
	s_or_b32 exec_lo, exec_lo, s6
.LBB117_40:                             ;   in Loop: Header=BB117_4 Depth=1
	v_cmp_gt_f64_e32 vcc_lo, 0, v[38:39]
	v_xor_b32_e32 v42, 0x80000000, v39
	v_mov_b32_e32 v46, v38
	v_xor_b32_e32 v43, 0x80000000, v41
	s_mov_b32 s7, -1
                                        ; implicit-def: $vgpr44_vgpr45
	s_delay_alu instid0(VALU_DEP_3) | instskip(SKIP_1) | instid1(VALU_DEP_3)
	v_dual_mov_b32 v48, v40 :: v_dual_cndmask_b32 v47, v39, v42
	v_cmp_gt_f64_e32 vcc_lo, 0, v[40:41]
	v_cndmask_b32_e32 v49, v41, v43, vcc_lo
	s_and_not1_b32 vcc_lo, exec_lo, s33
                                        ; implicit-def: $vgpr42_vgpr43
	s_delay_alu instid0(VALU_DEP_1)
	v_cmp_ge_f64_e64 s6, v[46:47], v[48:49]
	s_cbranch_vccnz .LBB117_50
; %bb.41:                               ;   in Loop: Header=BB117_4 Depth=1
                                        ; implicit-def: $vgpr42_vgpr43
                                        ; implicit-def: $vgpr66_vgpr67
	s_and_saveexec_b32 s7, s6
	s_delay_alu instid0(SALU_CYCLE_1)
	s_xor_b32 s34, exec_lo, s7
	s_cbranch_execz .LBB117_47
; %bb.42:                               ;   in Loop: Header=BB117_4 Depth=1
	v_cmp_neq_f64_e32 vcc_lo, 0, v[38:39]
	v_cmp_neq_f64_e64 s7, 0, v[40:41]
                                        ; implicit-def: $vgpr42_vgpr43
                                        ; implicit-def: $vgpr66_vgpr67
	s_or_b32 s7, s7, vcc_lo
	s_delay_alu instid0(SALU_CYCLE_1) | instskip(NEXT) | instid1(SALU_CYCLE_1)
	s_and_saveexec_b32 s35, s7
	s_xor_b32 s7, exec_lo, s35
	s_cbranch_execz .LBB117_44
; %bb.43:                               ;   in Loop: Header=BB117_4 Depth=1
	v_div_scale_f64 v[42:43], null, v[38:39], v[38:39], v[40:41]
	v_div_scale_f64 v[68:69], vcc_lo, v[40:41], v[38:39], v[40:41]
	s_delay_alu instid0(VALU_DEP_2) | instskip(SKIP_1) | instid1(TRANS32_DEP_1)
	v_rcp_f64_e32 v[44:45], v[42:43]
	v_nop
	v_fma_f64 v[66:67], -v[42:43], v[44:45], 1.0
	s_delay_alu instid0(VALU_DEP_1) | instskip(NEXT) | instid1(VALU_DEP_1)
	v_fmac_f64_e32 v[44:45], v[44:45], v[66:67]
	v_fma_f64 v[66:67], -v[42:43], v[44:45], 1.0
	s_delay_alu instid0(VALU_DEP_1) | instskip(NEXT) | instid1(VALU_DEP_1)
	v_fmac_f64_e32 v[44:45], v[44:45], v[66:67]
	v_mul_f64_e32 v[66:67], v[68:69], v[44:45]
	s_delay_alu instid0(VALU_DEP_1) | instskip(NEXT) | instid1(VALU_DEP_1)
	v_fma_f64 v[42:43], -v[42:43], v[66:67], v[68:69]
	v_div_fmas_f64 v[42:43], v[42:43], v[44:45], v[66:67]
	s_delay_alu instid0(VALU_DEP_1) | instskip(NEXT) | instid1(VALU_DEP_1)
	v_div_fixup_f64 v[42:43], v[42:43], v[38:39], v[40:41]
	v_fma_f64 v[44:45], v[40:41], v[42:43], v[38:39]
	s_delay_alu instid0(VALU_DEP_1) | instskip(SKIP_1) | instid1(VALU_DEP_2)
	v_div_scale_f64 v[66:67], null, v[44:45], v[44:45], 1.0
	v_div_scale_f64 v[72:73], vcc_lo, 1.0, v[44:45], 1.0
	v_rcp_f64_e32 v[68:69], v[66:67]
	v_nop
	s_delay_alu instid0(TRANS32_DEP_1) | instskip(NEXT) | instid1(VALU_DEP_1)
	v_fma_f64 v[70:71], -v[66:67], v[68:69], 1.0
	v_fmac_f64_e32 v[68:69], v[68:69], v[70:71]
	s_delay_alu instid0(VALU_DEP_1) | instskip(NEXT) | instid1(VALU_DEP_1)
	v_fma_f64 v[70:71], -v[66:67], v[68:69], 1.0
	v_fmac_f64_e32 v[68:69], v[68:69], v[70:71]
	s_delay_alu instid0(VALU_DEP_1) | instskip(NEXT) | instid1(VALU_DEP_1)
	v_mul_f64_e32 v[70:71], v[72:73], v[68:69]
	v_fma_f64 v[66:67], -v[66:67], v[70:71], v[72:73]
	s_delay_alu instid0(VALU_DEP_1) | instskip(SKIP_2) | instid1(VALU_DEP_3)
	v_div_fmas_f64 v[66:67], v[66:67], v[68:69], v[70:71]
	v_fma_f64 v[68:69], v[36:37], v[42:43], v[34:35]
	v_fma_f64 v[42:43], -v[34:35], v[42:43], v[36:37]
	v_div_fixup_f64 v[44:45], v[66:67], v[44:45], 1.0
	s_delay_alu instid0(VALU_DEP_1) | instskip(NEXT) | instid1(VALU_DEP_3)
	v_mul_f64_e32 v[66:67], v[68:69], v[44:45]
	v_mul_f64_e32 v[42:43], v[42:43], v[44:45]
.LBB117_44:                             ;   in Loop: Header=BB117_4 Depth=1
	s_and_not1_saveexec_b32 s35, s7
	s_cbranch_execz .LBB117_46
; %bb.45:                               ;   in Loop: Header=BB117_4 Depth=1
	v_div_scale_f64 v[42:43], null, v[46:47], v[46:47], v[34:35]
	v_div_scale_f64 v[44:45], null, v[48:49], v[48:49], v[36:37]
	v_div_scale_f64 v[74:75], vcc_lo, v[34:35], v[46:47], v[34:35]
	s_delay_alu instid0(VALU_DEP_3) | instskip(NEXT) | instid1(VALU_DEP_2)
	v_rcp_f64_e32 v[66:67], v[42:43]
	v_rcp_f64_e32 v[68:69], v[44:45]
	s_delay_alu instid0(TRANS32_DEP_2) | instskip(NEXT) | instid1(TRANS32_DEP_1)
	v_fma_f64 v[70:71], -v[42:43], v[66:67], 1.0
	v_fma_f64 v[72:73], -v[44:45], v[68:69], 1.0
	s_delay_alu instid0(VALU_DEP_2) | instskip(NEXT) | instid1(VALU_DEP_2)
	v_fmac_f64_e32 v[66:67], v[66:67], v[70:71]
	v_fmac_f64_e32 v[68:69], v[68:69], v[72:73]
	s_delay_alu instid0(VALU_DEP_2) | instskip(NEXT) | instid1(VALU_DEP_2)
	v_fma_f64 v[70:71], -v[42:43], v[66:67], 1.0
	v_fma_f64 v[72:73], -v[44:45], v[68:69], 1.0
	s_delay_alu instid0(VALU_DEP_2) | instskip(SKIP_1) | instid1(VALU_DEP_3)
	v_fmac_f64_e32 v[66:67], v[66:67], v[70:71]
	v_div_scale_f64 v[70:71], s7, v[36:37], v[48:49], v[36:37]
	v_fmac_f64_e32 v[68:69], v[68:69], v[72:73]
	s_delay_alu instid0(VALU_DEP_3) | instskip(NEXT) | instid1(VALU_DEP_2)
	v_mul_f64_e32 v[72:73], v[74:75], v[66:67]
	v_mul_f64_e32 v[76:77], v[70:71], v[68:69]
	s_delay_alu instid0(VALU_DEP_2) | instskip(NEXT) | instid1(VALU_DEP_2)
	v_fma_f64 v[42:43], -v[42:43], v[72:73], v[74:75]
	v_fma_f64 v[44:45], -v[44:45], v[76:77], v[70:71]
	s_delay_alu instid0(VALU_DEP_2) | instskip(SKIP_1) | instid1(VALU_DEP_2)
	v_div_fmas_f64 v[42:43], v[42:43], v[66:67], v[72:73]
	s_mov_b32 vcc_lo, s7
	v_div_fmas_f64 v[44:45], v[44:45], v[68:69], v[76:77]
	s_delay_alu instid0(VALU_DEP_2) | instskip(NEXT) | instid1(VALU_DEP_2)
	v_div_fixup_f64 v[66:67], v[42:43], v[46:47], v[34:35]
	v_div_fixup_f64 v[42:43], v[44:45], v[48:49], v[36:37]
.LBB117_46:                             ;   in Loop: Header=BB117_4 Depth=1
	s_or_b32 exec_lo, exec_lo, s35
.LBB117_47:                             ;   in Loop: Header=BB117_4 Depth=1
	s_and_not1_saveexec_b32 s7, s34
	s_cbranch_execz .LBB117_49
; %bb.48:                               ;   in Loop: Header=BB117_4 Depth=1
	v_div_scale_f64 v[42:43], null, v[40:41], v[40:41], v[38:39]
	v_div_scale_f64 v[68:69], vcc_lo, v[38:39], v[40:41], v[38:39]
	s_delay_alu instid0(VALU_DEP_2) | instskip(SKIP_1) | instid1(TRANS32_DEP_1)
	v_rcp_f64_e32 v[44:45], v[42:43]
	v_nop
	v_fma_f64 v[66:67], -v[42:43], v[44:45], 1.0
	s_delay_alu instid0(VALU_DEP_1) | instskip(NEXT) | instid1(VALU_DEP_1)
	v_fmac_f64_e32 v[44:45], v[44:45], v[66:67]
	v_fma_f64 v[66:67], -v[42:43], v[44:45], 1.0
	s_delay_alu instid0(VALU_DEP_1) | instskip(NEXT) | instid1(VALU_DEP_1)
	v_fmac_f64_e32 v[44:45], v[44:45], v[66:67]
	v_mul_f64_e32 v[66:67], v[68:69], v[44:45]
	s_delay_alu instid0(VALU_DEP_1) | instskip(NEXT) | instid1(VALU_DEP_1)
	v_fma_f64 v[42:43], -v[42:43], v[66:67], v[68:69]
	v_div_fmas_f64 v[42:43], v[42:43], v[44:45], v[66:67]
	s_delay_alu instid0(VALU_DEP_1) | instskip(NEXT) | instid1(VALU_DEP_1)
	v_div_fixup_f64 v[42:43], v[42:43], v[40:41], v[38:39]
	v_fma_f64 v[44:45], v[38:39], v[42:43], v[40:41]
	s_delay_alu instid0(VALU_DEP_1) | instskip(SKIP_1) | instid1(VALU_DEP_2)
	v_div_scale_f64 v[66:67], null, v[44:45], v[44:45], 1.0
	v_div_scale_f64 v[72:73], vcc_lo, 1.0, v[44:45], 1.0
	v_rcp_f64_e32 v[68:69], v[66:67]
	v_nop
	s_delay_alu instid0(TRANS32_DEP_1) | instskip(NEXT) | instid1(VALU_DEP_1)
	v_fma_f64 v[70:71], -v[66:67], v[68:69], 1.0
	v_fmac_f64_e32 v[68:69], v[68:69], v[70:71]
	s_delay_alu instid0(VALU_DEP_1) | instskip(NEXT) | instid1(VALU_DEP_1)
	v_fma_f64 v[70:71], -v[66:67], v[68:69], 1.0
	v_fmac_f64_e32 v[68:69], v[68:69], v[70:71]
	s_delay_alu instid0(VALU_DEP_1) | instskip(NEXT) | instid1(VALU_DEP_1)
	v_mul_f64_e32 v[70:71], v[72:73], v[68:69]
	v_fma_f64 v[66:67], -v[66:67], v[70:71], v[72:73]
	s_delay_alu instid0(VALU_DEP_1) | instskip(SKIP_2) | instid1(VALU_DEP_3)
	v_div_fmas_f64 v[66:67], v[66:67], v[68:69], v[70:71]
	v_fma_f64 v[68:69], v[34:35], v[42:43], v[36:37]
	v_fma_f64 v[42:43], v[36:37], v[42:43], -v[34:35]
	v_div_fixup_f64 v[44:45], v[66:67], v[44:45], 1.0
	s_delay_alu instid0(VALU_DEP_1) | instskip(NEXT) | instid1(VALU_DEP_3)
	v_mul_f64_e32 v[66:67], v[68:69], v[44:45]
	v_mul_f64_e32 v[42:43], v[42:43], v[44:45]
.LBB117_49:                             ;   in Loop: Header=BB117_4 Depth=1
	s_or_b32 exec_lo, exec_lo, s7
	s_delay_alu instid0(VALU_DEP_1) | instskip(SKIP_2) | instid1(VALU_DEP_2)
	v_mul_f64_e32 v[44:45], s[10:11], v[42:43]
	v_mul_f64_e32 v[42:43], s[8:9], v[42:43]
	s_mov_b32 s7, 0
	v_fma_f64 v[44:45], s[8:9], v[66:67], -v[44:45]
	s_delay_alu instid0(VALU_DEP_2)
	v_fmac_f64_e32 v[42:43], s[10:11], v[66:67]
.LBB117_50:                             ;   in Loop: Header=BB117_4 Depth=1
	s_and_b32 vcc_lo, exec_lo, s7
	s_cbranch_vccz .LBB117_60
; %bb.51:                               ;   in Loop: Header=BB117_4 Depth=1
                                        ; implicit-def: $vgpr42_vgpr43
                                        ; implicit-def: $vgpr44_vgpr45
	s_and_saveexec_b32 s7, s6
	s_delay_alu instid0(SALU_CYCLE_1)
	s_xor_b32 s7, exec_lo, s7
	s_cbranch_execz .LBB117_57
; %bb.52:                               ;   in Loop: Header=BB117_4 Depth=1
	v_cmp_neq_f64_e32 vcc_lo, 0, v[38:39]
	v_cmp_neq_f64_e64 s6, 0, v[40:41]
                                        ; implicit-def: $vgpr42_vgpr43
                                        ; implicit-def: $vgpr44_vgpr45
	s_or_b32 s6, s6, vcc_lo
	s_delay_alu instid0(SALU_CYCLE_1) | instskip(NEXT) | instid1(SALU_CYCLE_1)
	s_and_saveexec_b32 s34, s6
	s_xor_b32 s6, exec_lo, s34
	s_cbranch_execz .LBB117_54
; %bb.53:                               ;   in Loop: Header=BB117_4 Depth=1
	v_div_scale_f64 v[42:43], null, v[38:39], v[38:39], v[40:41]
	v_div_scale_f64 v[48:49], vcc_lo, v[40:41], v[38:39], v[40:41]
	s_delay_alu instid0(VALU_DEP_2) | instskip(SKIP_1) | instid1(TRANS32_DEP_1)
	v_rcp_f64_e32 v[44:45], v[42:43]
	v_nop
	v_fma_f64 v[46:47], -v[42:43], v[44:45], 1.0
	s_delay_alu instid0(VALU_DEP_1) | instskip(NEXT) | instid1(VALU_DEP_1)
	v_fmac_f64_e32 v[44:45], v[44:45], v[46:47]
	v_fma_f64 v[46:47], -v[42:43], v[44:45], 1.0
	s_delay_alu instid0(VALU_DEP_1) | instskip(NEXT) | instid1(VALU_DEP_1)
	v_fmac_f64_e32 v[44:45], v[44:45], v[46:47]
	v_mul_f64_e32 v[46:47], v[48:49], v[44:45]
	s_delay_alu instid0(VALU_DEP_1) | instskip(NEXT) | instid1(VALU_DEP_1)
	v_fma_f64 v[42:43], -v[42:43], v[46:47], v[48:49]
	v_div_fmas_f64 v[42:43], v[42:43], v[44:45], v[46:47]
	s_delay_alu instid0(VALU_DEP_1) | instskip(NEXT) | instid1(VALU_DEP_1)
	v_div_fixup_f64 v[42:43], v[42:43], v[38:39], v[40:41]
	v_fmac_f64_e32 v[38:39], v[40:41], v[42:43]
	s_delay_alu instid0(VALU_DEP_1) | instskip(SKIP_1) | instid1(VALU_DEP_2)
	v_div_scale_f64 v[40:41], null, v[38:39], v[38:39], 1.0
	v_div_scale_f64 v[48:49], vcc_lo, 1.0, v[38:39], 1.0
	v_rcp_f64_e32 v[44:45], v[40:41]
	v_nop
	s_delay_alu instid0(TRANS32_DEP_1) | instskip(NEXT) | instid1(VALU_DEP_1)
	v_fma_f64 v[46:47], -v[40:41], v[44:45], 1.0
	v_fmac_f64_e32 v[44:45], v[44:45], v[46:47]
	s_delay_alu instid0(VALU_DEP_1) | instskip(NEXT) | instid1(VALU_DEP_1)
	v_fma_f64 v[46:47], -v[40:41], v[44:45], 1.0
	v_fmac_f64_e32 v[44:45], v[44:45], v[46:47]
	s_delay_alu instid0(VALU_DEP_1) | instskip(NEXT) | instid1(VALU_DEP_1)
	v_mul_f64_e32 v[46:47], v[48:49], v[44:45]
	v_fma_f64 v[40:41], -v[40:41], v[46:47], v[48:49]
                                        ; implicit-def: $vgpr48_vgpr49
	s_delay_alu instid0(VALU_DEP_1) | instskip(SKIP_2) | instid1(VALU_DEP_3)
	v_div_fmas_f64 v[40:41], v[40:41], v[44:45], v[46:47]
	v_fma_f64 v[44:45], v[36:37], v[42:43], v[34:35]
	v_fma_f64 v[34:35], -v[34:35], v[42:43], v[36:37]
                                        ; implicit-def: $vgpr46_vgpr47
	v_div_fixup_f64 v[38:39], v[40:41], v[38:39], 1.0
	s_delay_alu instid0(VALU_DEP_1) | instskip(NEXT) | instid1(VALU_DEP_3)
	v_mul_f64_e32 v[44:45], v[44:45], v[38:39]
	v_mul_f64_e32 v[42:43], v[34:35], v[38:39]
                                        ; implicit-def: $vgpr34_vgpr35
.LBB117_54:                             ;   in Loop: Header=BB117_4 Depth=1
	s_and_not1_saveexec_b32 s34, s6
	s_cbranch_execz .LBB117_56
; %bb.55:                               ;   in Loop: Header=BB117_4 Depth=1
	v_div_scale_f64 v[38:39], null, v[46:47], v[46:47], v[34:35]
	v_div_scale_f64 v[40:41], null, v[48:49], v[48:49], v[36:37]
	v_div_scale_f64 v[70:71], vcc_lo, v[34:35], v[46:47], v[34:35]
	s_delay_alu instid0(VALU_DEP_3) | instskip(NEXT) | instid1(VALU_DEP_2)
	v_rcp_f64_e32 v[42:43], v[38:39]
	v_rcp_f64_e32 v[44:45], v[40:41]
	s_delay_alu instid0(TRANS32_DEP_2) | instskip(NEXT) | instid1(TRANS32_DEP_1)
	v_fma_f64 v[66:67], -v[38:39], v[42:43], 1.0
	v_fma_f64 v[68:69], -v[40:41], v[44:45], 1.0
	s_delay_alu instid0(VALU_DEP_2) | instskip(NEXT) | instid1(VALU_DEP_2)
	v_fmac_f64_e32 v[42:43], v[42:43], v[66:67]
	v_fmac_f64_e32 v[44:45], v[44:45], v[68:69]
	s_delay_alu instid0(VALU_DEP_2) | instskip(NEXT) | instid1(VALU_DEP_2)
	v_fma_f64 v[66:67], -v[38:39], v[42:43], 1.0
	v_fma_f64 v[68:69], -v[40:41], v[44:45], 1.0
	s_delay_alu instid0(VALU_DEP_2) | instskip(SKIP_1) | instid1(VALU_DEP_3)
	v_fmac_f64_e32 v[42:43], v[42:43], v[66:67]
	v_div_scale_f64 v[66:67], s6, v[36:37], v[48:49], v[36:37]
	v_fmac_f64_e32 v[44:45], v[44:45], v[68:69]
	s_delay_alu instid0(VALU_DEP_3) | instskip(NEXT) | instid1(VALU_DEP_2)
	v_mul_f64_e32 v[68:69], v[70:71], v[42:43]
	v_mul_f64_e32 v[72:73], v[66:67], v[44:45]
	s_delay_alu instid0(VALU_DEP_2) | instskip(NEXT) | instid1(VALU_DEP_2)
	v_fma_f64 v[38:39], -v[38:39], v[68:69], v[70:71]
	v_fma_f64 v[40:41], -v[40:41], v[72:73], v[66:67]
	s_delay_alu instid0(VALU_DEP_2) | instskip(SKIP_1) | instid1(VALU_DEP_2)
	v_div_fmas_f64 v[38:39], v[38:39], v[42:43], v[68:69]
	s_mov_b32 vcc_lo, s6
	v_div_fmas_f64 v[40:41], v[40:41], v[44:45], v[72:73]
	s_delay_alu instid0(VALU_DEP_2) | instskip(NEXT) | instid1(VALU_DEP_2)
	v_div_fixup_f64 v[44:45], v[38:39], v[46:47], v[34:35]
	v_div_fixup_f64 v[42:43], v[40:41], v[48:49], v[36:37]
.LBB117_56:                             ;   in Loop: Header=BB117_4 Depth=1
	s_or_b32 exec_lo, exec_lo, s34
                                        ; implicit-def: $vgpr40_vgpr41
                                        ; implicit-def: $vgpr34_vgpr35
.LBB117_57:                             ;   in Loop: Header=BB117_4 Depth=1
	s_and_not1_saveexec_b32 s6, s7
	s_cbranch_execz .LBB117_59
; %bb.58:                               ;   in Loop: Header=BB117_4 Depth=1
	v_div_scale_f64 v[42:43], null, v[40:41], v[40:41], v[38:39]
	v_div_scale_f64 v[48:49], vcc_lo, v[38:39], v[40:41], v[38:39]
	s_delay_alu instid0(VALU_DEP_2) | instskip(SKIP_1) | instid1(TRANS32_DEP_1)
	v_rcp_f64_e32 v[44:45], v[42:43]
	v_nop
	v_fma_f64 v[46:47], -v[42:43], v[44:45], 1.0
	s_delay_alu instid0(VALU_DEP_1) | instskip(NEXT) | instid1(VALU_DEP_1)
	v_fmac_f64_e32 v[44:45], v[44:45], v[46:47]
	v_fma_f64 v[46:47], -v[42:43], v[44:45], 1.0
	s_delay_alu instid0(VALU_DEP_1) | instskip(NEXT) | instid1(VALU_DEP_1)
	v_fmac_f64_e32 v[44:45], v[44:45], v[46:47]
	v_mul_f64_e32 v[46:47], v[48:49], v[44:45]
	s_delay_alu instid0(VALU_DEP_1) | instskip(NEXT) | instid1(VALU_DEP_1)
	v_fma_f64 v[42:43], -v[42:43], v[46:47], v[48:49]
	v_div_fmas_f64 v[42:43], v[42:43], v[44:45], v[46:47]
	s_delay_alu instid0(VALU_DEP_1) | instskip(NEXT) | instid1(VALU_DEP_1)
	v_div_fixup_f64 v[42:43], v[42:43], v[40:41], v[38:39]
	v_fmac_f64_e32 v[40:41], v[38:39], v[42:43]
	s_delay_alu instid0(VALU_DEP_1) | instskip(SKIP_1) | instid1(VALU_DEP_2)
	v_div_scale_f64 v[38:39], null, v[40:41], v[40:41], 1.0
	v_div_scale_f64 v[48:49], vcc_lo, 1.0, v[40:41], 1.0
	v_rcp_f64_e32 v[44:45], v[38:39]
	v_nop
	s_delay_alu instid0(TRANS32_DEP_1) | instskip(NEXT) | instid1(VALU_DEP_1)
	v_fma_f64 v[46:47], -v[38:39], v[44:45], 1.0
	v_fmac_f64_e32 v[44:45], v[44:45], v[46:47]
	s_delay_alu instid0(VALU_DEP_1) | instskip(NEXT) | instid1(VALU_DEP_1)
	v_fma_f64 v[46:47], -v[38:39], v[44:45], 1.0
	v_fmac_f64_e32 v[44:45], v[44:45], v[46:47]
	s_delay_alu instid0(VALU_DEP_1) | instskip(NEXT) | instid1(VALU_DEP_1)
	v_mul_f64_e32 v[46:47], v[48:49], v[44:45]
	v_fma_f64 v[38:39], -v[38:39], v[46:47], v[48:49]
	s_delay_alu instid0(VALU_DEP_1) | instskip(SKIP_2) | instid1(VALU_DEP_3)
	v_div_fmas_f64 v[38:39], v[38:39], v[44:45], v[46:47]
	v_fma_f64 v[44:45], v[34:35], v[42:43], v[36:37]
	v_fma_f64 v[34:35], v[36:37], v[42:43], -v[34:35]
	v_div_fixup_f64 v[38:39], v[38:39], v[40:41], 1.0
	s_delay_alu instid0(VALU_DEP_1) | instskip(NEXT) | instid1(VALU_DEP_3)
	v_mul_f64_e32 v[44:45], v[44:45], v[38:39]
	v_mul_f64_e32 v[42:43], v[34:35], v[38:39]
.LBB117_59:                             ;   in Loop: Header=BB117_4 Depth=1
	s_or_b32 exec_lo, exec_lo, s6
.LBB117_60:                             ;   in Loop: Header=BB117_4 Depth=1
	v_cmp_gt_f64_e32 vcc_lo, 0, v[30:31]
	v_xor_b32_e32 v34, 0x80000000, v31
	v_mov_b32_e32 v38, v30
	v_xor_b32_e32 v35, 0x80000000, v33
	s_mov_b32 s7, -1
                                        ; implicit-def: $vgpr36_vgpr37
	s_delay_alu instid0(VALU_DEP_3) | instskip(SKIP_1) | instid1(VALU_DEP_3)
	v_dual_mov_b32 v40, v32 :: v_dual_cndmask_b32 v39, v31, v34
	v_cmp_gt_f64_e32 vcc_lo, 0, v[32:33]
	v_cndmask_b32_e32 v41, v33, v35, vcc_lo
	s_and_not1_b32 vcc_lo, exec_lo, s33
                                        ; implicit-def: $vgpr34_vgpr35
	s_delay_alu instid0(VALU_DEP_1)
	v_cmp_ge_f64_e64 s6, v[38:39], v[40:41]
	s_cbranch_vccnz .LBB117_70
; %bb.61:                               ;   in Loop: Header=BB117_4 Depth=1
                                        ; implicit-def: $vgpr34_vgpr35
                                        ; implicit-def: $vgpr46_vgpr47
	s_and_saveexec_b32 s7, s6
	s_delay_alu instid0(SALU_CYCLE_1)
	s_xor_b32 s34, exec_lo, s7
	s_cbranch_execz .LBB117_67
; %bb.62:                               ;   in Loop: Header=BB117_4 Depth=1
	v_cmp_neq_f64_e32 vcc_lo, 0, v[30:31]
	v_cmp_neq_f64_e64 s7, 0, v[32:33]
                                        ; implicit-def: $vgpr34_vgpr35
                                        ; implicit-def: $vgpr46_vgpr47
	s_or_b32 s7, s7, vcc_lo
	s_delay_alu instid0(SALU_CYCLE_1) | instskip(NEXT) | instid1(SALU_CYCLE_1)
	s_and_saveexec_b32 s35, s7
	s_xor_b32 s7, exec_lo, s35
	s_cbranch_execz .LBB117_64
; %bb.63:                               ;   in Loop: Header=BB117_4 Depth=1
	v_div_scale_f64 v[34:35], null, v[30:31], v[30:31], v[32:33]
	v_div_scale_f64 v[48:49], vcc_lo, v[32:33], v[30:31], v[32:33]
	s_delay_alu instid0(VALU_DEP_2) | instskip(SKIP_1) | instid1(TRANS32_DEP_1)
	v_rcp_f64_e32 v[36:37], v[34:35]
	v_nop
	v_fma_f64 v[46:47], -v[34:35], v[36:37], 1.0
	s_delay_alu instid0(VALU_DEP_1) | instskip(NEXT) | instid1(VALU_DEP_1)
	v_fmac_f64_e32 v[36:37], v[36:37], v[46:47]
	v_fma_f64 v[46:47], -v[34:35], v[36:37], 1.0
	s_delay_alu instid0(VALU_DEP_1) | instskip(NEXT) | instid1(VALU_DEP_1)
	v_fmac_f64_e32 v[36:37], v[36:37], v[46:47]
	v_mul_f64_e32 v[46:47], v[48:49], v[36:37]
	s_delay_alu instid0(VALU_DEP_1) | instskip(NEXT) | instid1(VALU_DEP_1)
	v_fma_f64 v[34:35], -v[34:35], v[46:47], v[48:49]
	v_div_fmas_f64 v[34:35], v[34:35], v[36:37], v[46:47]
	s_delay_alu instid0(VALU_DEP_1) | instskip(NEXT) | instid1(VALU_DEP_1)
	v_div_fixup_f64 v[34:35], v[34:35], v[30:31], v[32:33]
	v_fma_f64 v[36:37], v[32:33], v[34:35], v[30:31]
	s_delay_alu instid0(VALU_DEP_1) | instskip(SKIP_1) | instid1(VALU_DEP_2)
	v_div_scale_f64 v[46:47], null, v[36:37], v[36:37], 1.0
	v_div_scale_f64 v[68:69], vcc_lo, 1.0, v[36:37], 1.0
	v_rcp_f64_e32 v[48:49], v[46:47]
	v_nop
	s_delay_alu instid0(TRANS32_DEP_1) | instskip(NEXT) | instid1(VALU_DEP_1)
	v_fma_f64 v[66:67], -v[46:47], v[48:49], 1.0
	v_fmac_f64_e32 v[48:49], v[48:49], v[66:67]
	s_delay_alu instid0(VALU_DEP_1) | instskip(NEXT) | instid1(VALU_DEP_1)
	v_fma_f64 v[66:67], -v[46:47], v[48:49], 1.0
	v_fmac_f64_e32 v[48:49], v[48:49], v[66:67]
	s_delay_alu instid0(VALU_DEP_1) | instskip(NEXT) | instid1(VALU_DEP_1)
	v_mul_f64_e32 v[66:67], v[68:69], v[48:49]
	v_fma_f64 v[46:47], -v[46:47], v[66:67], v[68:69]
	s_delay_alu instid0(VALU_DEP_1) | instskip(SKIP_2) | instid1(VALU_DEP_3)
	v_div_fmas_f64 v[46:47], v[46:47], v[48:49], v[66:67]
	v_fma_f64 v[48:49], v[28:29], v[34:35], v[26:27]
	v_fma_f64 v[34:35], -v[26:27], v[34:35], v[28:29]
	v_div_fixup_f64 v[36:37], v[46:47], v[36:37], 1.0
	s_delay_alu instid0(VALU_DEP_1) | instskip(NEXT) | instid1(VALU_DEP_3)
	v_mul_f64_e32 v[46:47], v[48:49], v[36:37]
	v_mul_f64_e32 v[34:35], v[34:35], v[36:37]
.LBB117_64:                             ;   in Loop: Header=BB117_4 Depth=1
	s_and_not1_saveexec_b32 s35, s7
	s_cbranch_execz .LBB117_66
; %bb.65:                               ;   in Loop: Header=BB117_4 Depth=1
	v_div_scale_f64 v[34:35], null, v[38:39], v[38:39], v[26:27]
	v_div_scale_f64 v[36:37], null, v[40:41], v[40:41], v[28:29]
	v_div_scale_f64 v[70:71], vcc_lo, v[26:27], v[38:39], v[26:27]
	s_delay_alu instid0(VALU_DEP_3) | instskip(NEXT) | instid1(VALU_DEP_2)
	v_rcp_f64_e32 v[46:47], v[34:35]
	v_rcp_f64_e32 v[48:49], v[36:37]
	s_delay_alu instid0(TRANS32_DEP_2) | instskip(NEXT) | instid1(TRANS32_DEP_1)
	v_fma_f64 v[66:67], -v[34:35], v[46:47], 1.0
	v_fma_f64 v[68:69], -v[36:37], v[48:49], 1.0
	s_delay_alu instid0(VALU_DEP_2) | instskip(NEXT) | instid1(VALU_DEP_2)
	v_fmac_f64_e32 v[46:47], v[46:47], v[66:67]
	v_fmac_f64_e32 v[48:49], v[48:49], v[68:69]
	s_delay_alu instid0(VALU_DEP_2) | instskip(NEXT) | instid1(VALU_DEP_2)
	v_fma_f64 v[66:67], -v[34:35], v[46:47], 1.0
	v_fma_f64 v[68:69], -v[36:37], v[48:49], 1.0
	s_delay_alu instid0(VALU_DEP_2) | instskip(SKIP_1) | instid1(VALU_DEP_3)
	v_fmac_f64_e32 v[46:47], v[46:47], v[66:67]
	v_div_scale_f64 v[66:67], s7, v[28:29], v[40:41], v[28:29]
	v_fmac_f64_e32 v[48:49], v[48:49], v[68:69]
	s_delay_alu instid0(VALU_DEP_3) | instskip(NEXT) | instid1(VALU_DEP_2)
	v_mul_f64_e32 v[68:69], v[70:71], v[46:47]
	v_mul_f64_e32 v[72:73], v[66:67], v[48:49]
	s_delay_alu instid0(VALU_DEP_2) | instskip(NEXT) | instid1(VALU_DEP_2)
	v_fma_f64 v[34:35], -v[34:35], v[68:69], v[70:71]
	v_fma_f64 v[36:37], -v[36:37], v[72:73], v[66:67]
	s_delay_alu instid0(VALU_DEP_2) | instskip(SKIP_1) | instid1(VALU_DEP_2)
	v_div_fmas_f64 v[34:35], v[34:35], v[46:47], v[68:69]
	s_mov_b32 vcc_lo, s7
	v_div_fmas_f64 v[36:37], v[36:37], v[48:49], v[72:73]
	s_delay_alu instid0(VALU_DEP_2) | instskip(NEXT) | instid1(VALU_DEP_2)
	v_div_fixup_f64 v[46:47], v[34:35], v[38:39], v[26:27]
	v_div_fixup_f64 v[34:35], v[36:37], v[40:41], v[28:29]
.LBB117_66:                             ;   in Loop: Header=BB117_4 Depth=1
	s_or_b32 exec_lo, exec_lo, s35
.LBB117_67:                             ;   in Loop: Header=BB117_4 Depth=1
	s_and_not1_saveexec_b32 s7, s34
	s_cbranch_execz .LBB117_69
; %bb.68:                               ;   in Loop: Header=BB117_4 Depth=1
	v_div_scale_f64 v[34:35], null, v[32:33], v[32:33], v[30:31]
	v_div_scale_f64 v[48:49], vcc_lo, v[30:31], v[32:33], v[30:31]
	s_delay_alu instid0(VALU_DEP_2) | instskip(SKIP_1) | instid1(TRANS32_DEP_1)
	v_rcp_f64_e32 v[36:37], v[34:35]
	v_nop
	v_fma_f64 v[46:47], -v[34:35], v[36:37], 1.0
	s_delay_alu instid0(VALU_DEP_1) | instskip(NEXT) | instid1(VALU_DEP_1)
	v_fmac_f64_e32 v[36:37], v[36:37], v[46:47]
	v_fma_f64 v[46:47], -v[34:35], v[36:37], 1.0
	s_delay_alu instid0(VALU_DEP_1) | instskip(NEXT) | instid1(VALU_DEP_1)
	v_fmac_f64_e32 v[36:37], v[36:37], v[46:47]
	v_mul_f64_e32 v[46:47], v[48:49], v[36:37]
	s_delay_alu instid0(VALU_DEP_1) | instskip(NEXT) | instid1(VALU_DEP_1)
	v_fma_f64 v[34:35], -v[34:35], v[46:47], v[48:49]
	v_div_fmas_f64 v[34:35], v[34:35], v[36:37], v[46:47]
	s_delay_alu instid0(VALU_DEP_1) | instskip(NEXT) | instid1(VALU_DEP_1)
	v_div_fixup_f64 v[34:35], v[34:35], v[32:33], v[30:31]
	v_fma_f64 v[36:37], v[30:31], v[34:35], v[32:33]
	s_delay_alu instid0(VALU_DEP_1) | instskip(SKIP_1) | instid1(VALU_DEP_2)
	v_div_scale_f64 v[46:47], null, v[36:37], v[36:37], 1.0
	v_div_scale_f64 v[68:69], vcc_lo, 1.0, v[36:37], 1.0
	v_rcp_f64_e32 v[48:49], v[46:47]
	v_nop
	s_delay_alu instid0(TRANS32_DEP_1) | instskip(NEXT) | instid1(VALU_DEP_1)
	v_fma_f64 v[66:67], -v[46:47], v[48:49], 1.0
	v_fmac_f64_e32 v[48:49], v[48:49], v[66:67]
	s_delay_alu instid0(VALU_DEP_1) | instskip(NEXT) | instid1(VALU_DEP_1)
	v_fma_f64 v[66:67], -v[46:47], v[48:49], 1.0
	v_fmac_f64_e32 v[48:49], v[48:49], v[66:67]
	s_delay_alu instid0(VALU_DEP_1) | instskip(NEXT) | instid1(VALU_DEP_1)
	v_mul_f64_e32 v[66:67], v[68:69], v[48:49]
	v_fma_f64 v[46:47], -v[46:47], v[66:67], v[68:69]
	s_delay_alu instid0(VALU_DEP_1) | instskip(SKIP_2) | instid1(VALU_DEP_3)
	v_div_fmas_f64 v[46:47], v[46:47], v[48:49], v[66:67]
	v_fma_f64 v[48:49], v[26:27], v[34:35], v[28:29]
	v_fma_f64 v[34:35], v[28:29], v[34:35], -v[26:27]
	v_div_fixup_f64 v[36:37], v[46:47], v[36:37], 1.0
	s_delay_alu instid0(VALU_DEP_1) | instskip(NEXT) | instid1(VALU_DEP_3)
	v_mul_f64_e32 v[46:47], v[48:49], v[36:37]
	v_mul_f64_e32 v[34:35], v[34:35], v[36:37]
.LBB117_69:                             ;   in Loop: Header=BB117_4 Depth=1
	s_or_b32 exec_lo, exec_lo, s7
	s_delay_alu instid0(VALU_DEP_1) | instskip(SKIP_2) | instid1(VALU_DEP_2)
	v_mul_f64_e32 v[36:37], s[10:11], v[34:35]
	v_mul_f64_e32 v[34:35], s[8:9], v[34:35]
	s_mov_b32 s7, 0
	v_fma_f64 v[36:37], s[8:9], v[46:47], -v[36:37]
	s_delay_alu instid0(VALU_DEP_2)
	v_fmac_f64_e32 v[34:35], s[10:11], v[46:47]
.LBB117_70:                             ;   in Loop: Header=BB117_4 Depth=1
	s_and_b32 vcc_lo, exec_lo, s7
	s_cbranch_vccz .LBB117_80
; %bb.71:                               ;   in Loop: Header=BB117_4 Depth=1
                                        ; implicit-def: $vgpr34_vgpr35
                                        ; implicit-def: $vgpr36_vgpr37
	s_and_saveexec_b32 s7, s6
	s_delay_alu instid0(SALU_CYCLE_1)
	s_xor_b32 s7, exec_lo, s7
	s_cbranch_execz .LBB117_77
; %bb.72:                               ;   in Loop: Header=BB117_4 Depth=1
	v_cmp_neq_f64_e32 vcc_lo, 0, v[30:31]
	v_cmp_neq_f64_e64 s6, 0, v[32:33]
                                        ; implicit-def: $vgpr34_vgpr35
                                        ; implicit-def: $vgpr36_vgpr37
	s_or_b32 s6, s6, vcc_lo
	s_delay_alu instid0(SALU_CYCLE_1) | instskip(NEXT) | instid1(SALU_CYCLE_1)
	s_and_saveexec_b32 s34, s6
	s_xor_b32 s6, exec_lo, s34
	s_cbranch_execz .LBB117_74
; %bb.73:                               ;   in Loop: Header=BB117_4 Depth=1
	v_div_scale_f64 v[34:35], null, v[30:31], v[30:31], v[32:33]
	v_div_scale_f64 v[40:41], vcc_lo, v[32:33], v[30:31], v[32:33]
	s_delay_alu instid0(VALU_DEP_2) | instskip(SKIP_1) | instid1(TRANS32_DEP_1)
	v_rcp_f64_e32 v[36:37], v[34:35]
	v_nop
	v_fma_f64 v[38:39], -v[34:35], v[36:37], 1.0
	s_delay_alu instid0(VALU_DEP_1) | instskip(NEXT) | instid1(VALU_DEP_1)
	v_fmac_f64_e32 v[36:37], v[36:37], v[38:39]
	v_fma_f64 v[38:39], -v[34:35], v[36:37], 1.0
	s_delay_alu instid0(VALU_DEP_1) | instskip(NEXT) | instid1(VALU_DEP_1)
	v_fmac_f64_e32 v[36:37], v[36:37], v[38:39]
	v_mul_f64_e32 v[38:39], v[40:41], v[36:37]
	s_delay_alu instid0(VALU_DEP_1) | instskip(NEXT) | instid1(VALU_DEP_1)
	v_fma_f64 v[34:35], -v[34:35], v[38:39], v[40:41]
	v_div_fmas_f64 v[34:35], v[34:35], v[36:37], v[38:39]
	s_delay_alu instid0(VALU_DEP_1) | instskip(NEXT) | instid1(VALU_DEP_1)
	v_div_fixup_f64 v[34:35], v[34:35], v[30:31], v[32:33]
	v_fmac_f64_e32 v[30:31], v[32:33], v[34:35]
	s_delay_alu instid0(VALU_DEP_1) | instskip(SKIP_1) | instid1(VALU_DEP_2)
	v_div_scale_f64 v[32:33], null, v[30:31], v[30:31], 1.0
	v_div_scale_f64 v[40:41], vcc_lo, 1.0, v[30:31], 1.0
	v_rcp_f64_e32 v[36:37], v[32:33]
	v_nop
	s_delay_alu instid0(TRANS32_DEP_1) | instskip(NEXT) | instid1(VALU_DEP_1)
	v_fma_f64 v[38:39], -v[32:33], v[36:37], 1.0
	v_fmac_f64_e32 v[36:37], v[36:37], v[38:39]
	s_delay_alu instid0(VALU_DEP_1) | instskip(NEXT) | instid1(VALU_DEP_1)
	v_fma_f64 v[38:39], -v[32:33], v[36:37], 1.0
	v_fmac_f64_e32 v[36:37], v[36:37], v[38:39]
	s_delay_alu instid0(VALU_DEP_1) | instskip(NEXT) | instid1(VALU_DEP_1)
	v_mul_f64_e32 v[38:39], v[40:41], v[36:37]
	v_fma_f64 v[32:33], -v[32:33], v[38:39], v[40:41]
                                        ; implicit-def: $vgpr40_vgpr41
	s_delay_alu instid0(VALU_DEP_1) | instskip(SKIP_2) | instid1(VALU_DEP_3)
	v_div_fmas_f64 v[32:33], v[32:33], v[36:37], v[38:39]
	v_fma_f64 v[36:37], v[28:29], v[34:35], v[26:27]
	v_fma_f64 v[26:27], -v[26:27], v[34:35], v[28:29]
                                        ; implicit-def: $vgpr38_vgpr39
	v_div_fixup_f64 v[30:31], v[32:33], v[30:31], 1.0
	s_delay_alu instid0(VALU_DEP_1) | instskip(NEXT) | instid1(VALU_DEP_3)
	v_mul_f64_e32 v[36:37], v[36:37], v[30:31]
	v_mul_f64_e32 v[34:35], v[26:27], v[30:31]
                                        ; implicit-def: $vgpr26_vgpr27
.LBB117_74:                             ;   in Loop: Header=BB117_4 Depth=1
	s_and_not1_saveexec_b32 s34, s6
	s_cbranch_execz .LBB117_76
; %bb.75:                               ;   in Loop: Header=BB117_4 Depth=1
	v_div_scale_f64 v[30:31], null, v[38:39], v[38:39], v[26:27]
	v_div_scale_f64 v[32:33], null, v[40:41], v[40:41], v[28:29]
	v_div_scale_f64 v[66:67], vcc_lo, v[26:27], v[38:39], v[26:27]
	s_delay_alu instid0(VALU_DEP_3) | instskip(NEXT) | instid1(VALU_DEP_2)
	v_rcp_f64_e32 v[34:35], v[30:31]
	v_rcp_f64_e32 v[36:37], v[32:33]
	s_delay_alu instid0(TRANS32_DEP_2) | instskip(NEXT) | instid1(TRANS32_DEP_1)
	v_fma_f64 v[46:47], -v[30:31], v[34:35], 1.0
	v_fma_f64 v[48:49], -v[32:33], v[36:37], 1.0
	s_delay_alu instid0(VALU_DEP_2) | instskip(NEXT) | instid1(VALU_DEP_2)
	v_fmac_f64_e32 v[34:35], v[34:35], v[46:47]
	v_fmac_f64_e32 v[36:37], v[36:37], v[48:49]
	s_delay_alu instid0(VALU_DEP_2) | instskip(NEXT) | instid1(VALU_DEP_2)
	v_fma_f64 v[46:47], -v[30:31], v[34:35], 1.0
	v_fma_f64 v[48:49], -v[32:33], v[36:37], 1.0
	s_delay_alu instid0(VALU_DEP_2) | instskip(SKIP_1) | instid1(VALU_DEP_3)
	v_fmac_f64_e32 v[34:35], v[34:35], v[46:47]
	v_div_scale_f64 v[46:47], s6, v[28:29], v[40:41], v[28:29]
	v_fmac_f64_e32 v[36:37], v[36:37], v[48:49]
	s_delay_alu instid0(VALU_DEP_3) | instskip(NEXT) | instid1(VALU_DEP_2)
	v_mul_f64_e32 v[48:49], v[66:67], v[34:35]
	v_mul_f64_e32 v[68:69], v[46:47], v[36:37]
	s_delay_alu instid0(VALU_DEP_2) | instskip(NEXT) | instid1(VALU_DEP_2)
	v_fma_f64 v[30:31], -v[30:31], v[48:49], v[66:67]
	v_fma_f64 v[32:33], -v[32:33], v[68:69], v[46:47]
	s_delay_alu instid0(VALU_DEP_2) | instskip(SKIP_1) | instid1(VALU_DEP_2)
	v_div_fmas_f64 v[30:31], v[30:31], v[34:35], v[48:49]
	s_mov_b32 vcc_lo, s6
	v_div_fmas_f64 v[32:33], v[32:33], v[36:37], v[68:69]
	s_delay_alu instid0(VALU_DEP_2) | instskip(NEXT) | instid1(VALU_DEP_2)
	v_div_fixup_f64 v[36:37], v[30:31], v[38:39], v[26:27]
	v_div_fixup_f64 v[34:35], v[32:33], v[40:41], v[28:29]
.LBB117_76:                             ;   in Loop: Header=BB117_4 Depth=1
	s_or_b32 exec_lo, exec_lo, s34
                                        ; implicit-def: $vgpr32_vgpr33
                                        ; implicit-def: $vgpr26_vgpr27
.LBB117_77:                             ;   in Loop: Header=BB117_4 Depth=1
	s_and_not1_saveexec_b32 s6, s7
	s_cbranch_execz .LBB117_79
; %bb.78:                               ;   in Loop: Header=BB117_4 Depth=1
	v_div_scale_f64 v[34:35], null, v[32:33], v[32:33], v[30:31]
	v_div_scale_f64 v[40:41], vcc_lo, v[30:31], v[32:33], v[30:31]
	s_delay_alu instid0(VALU_DEP_2) | instskip(SKIP_1) | instid1(TRANS32_DEP_1)
	v_rcp_f64_e32 v[36:37], v[34:35]
	v_nop
	v_fma_f64 v[38:39], -v[34:35], v[36:37], 1.0
	s_delay_alu instid0(VALU_DEP_1) | instskip(NEXT) | instid1(VALU_DEP_1)
	v_fmac_f64_e32 v[36:37], v[36:37], v[38:39]
	v_fma_f64 v[38:39], -v[34:35], v[36:37], 1.0
	s_delay_alu instid0(VALU_DEP_1) | instskip(NEXT) | instid1(VALU_DEP_1)
	v_fmac_f64_e32 v[36:37], v[36:37], v[38:39]
	v_mul_f64_e32 v[38:39], v[40:41], v[36:37]
	s_delay_alu instid0(VALU_DEP_1) | instskip(NEXT) | instid1(VALU_DEP_1)
	v_fma_f64 v[34:35], -v[34:35], v[38:39], v[40:41]
	v_div_fmas_f64 v[34:35], v[34:35], v[36:37], v[38:39]
	s_delay_alu instid0(VALU_DEP_1) | instskip(NEXT) | instid1(VALU_DEP_1)
	v_div_fixup_f64 v[34:35], v[34:35], v[32:33], v[30:31]
	v_fmac_f64_e32 v[32:33], v[30:31], v[34:35]
	s_delay_alu instid0(VALU_DEP_1) | instskip(SKIP_1) | instid1(VALU_DEP_2)
	v_div_scale_f64 v[30:31], null, v[32:33], v[32:33], 1.0
	v_div_scale_f64 v[40:41], vcc_lo, 1.0, v[32:33], 1.0
	v_rcp_f64_e32 v[36:37], v[30:31]
	v_nop
	s_delay_alu instid0(TRANS32_DEP_1) | instskip(NEXT) | instid1(VALU_DEP_1)
	v_fma_f64 v[38:39], -v[30:31], v[36:37], 1.0
	v_fmac_f64_e32 v[36:37], v[36:37], v[38:39]
	s_delay_alu instid0(VALU_DEP_1) | instskip(NEXT) | instid1(VALU_DEP_1)
	v_fma_f64 v[38:39], -v[30:31], v[36:37], 1.0
	v_fmac_f64_e32 v[36:37], v[36:37], v[38:39]
	s_delay_alu instid0(VALU_DEP_1) | instskip(NEXT) | instid1(VALU_DEP_1)
	v_mul_f64_e32 v[38:39], v[40:41], v[36:37]
	v_fma_f64 v[30:31], -v[30:31], v[38:39], v[40:41]
	s_delay_alu instid0(VALU_DEP_1) | instskip(SKIP_2) | instid1(VALU_DEP_3)
	v_div_fmas_f64 v[30:31], v[30:31], v[36:37], v[38:39]
	v_fma_f64 v[36:37], v[26:27], v[34:35], v[28:29]
	v_fma_f64 v[26:27], v[28:29], v[34:35], -v[26:27]
	v_div_fixup_f64 v[30:31], v[30:31], v[32:33], 1.0
	s_delay_alu instid0(VALU_DEP_1) | instskip(NEXT) | instid1(VALU_DEP_3)
	v_mul_f64_e32 v[36:37], v[36:37], v[30:31]
	v_mul_f64_e32 v[34:35], v[26:27], v[30:31]
.LBB117_79:                             ;   in Loop: Header=BB117_4 Depth=1
	s_or_b32 exec_lo, exec_lo, s6
.LBB117_80:                             ;   in Loop: Header=BB117_4 Depth=1
	v_cmp_gt_f64_e32 vcc_lo, 0, v[22:23]
	v_xor_b32_e32 v27, 0x80000000, v23
	v_mov_b32_e32 v26, v22
	v_xor_b32_e32 v28, 0x80000000, v25
	s_mov_b32 s7, -1
                                        ; implicit-def: $vgpr30_vgpr31
                                        ; implicit-def: $vgpr32_vgpr33
	s_delay_alu instid0(VALU_DEP_3) | instskip(SKIP_1) | instid1(VALU_DEP_3)
	v_cndmask_b32_e32 v27, v23, v27, vcc_lo
	v_cmp_gt_f64_e32 vcc_lo, 0, v[24:25]
	v_dual_cndmask_b32 v29, v25, v28 :: v_dual_mov_b32 v28, v24
	s_and_not1_b32 vcc_lo, exec_lo, s33
	s_delay_alu instid0(VALU_DEP_1)
	v_cmp_ge_f64_e64 s6, v[26:27], v[28:29]
	s_cbranch_vccz .LBB117_86
; %bb.81:                               ;   in Loop: Header=BB117_4 Depth=1
	s_and_b32 vcc_lo, exec_lo, s7
	s_cbranch_vccnz .LBB117_95
.LBB117_82:                             ;   in Loop: Header=BB117_4 Depth=1
	s_and_saveexec_b32 s6, s2
	s_delay_alu instid0(SALU_CYCLE_1)
	s_xor_b32 s2, exec_lo, s6
	s_cbranch_execnz .LBB117_104
.LBB117_83:                             ;   in Loop: Header=BB117_4 Depth=1
	s_or_b32 exec_lo, exec_lo, s2
	s_and_saveexec_b32 s2, s3
	s_cbranch_execnz .LBB117_105
.LBB117_84:                             ;   in Loop: Header=BB117_4 Depth=1
	s_or_b32 exec_lo, exec_lo, s2
	s_and_saveexec_b32 s2, s4
	s_cbranch_execnz .LBB117_106
.LBB117_85:                             ;   in Loop: Header=BB117_4 Depth=1
	s_or_b32 exec_lo, exec_lo, s2
	s_and_saveexec_b32 s2, s5
	s_cbranch_execz .LBB117_3
	s_branch .LBB117_107
.LBB117_86:                             ;   in Loop: Header=BB117_4 Depth=1
                                        ; implicit-def: $vgpr30_vgpr31
                                        ; implicit-def: $vgpr38_vgpr39
	s_and_saveexec_b32 s7, s6
	s_delay_alu instid0(SALU_CYCLE_1)
	s_xor_b32 s34, exec_lo, s7
	s_cbranch_execz .LBB117_92
; %bb.87:                               ;   in Loop: Header=BB117_4 Depth=1
	v_cmp_neq_f64_e32 vcc_lo, 0, v[22:23]
	v_cmp_neq_f64_e64 s7, 0, v[24:25]
                                        ; implicit-def: $vgpr30_vgpr31
                                        ; implicit-def: $vgpr38_vgpr39
	s_or_b32 s7, s7, vcc_lo
	s_delay_alu instid0(SALU_CYCLE_1) | instskip(NEXT) | instid1(SALU_CYCLE_1)
	s_and_saveexec_b32 s35, s7
	s_xor_b32 s7, exec_lo, s35
	s_cbranch_execz .LBB117_89
; %bb.88:                               ;   in Loop: Header=BB117_4 Depth=1
	v_div_scale_f64 v[30:31], null, v[22:23], v[22:23], v[24:25]
	v_div_scale_f64 v[40:41], vcc_lo, v[24:25], v[22:23], v[24:25]
	s_delay_alu instid0(VALU_DEP_2) | instskip(SKIP_1) | instid1(TRANS32_DEP_1)
	v_rcp_f64_e32 v[32:33], v[30:31]
	v_nop
	v_fma_f64 v[38:39], -v[30:31], v[32:33], 1.0
	s_delay_alu instid0(VALU_DEP_1) | instskip(NEXT) | instid1(VALU_DEP_1)
	v_fmac_f64_e32 v[32:33], v[32:33], v[38:39]
	v_fma_f64 v[38:39], -v[30:31], v[32:33], 1.0
	s_delay_alu instid0(VALU_DEP_1) | instskip(NEXT) | instid1(VALU_DEP_1)
	v_fmac_f64_e32 v[32:33], v[32:33], v[38:39]
	v_mul_f64_e32 v[38:39], v[40:41], v[32:33]
	s_delay_alu instid0(VALU_DEP_1) | instskip(NEXT) | instid1(VALU_DEP_1)
	v_fma_f64 v[30:31], -v[30:31], v[38:39], v[40:41]
	v_div_fmas_f64 v[30:31], v[30:31], v[32:33], v[38:39]
	s_delay_alu instid0(VALU_DEP_1) | instskip(NEXT) | instid1(VALU_DEP_1)
	v_div_fixup_f64 v[30:31], v[30:31], v[22:23], v[24:25]
	v_fma_f64 v[32:33], v[24:25], v[30:31], v[22:23]
	s_delay_alu instid0(VALU_DEP_1) | instskip(SKIP_1) | instid1(VALU_DEP_2)
	v_div_scale_f64 v[38:39], null, v[32:33], v[32:33], 1.0
	v_div_scale_f64 v[48:49], vcc_lo, 1.0, v[32:33], 1.0
	v_rcp_f64_e32 v[40:41], v[38:39]
	v_nop
	s_delay_alu instid0(TRANS32_DEP_1) | instskip(NEXT) | instid1(VALU_DEP_1)
	v_fma_f64 v[46:47], -v[38:39], v[40:41], 1.0
	v_fmac_f64_e32 v[40:41], v[40:41], v[46:47]
	s_delay_alu instid0(VALU_DEP_1) | instskip(NEXT) | instid1(VALU_DEP_1)
	v_fma_f64 v[46:47], -v[38:39], v[40:41], 1.0
	v_fmac_f64_e32 v[40:41], v[40:41], v[46:47]
	s_delay_alu instid0(VALU_DEP_1) | instskip(NEXT) | instid1(VALU_DEP_1)
	v_mul_f64_e32 v[46:47], v[48:49], v[40:41]
	v_fma_f64 v[38:39], -v[38:39], v[46:47], v[48:49]
	s_delay_alu instid0(VALU_DEP_1) | instskip(SKIP_2) | instid1(VALU_DEP_3)
	v_div_fmas_f64 v[38:39], v[38:39], v[40:41], v[46:47]
	v_fma_f64 v[40:41], v[20:21], v[30:31], v[18:19]
	v_fma_f64 v[30:31], -v[18:19], v[30:31], v[20:21]
	v_div_fixup_f64 v[32:33], v[38:39], v[32:33], 1.0
	s_delay_alu instid0(VALU_DEP_1) | instskip(NEXT) | instid1(VALU_DEP_3)
	v_mul_f64_e32 v[38:39], v[40:41], v[32:33]
	v_mul_f64_e32 v[30:31], v[30:31], v[32:33]
.LBB117_89:                             ;   in Loop: Header=BB117_4 Depth=1
	s_and_not1_saveexec_b32 s35, s7
	s_cbranch_execz .LBB117_91
; %bb.90:                               ;   in Loop: Header=BB117_4 Depth=1
	v_div_scale_f64 v[30:31], null, v[26:27], v[26:27], v[18:19]
	v_div_scale_f64 v[32:33], null, v[28:29], v[28:29], v[20:21]
	v_div_scale_f64 v[66:67], vcc_lo, v[18:19], v[26:27], v[18:19]
	s_delay_alu instid0(VALU_DEP_3) | instskip(NEXT) | instid1(VALU_DEP_2)
	v_rcp_f64_e32 v[38:39], v[30:31]
	v_rcp_f64_e32 v[40:41], v[32:33]
	s_delay_alu instid0(TRANS32_DEP_2) | instskip(NEXT) | instid1(TRANS32_DEP_1)
	v_fma_f64 v[46:47], -v[30:31], v[38:39], 1.0
	v_fma_f64 v[48:49], -v[32:33], v[40:41], 1.0
	s_delay_alu instid0(VALU_DEP_2) | instskip(NEXT) | instid1(VALU_DEP_2)
	v_fmac_f64_e32 v[38:39], v[38:39], v[46:47]
	v_fmac_f64_e32 v[40:41], v[40:41], v[48:49]
	s_delay_alu instid0(VALU_DEP_2) | instskip(NEXT) | instid1(VALU_DEP_2)
	v_fma_f64 v[46:47], -v[30:31], v[38:39], 1.0
	v_fma_f64 v[48:49], -v[32:33], v[40:41], 1.0
	s_delay_alu instid0(VALU_DEP_2) | instskip(SKIP_1) | instid1(VALU_DEP_3)
	v_fmac_f64_e32 v[38:39], v[38:39], v[46:47]
	v_div_scale_f64 v[46:47], s7, v[20:21], v[28:29], v[20:21]
	v_fmac_f64_e32 v[40:41], v[40:41], v[48:49]
	s_delay_alu instid0(VALU_DEP_3) | instskip(NEXT) | instid1(VALU_DEP_2)
	v_mul_f64_e32 v[48:49], v[66:67], v[38:39]
	v_mul_f64_e32 v[68:69], v[46:47], v[40:41]
	s_delay_alu instid0(VALU_DEP_2) | instskip(NEXT) | instid1(VALU_DEP_2)
	v_fma_f64 v[30:31], -v[30:31], v[48:49], v[66:67]
	v_fma_f64 v[32:33], -v[32:33], v[68:69], v[46:47]
	s_delay_alu instid0(VALU_DEP_2) | instskip(SKIP_1) | instid1(VALU_DEP_2)
	v_div_fmas_f64 v[30:31], v[30:31], v[38:39], v[48:49]
	s_mov_b32 vcc_lo, s7
	v_div_fmas_f64 v[32:33], v[32:33], v[40:41], v[68:69]
	s_delay_alu instid0(VALU_DEP_2) | instskip(NEXT) | instid1(VALU_DEP_2)
	v_div_fixup_f64 v[38:39], v[30:31], v[26:27], v[18:19]
	v_div_fixup_f64 v[30:31], v[32:33], v[28:29], v[20:21]
.LBB117_91:                             ;   in Loop: Header=BB117_4 Depth=1
	s_or_b32 exec_lo, exec_lo, s35
.LBB117_92:                             ;   in Loop: Header=BB117_4 Depth=1
	s_and_not1_saveexec_b32 s7, s34
	s_cbranch_execz .LBB117_94
; %bb.93:                               ;   in Loop: Header=BB117_4 Depth=1
	v_div_scale_f64 v[30:31], null, v[24:25], v[24:25], v[22:23]
	v_div_scale_f64 v[40:41], vcc_lo, v[22:23], v[24:25], v[22:23]
	s_delay_alu instid0(VALU_DEP_2) | instskip(SKIP_1) | instid1(TRANS32_DEP_1)
	v_rcp_f64_e32 v[32:33], v[30:31]
	v_nop
	v_fma_f64 v[38:39], -v[30:31], v[32:33], 1.0
	s_delay_alu instid0(VALU_DEP_1) | instskip(NEXT) | instid1(VALU_DEP_1)
	v_fmac_f64_e32 v[32:33], v[32:33], v[38:39]
	v_fma_f64 v[38:39], -v[30:31], v[32:33], 1.0
	s_delay_alu instid0(VALU_DEP_1) | instskip(NEXT) | instid1(VALU_DEP_1)
	v_fmac_f64_e32 v[32:33], v[32:33], v[38:39]
	v_mul_f64_e32 v[38:39], v[40:41], v[32:33]
	s_delay_alu instid0(VALU_DEP_1) | instskip(NEXT) | instid1(VALU_DEP_1)
	v_fma_f64 v[30:31], -v[30:31], v[38:39], v[40:41]
	v_div_fmas_f64 v[30:31], v[30:31], v[32:33], v[38:39]
	s_delay_alu instid0(VALU_DEP_1) | instskip(NEXT) | instid1(VALU_DEP_1)
	v_div_fixup_f64 v[30:31], v[30:31], v[24:25], v[22:23]
	v_fma_f64 v[32:33], v[22:23], v[30:31], v[24:25]
	s_delay_alu instid0(VALU_DEP_1) | instskip(SKIP_1) | instid1(VALU_DEP_2)
	v_div_scale_f64 v[38:39], null, v[32:33], v[32:33], 1.0
	v_div_scale_f64 v[48:49], vcc_lo, 1.0, v[32:33], 1.0
	v_rcp_f64_e32 v[40:41], v[38:39]
	v_nop
	s_delay_alu instid0(TRANS32_DEP_1) | instskip(NEXT) | instid1(VALU_DEP_1)
	v_fma_f64 v[46:47], -v[38:39], v[40:41], 1.0
	v_fmac_f64_e32 v[40:41], v[40:41], v[46:47]
	s_delay_alu instid0(VALU_DEP_1) | instskip(NEXT) | instid1(VALU_DEP_1)
	v_fma_f64 v[46:47], -v[38:39], v[40:41], 1.0
	v_fmac_f64_e32 v[40:41], v[40:41], v[46:47]
	s_delay_alu instid0(VALU_DEP_1) | instskip(NEXT) | instid1(VALU_DEP_1)
	v_mul_f64_e32 v[46:47], v[48:49], v[40:41]
	v_fma_f64 v[38:39], -v[38:39], v[46:47], v[48:49]
	s_delay_alu instid0(VALU_DEP_1) | instskip(SKIP_2) | instid1(VALU_DEP_3)
	v_div_fmas_f64 v[38:39], v[38:39], v[40:41], v[46:47]
	v_fma_f64 v[40:41], v[18:19], v[30:31], v[20:21]
	v_fma_f64 v[30:31], v[20:21], v[30:31], -v[18:19]
	v_div_fixup_f64 v[32:33], v[38:39], v[32:33], 1.0
	s_delay_alu instid0(VALU_DEP_1) | instskip(NEXT) | instid1(VALU_DEP_3)
	v_mul_f64_e32 v[38:39], v[40:41], v[32:33]
	v_mul_f64_e32 v[30:31], v[30:31], v[32:33]
.LBB117_94:                             ;   in Loop: Header=BB117_4 Depth=1
	s_or_b32 exec_lo, exec_lo, s7
	s_delay_alu instid0(VALU_DEP_1) | instskip(SKIP_1) | instid1(VALU_DEP_2)
	v_mul_f64_e32 v[32:33], s[10:11], v[30:31]
	v_mul_f64_e32 v[30:31], s[8:9], v[30:31]
	v_fma_f64 v[32:33], s[8:9], v[38:39], -v[32:33]
	s_delay_alu instid0(VALU_DEP_2)
	v_fmac_f64_e32 v[30:31], s[10:11], v[38:39]
	s_branch .LBB117_82
.LBB117_95:                             ;   in Loop: Header=BB117_4 Depth=1
                                        ; implicit-def: $vgpr30_vgpr31
                                        ; implicit-def: $vgpr32_vgpr33
	s_and_saveexec_b32 s7, s6
	s_delay_alu instid0(SALU_CYCLE_1)
	s_xor_b32 s7, exec_lo, s7
	s_cbranch_execz .LBB117_101
; %bb.96:                               ;   in Loop: Header=BB117_4 Depth=1
	v_cmp_neq_f64_e32 vcc_lo, 0, v[22:23]
	v_cmp_neq_f64_e64 s6, 0, v[24:25]
                                        ; implicit-def: $vgpr30_vgpr31
                                        ; implicit-def: $vgpr32_vgpr33
	s_or_b32 s6, s6, vcc_lo
	s_delay_alu instid0(SALU_CYCLE_1) | instskip(NEXT) | instid1(SALU_CYCLE_1)
	s_and_saveexec_b32 s34, s6
	s_xor_b32 s6, exec_lo, s34
	s_cbranch_execz .LBB117_98
; %bb.97:                               ;   in Loop: Header=BB117_4 Depth=1
	v_div_scale_f64 v[26:27], null, v[22:23], v[22:23], v[24:25]
	v_div_scale_f64 v[32:33], vcc_lo, v[24:25], v[22:23], v[24:25]
	s_delay_alu instid0(VALU_DEP_2) | instskip(SKIP_1) | instid1(TRANS32_DEP_1)
	v_rcp_f64_e32 v[28:29], v[26:27]
	v_nop
	v_fma_f64 v[30:31], -v[26:27], v[28:29], 1.0
	s_delay_alu instid0(VALU_DEP_1) | instskip(NEXT) | instid1(VALU_DEP_1)
	v_fmac_f64_e32 v[28:29], v[28:29], v[30:31]
	v_fma_f64 v[30:31], -v[26:27], v[28:29], 1.0
	s_delay_alu instid0(VALU_DEP_1) | instskip(NEXT) | instid1(VALU_DEP_1)
	v_fmac_f64_e32 v[28:29], v[28:29], v[30:31]
	v_mul_f64_e32 v[30:31], v[32:33], v[28:29]
	s_delay_alu instid0(VALU_DEP_1) | instskip(NEXT) | instid1(VALU_DEP_1)
	v_fma_f64 v[26:27], -v[26:27], v[30:31], v[32:33]
	v_div_fmas_f64 v[26:27], v[26:27], v[28:29], v[30:31]
	s_delay_alu instid0(VALU_DEP_1) | instskip(NEXT) | instid1(VALU_DEP_1)
	v_div_fixup_f64 v[26:27], v[26:27], v[22:23], v[24:25]
	v_fmac_f64_e32 v[22:23], v[24:25], v[26:27]
	s_delay_alu instid0(VALU_DEP_1) | instskip(SKIP_1) | instid1(VALU_DEP_2)
	v_div_scale_f64 v[24:25], null, v[22:23], v[22:23], 1.0
	v_div_scale_f64 v[32:33], vcc_lo, 1.0, v[22:23], 1.0
	v_rcp_f64_e32 v[28:29], v[24:25]
	v_nop
	s_delay_alu instid0(TRANS32_DEP_1) | instskip(NEXT) | instid1(VALU_DEP_1)
	v_fma_f64 v[30:31], -v[24:25], v[28:29], 1.0
	v_fmac_f64_e32 v[28:29], v[28:29], v[30:31]
	s_delay_alu instid0(VALU_DEP_1) | instskip(NEXT) | instid1(VALU_DEP_1)
	v_fma_f64 v[30:31], -v[24:25], v[28:29], 1.0
	v_fmac_f64_e32 v[28:29], v[28:29], v[30:31]
	s_delay_alu instid0(VALU_DEP_1) | instskip(NEXT) | instid1(VALU_DEP_1)
	v_mul_f64_e32 v[30:31], v[32:33], v[28:29]
	v_fma_f64 v[24:25], -v[24:25], v[30:31], v[32:33]
	s_delay_alu instid0(VALU_DEP_1) | instskip(SKIP_2) | instid1(VALU_DEP_3)
	v_div_fmas_f64 v[24:25], v[24:25], v[28:29], v[30:31]
	v_fma_f64 v[28:29], v[20:21], v[26:27], v[18:19]
	v_fma_f64 v[18:19], -v[18:19], v[26:27], v[20:21]
                                        ; implicit-def: $vgpr26_vgpr27
	v_div_fixup_f64 v[22:23], v[24:25], v[22:23], 1.0
	s_delay_alu instid0(VALU_DEP_1) | instskip(NEXT) | instid1(VALU_DEP_3)
	v_mul_f64_e32 v[32:33], v[28:29], v[22:23]
	v_mul_f64_e32 v[30:31], v[18:19], v[22:23]
                                        ; implicit-def: $vgpr18_vgpr19
                                        ; implicit-def: $vgpr28_vgpr29
.LBB117_98:                             ;   in Loop: Header=BB117_4 Depth=1
	s_and_not1_saveexec_b32 s34, s6
	s_cbranch_execz .LBB117_100
; %bb.99:                               ;   in Loop: Header=BB117_4 Depth=1
	v_div_scale_f64 v[22:23], null, v[26:27], v[26:27], v[18:19]
	v_div_scale_f64 v[24:25], null, v[28:29], v[28:29], v[20:21]
	v_div_scale_f64 v[46:47], vcc_lo, v[18:19], v[26:27], v[18:19]
	s_delay_alu instid0(VALU_DEP_3) | instskip(NEXT) | instid1(VALU_DEP_2)
	v_rcp_f64_e32 v[30:31], v[22:23]
	v_rcp_f64_e32 v[32:33], v[24:25]
	s_delay_alu instid0(TRANS32_DEP_2) | instskip(NEXT) | instid1(TRANS32_DEP_1)
	v_fma_f64 v[38:39], -v[22:23], v[30:31], 1.0
	v_fma_f64 v[40:41], -v[24:25], v[32:33], 1.0
	s_delay_alu instid0(VALU_DEP_2) | instskip(NEXT) | instid1(VALU_DEP_2)
	v_fmac_f64_e32 v[30:31], v[30:31], v[38:39]
	v_fmac_f64_e32 v[32:33], v[32:33], v[40:41]
	s_delay_alu instid0(VALU_DEP_2) | instskip(NEXT) | instid1(VALU_DEP_2)
	v_fma_f64 v[38:39], -v[22:23], v[30:31], 1.0
	v_fma_f64 v[40:41], -v[24:25], v[32:33], 1.0
	s_delay_alu instid0(VALU_DEP_2) | instskip(SKIP_1) | instid1(VALU_DEP_3)
	v_fmac_f64_e32 v[30:31], v[30:31], v[38:39]
	v_div_scale_f64 v[38:39], s6, v[20:21], v[28:29], v[20:21]
	v_fmac_f64_e32 v[32:33], v[32:33], v[40:41]
	s_delay_alu instid0(VALU_DEP_3) | instskip(NEXT) | instid1(VALU_DEP_2)
	v_mul_f64_e32 v[40:41], v[46:47], v[30:31]
	v_mul_f64_e32 v[48:49], v[38:39], v[32:33]
	s_delay_alu instid0(VALU_DEP_2) | instskip(NEXT) | instid1(VALU_DEP_2)
	v_fma_f64 v[22:23], -v[22:23], v[40:41], v[46:47]
	v_fma_f64 v[24:25], -v[24:25], v[48:49], v[38:39]
	s_delay_alu instid0(VALU_DEP_2) | instskip(SKIP_1) | instid1(VALU_DEP_2)
	v_div_fmas_f64 v[22:23], v[22:23], v[30:31], v[40:41]
	s_mov_b32 vcc_lo, s6
	v_div_fmas_f64 v[24:25], v[24:25], v[32:33], v[48:49]
	s_delay_alu instid0(VALU_DEP_2) | instskip(NEXT) | instid1(VALU_DEP_2)
	v_div_fixup_f64 v[32:33], v[22:23], v[26:27], v[18:19]
	v_div_fixup_f64 v[30:31], v[24:25], v[28:29], v[20:21]
.LBB117_100:                            ;   in Loop: Header=BB117_4 Depth=1
	s_or_b32 exec_lo, exec_lo, s34
                                        ; implicit-def: $vgpr24_vgpr25
                                        ; implicit-def: $vgpr18_vgpr19
.LBB117_101:                            ;   in Loop: Header=BB117_4 Depth=1
	s_and_not1_saveexec_b32 s6, s7
	s_cbranch_execz .LBB117_103
; %bb.102:                              ;   in Loop: Header=BB117_4 Depth=1
	v_div_scale_f64 v[26:27], null, v[24:25], v[24:25], v[22:23]
	v_div_scale_f64 v[32:33], vcc_lo, v[22:23], v[24:25], v[22:23]
	s_delay_alu instid0(VALU_DEP_2) | instskip(SKIP_1) | instid1(TRANS32_DEP_1)
	v_rcp_f64_e32 v[28:29], v[26:27]
	v_nop
	v_fma_f64 v[30:31], -v[26:27], v[28:29], 1.0
	s_delay_alu instid0(VALU_DEP_1) | instskip(NEXT) | instid1(VALU_DEP_1)
	v_fmac_f64_e32 v[28:29], v[28:29], v[30:31]
	v_fma_f64 v[30:31], -v[26:27], v[28:29], 1.0
	s_delay_alu instid0(VALU_DEP_1) | instskip(NEXT) | instid1(VALU_DEP_1)
	v_fmac_f64_e32 v[28:29], v[28:29], v[30:31]
	v_mul_f64_e32 v[30:31], v[32:33], v[28:29]
	s_delay_alu instid0(VALU_DEP_1) | instskip(NEXT) | instid1(VALU_DEP_1)
	v_fma_f64 v[26:27], -v[26:27], v[30:31], v[32:33]
	v_div_fmas_f64 v[26:27], v[26:27], v[28:29], v[30:31]
	s_delay_alu instid0(VALU_DEP_1) | instskip(NEXT) | instid1(VALU_DEP_1)
	v_div_fixup_f64 v[26:27], v[26:27], v[24:25], v[22:23]
	v_fmac_f64_e32 v[24:25], v[22:23], v[26:27]
	s_delay_alu instid0(VALU_DEP_1) | instskip(SKIP_1) | instid1(VALU_DEP_2)
	v_div_scale_f64 v[22:23], null, v[24:25], v[24:25], 1.0
	v_div_scale_f64 v[32:33], vcc_lo, 1.0, v[24:25], 1.0
	v_rcp_f64_e32 v[28:29], v[22:23]
	v_nop
	s_delay_alu instid0(TRANS32_DEP_1) | instskip(NEXT) | instid1(VALU_DEP_1)
	v_fma_f64 v[30:31], -v[22:23], v[28:29], 1.0
	v_fmac_f64_e32 v[28:29], v[28:29], v[30:31]
	s_delay_alu instid0(VALU_DEP_1) | instskip(NEXT) | instid1(VALU_DEP_1)
	v_fma_f64 v[30:31], -v[22:23], v[28:29], 1.0
	v_fmac_f64_e32 v[28:29], v[28:29], v[30:31]
	s_delay_alu instid0(VALU_DEP_1) | instskip(NEXT) | instid1(VALU_DEP_1)
	v_mul_f64_e32 v[30:31], v[32:33], v[28:29]
	v_fma_f64 v[22:23], -v[22:23], v[30:31], v[32:33]
	s_delay_alu instid0(VALU_DEP_1) | instskip(SKIP_2) | instid1(VALU_DEP_3)
	v_div_fmas_f64 v[22:23], v[22:23], v[28:29], v[30:31]
	v_fma_f64 v[28:29], v[18:19], v[26:27], v[20:21]
	v_fma_f64 v[18:19], v[20:21], v[26:27], -v[18:19]
	v_div_fixup_f64 v[22:23], v[22:23], v[24:25], 1.0
	s_delay_alu instid0(VALU_DEP_1) | instskip(NEXT) | instid1(VALU_DEP_3)
	v_mul_f64_e32 v[32:33], v[28:29], v[22:23]
	v_mul_f64_e32 v[30:31], v[18:19], v[22:23]
.LBB117_103:                            ;   in Loop: Header=BB117_4 Depth=1
	s_or_b32 exec_lo, exec_lo, s6
	s_and_saveexec_b32 s6, s2
	s_delay_alu instid0(SALU_CYCLE_1)
	s_xor_b32 s2, exec_lo, s6
	s_cbranch_execz .LBB117_83
.LBB117_104:                            ;   in Loop: Header=BB117_4 Depth=1
	v_add_f64_e32 v[4:5], v[4:5], v[62:63]
	v_add_f64_e32 v[2:3], v[2:3], v[64:65]
	v_lshl_add_u64 v[18:19], v[54:55], 4, s[14:15]
	global_store_b128 v[18:19], v[2:5], off
	s_wait_xcnt 0x0
	s_or_b32 exec_lo, exec_lo, s2
	s_and_saveexec_b32 s2, s3
	s_cbranch_execz .LBB117_84
.LBB117_105:                            ;   in Loop: Header=BB117_4 Depth=1
	v_add_f64_e32 v[4:5], v[8:9], v[42:43]
	v_add_f64_e32 v[2:3], v[6:7], v[44:45]
	v_lshl_add_u64 v[6:7], v[56:57], 4, s[14:15]
	global_store_b128 v[6:7], v[2:5], off
	s_wait_xcnt 0x0
	s_or_b32 exec_lo, exec_lo, s2
	s_and_saveexec_b32 s2, s4
	s_cbranch_execz .LBB117_85
.LBB117_106:                            ;   in Loop: Header=BB117_4 Depth=1
	v_add_f64_e32 v[4:5], v[12:13], v[34:35]
	v_add_f64_e32 v[2:3], v[10:11], v[36:37]
	v_lshl_add_u64 v[6:7], v[58:59], 4, s[14:15]
	global_store_b128 v[6:7], v[2:5], off
	s_wait_xcnt 0x0
	s_or_b32 exec_lo, exec_lo, s2
	s_and_saveexec_b32 s2, s5
	s_cbranch_execz .LBB117_3
.LBB117_107:                            ;   in Loop: Header=BB117_4 Depth=1
	s_delay_alu instid0(VALU_DEP_1) | instskip(NEXT) | instid1(VALU_DEP_3)
	v_add_f64_e32 v[4:5], v[16:17], v[30:31]
	v_add_f64_e32 v[2:3], v[14:15], v[32:33]
	v_lshl_add_u64 v[6:7], v[60:61], 4, s[14:15]
	global_store_b128 v[6:7], v[2:5], off
	s_branch .LBB117_3
.LBB117_108:
	s_mov_b32 s2, 0
.LBB117_109:
	s_delay_alu instid0(SALU_CYCLE_1)
	s_and_not1_b32 vcc_lo, exec_lo, s2
	s_cbranch_vccnz .LBB117_193
; %bb.110:
	v_min_i64 v[50:51], 0x10000, s[20:21]
	v_dual_mov_b32 v53, 0 :: v_dual_lshlrev_b32 v52, 2, v0
	s_mov_b32 s2, exec_lo
	s_delay_alu instid0(VALU_DEP_1)
	v_cmpx_lt_i64_e64 v[52:53], v[50:51]
	s_cbranch_execz .LBB117_193
; %bb.111:
	s_wait_kmcnt 0x0
	v_cmp_neq_f64_e64 s6, s[8:9], 1.0
	v_cmp_neq_f64_e64 s7, s[10:11], 0
	s_load_b32 s0, s[0:1], 0xe34
	v_dual_mov_b32 v1, v53 :: v_dual_lshlrev_b32 v52, 6, v0
	s_mov_b32 s3, 0
	s_delay_alu instid0(SALU_CYCLE_1) | instskip(SKIP_2) | instid1(SALU_CYCLE_1)
	s_mov_b32 s5, s3
	s_wait_kmcnt 0x0
	s_and_b32 s2, s0, 0xffff
	s_lshl_b32 s4, s2, 6
	s_or_b32 s6, s6, s7
	s_mov_b32 s7, s3
	s_branch .LBB117_114
.LBB117_112:                            ;   in Loop: Header=BB117_114 Depth=1
	s_or_b32 exec_lo, exec_lo, s0
.LBB117_113:                            ;   in Loop: Header=BB117_114 Depth=1
	v_add_f64_e32 v[12:13], v[12:13], v[54:55]
	v_add_f64_e32 v[10:11], v[10:11], v[56:57]
	;; [unrolled: 1-line block ×8, first 2 shown]
	v_add_nc_u64_e32 v[0:1], s[2:3], v[0:1]
	s_add_nc_u64 s[18:19], s[18:19], s[4:5]
	s_add_nc_u64 s[12:13], s[12:13], s[4:5]
	;; [unrolled: 1-line block ×3, first 2 shown]
	s_delay_alu instid0(VALU_DEP_1) | instskip(NEXT) | instid1(VALU_DEP_1)
	v_lshlrev_b64_e32 v[18:19], 2, v[0:1]
	v_cmp_ge_i64_e32 vcc_lo, v[18:19], v[50:51]
	v_add_nc_u64_e32 v[18:19], s[14:15], v[52:53]
	s_add_nc_u64 s[14:15], s[14:15], s[4:5]
	s_clause 0x3
	global_store_b128 v[18:19], v[10:13], off
	global_store_b128 v[18:19], v[6:9], off offset:16
	global_store_b128 v[18:19], v[14:17], off offset:32
	;; [unrolled: 1-line block ×3, first 2 shown]
	s_or_b32 s7, vcc_lo, s7
	s_wait_xcnt 0x0
	s_and_not1_b32 exec_lo, exec_lo, s7
	s_cbranch_execz .LBB117_193
.LBB117_114:                            ; =>This Inner Loop Header: Depth=1
	v_add_nc_u64_e32 v[54:55], s[12:13], v[52:53]
	v_add_nc_u64_e32 v[56:57], s[18:19], v[52:53]
	;; [unrolled: 1-line block ×3, first 2 shown]
	s_wait_xcnt 0x0
	s_mov_b32 s1, -1
	s_clause 0x1
	global_load_b128 v[46:49], v[54:55], off
	global_load_b128 v[38:41], v[54:55], off offset:16
	s_clause 0x3
	global_load_b128 v[2:5], v[56:57], off offset:48
	global_load_b128 v[14:17], v[56:57], off offset:32
	;; [unrolled: 1-line block ×3, first 2 shown]
	global_load_b128 v[10:13], v[56:57], off
	s_clause 0x3
	global_load_b128 v[18:21], v[58:59], off offset:48
	global_load_b128 v[26:29], v[58:59], off offset:32
	;; [unrolled: 1-line block ×3, first 2 shown]
	global_load_b128 v[42:45], v[58:59], off
	s_clause 0x1
	global_load_b128 v[22:25], v[54:55], off offset:48
	global_load_b128 v[30:33], v[54:55], off offset:32
                                        ; implicit-def: $vgpr56_vgpr57
	s_wait_loadcnt 0xb
	v_cmp_gt_f64_e32 vcc_lo, 0, v[46:47]
	s_wait_xcnt 0x0
	v_xor_b32_e32 v54, 0x80000000, v47
	v_mov_b32_e32 v58, v46
	v_xor_b32_e32 v55, 0x80000000, v49
	s_delay_alu instid0(VALU_DEP_3) | instskip(SKIP_1) | instid1(VALU_DEP_3)
	v_dual_mov_b32 v60, v48 :: v_dual_cndmask_b32 v59, v47, v54
	v_cmp_gt_f64_e32 vcc_lo, 0, v[48:49]
	v_cndmask_b32_e32 v61, v49, v55, vcc_lo
	s_and_b32 vcc_lo, exec_lo, s6
                                        ; implicit-def: $vgpr54_vgpr55
	s_delay_alu instid0(VALU_DEP_1)
	v_cmp_ge_f64_e64 s0, v[58:59], v[60:61]
	s_cbranch_vccz .LBB117_124
; %bb.115:                              ;   in Loop: Header=BB117_114 Depth=1
                                        ; implicit-def: $vgpr54_vgpr55
                                        ; implicit-def: $vgpr62_vgpr63
	s_and_saveexec_b32 s1, s0
	s_delay_alu instid0(SALU_CYCLE_1)
	s_xor_b32 s20, exec_lo, s1
	s_cbranch_execz .LBB117_121
; %bb.116:                              ;   in Loop: Header=BB117_114 Depth=1
	v_cmp_neq_f64_e32 vcc_lo, 0, v[46:47]
	v_cmp_neq_f64_e64 s1, 0, v[48:49]
                                        ; implicit-def: $vgpr54_vgpr55
                                        ; implicit-def: $vgpr62_vgpr63
	s_or_b32 s1, vcc_lo, s1
	s_delay_alu instid0(SALU_CYCLE_1) | instskip(NEXT) | instid1(SALU_CYCLE_1)
	s_and_saveexec_b32 s21, s1
	s_xor_b32 s1, exec_lo, s21
	s_cbranch_execz .LBB117_118
; %bb.117:                              ;   in Loop: Header=BB117_114 Depth=1
	v_div_scale_f64 v[54:55], null, v[46:47], v[46:47], v[48:49]
	v_div_scale_f64 v[64:65], vcc_lo, v[48:49], v[46:47], v[48:49]
	s_delay_alu instid0(VALU_DEP_2) | instskip(SKIP_1) | instid1(TRANS32_DEP_1)
	v_rcp_f64_e32 v[56:57], v[54:55]
	v_nop
	v_fma_f64 v[62:63], -v[54:55], v[56:57], 1.0
	s_delay_alu instid0(VALU_DEP_1) | instskip(NEXT) | instid1(VALU_DEP_1)
	v_fmac_f64_e32 v[56:57], v[56:57], v[62:63]
	v_fma_f64 v[62:63], -v[54:55], v[56:57], 1.0
	s_delay_alu instid0(VALU_DEP_1) | instskip(NEXT) | instid1(VALU_DEP_1)
	v_fmac_f64_e32 v[56:57], v[56:57], v[62:63]
	v_mul_f64_e32 v[62:63], v[64:65], v[56:57]
	s_delay_alu instid0(VALU_DEP_1) | instskip(NEXT) | instid1(VALU_DEP_1)
	v_fma_f64 v[54:55], -v[54:55], v[62:63], v[64:65]
	v_div_fmas_f64 v[54:55], v[54:55], v[56:57], v[62:63]
	s_delay_alu instid0(VALU_DEP_1) | instskip(NEXT) | instid1(VALU_DEP_1)
	v_div_fixup_f64 v[54:55], v[54:55], v[46:47], v[48:49]
	v_fma_f64 v[56:57], v[48:49], v[54:55], v[46:47]
	s_delay_alu instid0(VALU_DEP_1) | instskip(SKIP_1) | instid1(VALU_DEP_2)
	v_div_scale_f64 v[62:63], null, v[56:57], v[56:57], 1.0
	v_div_scale_f64 v[68:69], vcc_lo, 1.0, v[56:57], 1.0
	v_rcp_f64_e32 v[64:65], v[62:63]
	v_nop
	s_delay_alu instid0(TRANS32_DEP_1) | instskip(NEXT) | instid1(VALU_DEP_1)
	v_fma_f64 v[66:67], -v[62:63], v[64:65], 1.0
	v_fmac_f64_e32 v[64:65], v[64:65], v[66:67]
	s_delay_alu instid0(VALU_DEP_1) | instskip(NEXT) | instid1(VALU_DEP_1)
	v_fma_f64 v[66:67], -v[62:63], v[64:65], 1.0
	v_fmac_f64_e32 v[64:65], v[64:65], v[66:67]
	s_delay_alu instid0(VALU_DEP_1) | instskip(NEXT) | instid1(VALU_DEP_1)
	v_mul_f64_e32 v[66:67], v[68:69], v[64:65]
	v_fma_f64 v[62:63], -v[62:63], v[66:67], v[68:69]
	s_delay_alu instid0(VALU_DEP_1) | instskip(SKIP_3) | instid1(VALU_DEP_3)
	v_div_fmas_f64 v[62:63], v[62:63], v[64:65], v[66:67]
	s_wait_loadcnt 0x2
	v_fma_f64 v[64:65], v[44:45], v[54:55], v[42:43]
	v_fma_f64 v[54:55], -v[42:43], v[54:55], v[44:45]
	v_div_fixup_f64 v[56:57], v[62:63], v[56:57], 1.0
	s_delay_alu instid0(VALU_DEP_1) | instskip(NEXT) | instid1(VALU_DEP_3)
	v_mul_f64_e32 v[62:63], v[64:65], v[56:57]
	v_mul_f64_e32 v[54:55], v[54:55], v[56:57]
.LBB117_118:                            ;   in Loop: Header=BB117_114 Depth=1
	s_and_not1_saveexec_b32 s21, s1
	s_cbranch_execz .LBB117_120
; %bb.119:                              ;   in Loop: Header=BB117_114 Depth=1
	s_wait_loadcnt 0x2
	v_div_scale_f64 v[54:55], null, v[58:59], v[58:59], v[42:43]
	v_div_scale_f64 v[56:57], null, v[60:61], v[60:61], v[44:45]
	v_div_scale_f64 v[70:71], vcc_lo, v[42:43], v[58:59], v[42:43]
	s_delay_alu instid0(VALU_DEP_3) | instskip(NEXT) | instid1(VALU_DEP_2)
	v_rcp_f64_e32 v[62:63], v[54:55]
	v_rcp_f64_e32 v[64:65], v[56:57]
	s_delay_alu instid0(TRANS32_DEP_2) | instskip(NEXT) | instid1(TRANS32_DEP_1)
	v_fma_f64 v[66:67], -v[54:55], v[62:63], 1.0
	v_fma_f64 v[68:69], -v[56:57], v[64:65], 1.0
	s_delay_alu instid0(VALU_DEP_2) | instskip(NEXT) | instid1(VALU_DEP_2)
	v_fmac_f64_e32 v[62:63], v[62:63], v[66:67]
	v_fmac_f64_e32 v[64:65], v[64:65], v[68:69]
	s_delay_alu instid0(VALU_DEP_2) | instskip(NEXT) | instid1(VALU_DEP_2)
	v_fma_f64 v[66:67], -v[54:55], v[62:63], 1.0
	v_fma_f64 v[68:69], -v[56:57], v[64:65], 1.0
	s_delay_alu instid0(VALU_DEP_2) | instskip(SKIP_1) | instid1(VALU_DEP_3)
	v_fmac_f64_e32 v[62:63], v[62:63], v[66:67]
	v_div_scale_f64 v[66:67], s1, v[44:45], v[60:61], v[44:45]
	v_fmac_f64_e32 v[64:65], v[64:65], v[68:69]
	s_delay_alu instid0(VALU_DEP_3) | instskip(NEXT) | instid1(VALU_DEP_2)
	v_mul_f64_e32 v[68:69], v[70:71], v[62:63]
	v_mul_f64_e32 v[72:73], v[66:67], v[64:65]
	s_delay_alu instid0(VALU_DEP_2) | instskip(NEXT) | instid1(VALU_DEP_2)
	v_fma_f64 v[54:55], -v[54:55], v[68:69], v[70:71]
	v_fma_f64 v[56:57], -v[56:57], v[72:73], v[66:67]
	s_delay_alu instid0(VALU_DEP_2) | instskip(SKIP_1) | instid1(VALU_DEP_2)
	v_div_fmas_f64 v[54:55], v[54:55], v[62:63], v[68:69]
	s_mov_b32 vcc_lo, s1
	v_div_fmas_f64 v[56:57], v[56:57], v[64:65], v[72:73]
	s_delay_alu instid0(VALU_DEP_2) | instskip(NEXT) | instid1(VALU_DEP_2)
	v_div_fixup_f64 v[62:63], v[54:55], v[58:59], v[42:43]
	v_div_fixup_f64 v[54:55], v[56:57], v[60:61], v[44:45]
.LBB117_120:                            ;   in Loop: Header=BB117_114 Depth=1
	s_or_b32 exec_lo, exec_lo, s21
.LBB117_121:                            ;   in Loop: Header=BB117_114 Depth=1
	s_and_not1_saveexec_b32 s1, s20
	s_cbranch_execz .LBB117_123
; %bb.122:                              ;   in Loop: Header=BB117_114 Depth=1
	v_div_scale_f64 v[54:55], null, v[48:49], v[48:49], v[46:47]
	v_div_scale_f64 v[64:65], vcc_lo, v[46:47], v[48:49], v[46:47]
	s_delay_alu instid0(VALU_DEP_2) | instskip(SKIP_1) | instid1(TRANS32_DEP_1)
	v_rcp_f64_e32 v[56:57], v[54:55]
	v_nop
	v_fma_f64 v[62:63], -v[54:55], v[56:57], 1.0
	s_delay_alu instid0(VALU_DEP_1) | instskip(NEXT) | instid1(VALU_DEP_1)
	v_fmac_f64_e32 v[56:57], v[56:57], v[62:63]
	v_fma_f64 v[62:63], -v[54:55], v[56:57], 1.0
	s_delay_alu instid0(VALU_DEP_1) | instskip(NEXT) | instid1(VALU_DEP_1)
	v_fmac_f64_e32 v[56:57], v[56:57], v[62:63]
	v_mul_f64_e32 v[62:63], v[64:65], v[56:57]
	s_delay_alu instid0(VALU_DEP_1) | instskip(NEXT) | instid1(VALU_DEP_1)
	v_fma_f64 v[54:55], -v[54:55], v[62:63], v[64:65]
	v_div_fmas_f64 v[54:55], v[54:55], v[56:57], v[62:63]
	s_delay_alu instid0(VALU_DEP_1) | instskip(NEXT) | instid1(VALU_DEP_1)
	v_div_fixup_f64 v[54:55], v[54:55], v[48:49], v[46:47]
	v_fma_f64 v[56:57], v[46:47], v[54:55], v[48:49]
	s_delay_alu instid0(VALU_DEP_1) | instskip(SKIP_1) | instid1(VALU_DEP_2)
	v_div_scale_f64 v[62:63], null, v[56:57], v[56:57], 1.0
	v_div_scale_f64 v[68:69], vcc_lo, 1.0, v[56:57], 1.0
	v_rcp_f64_e32 v[64:65], v[62:63]
	v_nop
	s_delay_alu instid0(TRANS32_DEP_1) | instskip(NEXT) | instid1(VALU_DEP_1)
	v_fma_f64 v[66:67], -v[62:63], v[64:65], 1.0
	v_fmac_f64_e32 v[64:65], v[64:65], v[66:67]
	s_delay_alu instid0(VALU_DEP_1) | instskip(NEXT) | instid1(VALU_DEP_1)
	v_fma_f64 v[66:67], -v[62:63], v[64:65], 1.0
	v_fmac_f64_e32 v[64:65], v[64:65], v[66:67]
	s_delay_alu instid0(VALU_DEP_1) | instskip(NEXT) | instid1(VALU_DEP_1)
	v_mul_f64_e32 v[66:67], v[68:69], v[64:65]
	v_fma_f64 v[62:63], -v[62:63], v[66:67], v[68:69]
	s_delay_alu instid0(VALU_DEP_1) | instskip(SKIP_3) | instid1(VALU_DEP_3)
	v_div_fmas_f64 v[62:63], v[62:63], v[64:65], v[66:67]
	s_wait_loadcnt 0x2
	v_fma_f64 v[64:65], v[42:43], v[54:55], v[44:45]
	v_fma_f64 v[54:55], v[44:45], v[54:55], -v[42:43]
	v_div_fixup_f64 v[56:57], v[62:63], v[56:57], 1.0
	s_delay_alu instid0(VALU_DEP_1) | instskip(NEXT) | instid1(VALU_DEP_3)
	v_mul_f64_e32 v[62:63], v[64:65], v[56:57]
	v_mul_f64_e32 v[54:55], v[54:55], v[56:57]
.LBB117_123:                            ;   in Loop: Header=BB117_114 Depth=1
	s_or_b32 exec_lo, exec_lo, s1
	s_delay_alu instid0(VALU_DEP_1) | instskip(SKIP_2) | instid1(VALU_DEP_2)
	v_mul_f64_e32 v[56:57], s[10:11], v[54:55]
	v_mul_f64_e32 v[54:55], s[8:9], v[54:55]
	s_mov_b32 s1, 0
	v_fma_f64 v[56:57], s[8:9], v[62:63], -v[56:57]
	s_delay_alu instid0(VALU_DEP_2)
	v_fmac_f64_e32 v[54:55], s[10:11], v[62:63]
.LBB117_124:                            ;   in Loop: Header=BB117_114 Depth=1
	s_and_b32 vcc_lo, exec_lo, s1
	s_cbranch_vccz .LBB117_134
; %bb.125:                              ;   in Loop: Header=BB117_114 Depth=1
                                        ; implicit-def: $vgpr54_vgpr55
                                        ; implicit-def: $vgpr56_vgpr57
	s_and_saveexec_b32 s1, s0
	s_delay_alu instid0(SALU_CYCLE_1)
	s_xor_b32 s1, exec_lo, s1
	s_cbranch_execz .LBB117_131
; %bb.126:                              ;   in Loop: Header=BB117_114 Depth=1
	v_cmp_neq_f64_e32 vcc_lo, 0, v[46:47]
	v_cmp_neq_f64_e64 s0, 0, v[48:49]
                                        ; implicit-def: $vgpr54_vgpr55
                                        ; implicit-def: $vgpr56_vgpr57
	s_or_b32 s0, vcc_lo, s0
	s_delay_alu instid0(SALU_CYCLE_1) | instskip(NEXT) | instid1(SALU_CYCLE_1)
	s_and_saveexec_b32 s20, s0
	s_xor_b32 s0, exec_lo, s20
	s_cbranch_execz .LBB117_128
; %bb.127:                              ;   in Loop: Header=BB117_114 Depth=1
	v_div_scale_f64 v[54:55], null, v[46:47], v[46:47], v[48:49]
	v_div_scale_f64 v[60:61], vcc_lo, v[48:49], v[46:47], v[48:49]
	s_delay_alu instid0(VALU_DEP_2) | instskip(SKIP_1) | instid1(TRANS32_DEP_1)
	v_rcp_f64_e32 v[56:57], v[54:55]
	v_nop
	v_fma_f64 v[58:59], -v[54:55], v[56:57], 1.0
	s_delay_alu instid0(VALU_DEP_1) | instskip(NEXT) | instid1(VALU_DEP_1)
	v_fmac_f64_e32 v[56:57], v[56:57], v[58:59]
	v_fma_f64 v[58:59], -v[54:55], v[56:57], 1.0
	s_delay_alu instid0(VALU_DEP_1) | instskip(NEXT) | instid1(VALU_DEP_1)
	v_fmac_f64_e32 v[56:57], v[56:57], v[58:59]
	v_mul_f64_e32 v[58:59], v[60:61], v[56:57]
	s_delay_alu instid0(VALU_DEP_1) | instskip(NEXT) | instid1(VALU_DEP_1)
	v_fma_f64 v[54:55], -v[54:55], v[58:59], v[60:61]
	v_div_fmas_f64 v[54:55], v[54:55], v[56:57], v[58:59]
	s_delay_alu instid0(VALU_DEP_1) | instskip(NEXT) | instid1(VALU_DEP_1)
	v_div_fixup_f64 v[54:55], v[54:55], v[46:47], v[48:49]
	v_fmac_f64_e32 v[46:47], v[48:49], v[54:55]
	s_delay_alu instid0(VALU_DEP_1) | instskip(SKIP_1) | instid1(VALU_DEP_2)
	v_div_scale_f64 v[48:49], null, v[46:47], v[46:47], 1.0
	v_div_scale_f64 v[60:61], vcc_lo, 1.0, v[46:47], 1.0
	v_rcp_f64_e32 v[56:57], v[48:49]
	v_nop
	s_delay_alu instid0(TRANS32_DEP_1) | instskip(NEXT) | instid1(VALU_DEP_1)
	v_fma_f64 v[58:59], -v[48:49], v[56:57], 1.0
	v_fmac_f64_e32 v[56:57], v[56:57], v[58:59]
	s_delay_alu instid0(VALU_DEP_1) | instskip(NEXT) | instid1(VALU_DEP_1)
	v_fma_f64 v[58:59], -v[48:49], v[56:57], 1.0
	v_fmac_f64_e32 v[56:57], v[56:57], v[58:59]
	s_delay_alu instid0(VALU_DEP_1) | instskip(NEXT) | instid1(VALU_DEP_1)
	v_mul_f64_e32 v[58:59], v[60:61], v[56:57]
	v_fma_f64 v[48:49], -v[48:49], v[58:59], v[60:61]
                                        ; implicit-def: $vgpr60_vgpr61
	s_delay_alu instid0(VALU_DEP_1) | instskip(SKIP_3) | instid1(VALU_DEP_3)
	v_div_fmas_f64 v[48:49], v[48:49], v[56:57], v[58:59]
	s_wait_loadcnt 0x2
	v_fma_f64 v[56:57], v[44:45], v[54:55], v[42:43]
	v_fma_f64 v[42:43], -v[42:43], v[54:55], v[44:45]
                                        ; implicit-def: $vgpr58_vgpr59
	v_div_fixup_f64 v[46:47], v[48:49], v[46:47], 1.0
	s_delay_alu instid0(VALU_DEP_1) | instskip(NEXT) | instid1(VALU_DEP_3)
	v_mul_f64_e32 v[56:57], v[56:57], v[46:47]
	v_mul_f64_e32 v[54:55], v[42:43], v[46:47]
                                        ; implicit-def: $vgpr42_vgpr43
.LBB117_128:                            ;   in Loop: Header=BB117_114 Depth=1
	s_and_not1_saveexec_b32 s20, s0
	s_cbranch_execz .LBB117_130
; %bb.129:                              ;   in Loop: Header=BB117_114 Depth=1
	s_wait_loadcnt 0x2
	v_div_scale_f64 v[46:47], null, v[58:59], v[58:59], v[42:43]
	v_div_scale_f64 v[48:49], null, v[60:61], v[60:61], v[44:45]
	v_div_scale_f64 v[66:67], vcc_lo, v[42:43], v[58:59], v[42:43]
	s_delay_alu instid0(VALU_DEP_3) | instskip(NEXT) | instid1(VALU_DEP_2)
	v_rcp_f64_e32 v[54:55], v[46:47]
	v_rcp_f64_e32 v[56:57], v[48:49]
	s_delay_alu instid0(TRANS32_DEP_2) | instskip(NEXT) | instid1(TRANS32_DEP_1)
	v_fma_f64 v[62:63], -v[46:47], v[54:55], 1.0
	v_fma_f64 v[64:65], -v[48:49], v[56:57], 1.0
	s_delay_alu instid0(VALU_DEP_2) | instskip(NEXT) | instid1(VALU_DEP_2)
	v_fmac_f64_e32 v[54:55], v[54:55], v[62:63]
	v_fmac_f64_e32 v[56:57], v[56:57], v[64:65]
	s_delay_alu instid0(VALU_DEP_2) | instskip(NEXT) | instid1(VALU_DEP_2)
	v_fma_f64 v[62:63], -v[46:47], v[54:55], 1.0
	v_fma_f64 v[64:65], -v[48:49], v[56:57], 1.0
	s_delay_alu instid0(VALU_DEP_2) | instskip(SKIP_1) | instid1(VALU_DEP_3)
	v_fmac_f64_e32 v[54:55], v[54:55], v[62:63]
	v_div_scale_f64 v[62:63], s0, v[44:45], v[60:61], v[44:45]
	v_fmac_f64_e32 v[56:57], v[56:57], v[64:65]
	s_delay_alu instid0(VALU_DEP_3) | instskip(NEXT) | instid1(VALU_DEP_2)
	v_mul_f64_e32 v[64:65], v[66:67], v[54:55]
	v_mul_f64_e32 v[68:69], v[62:63], v[56:57]
	s_delay_alu instid0(VALU_DEP_2) | instskip(NEXT) | instid1(VALU_DEP_2)
	v_fma_f64 v[46:47], -v[46:47], v[64:65], v[66:67]
	v_fma_f64 v[48:49], -v[48:49], v[68:69], v[62:63]
	s_delay_alu instid0(VALU_DEP_2) | instskip(SKIP_1) | instid1(VALU_DEP_2)
	v_div_fmas_f64 v[46:47], v[46:47], v[54:55], v[64:65]
	s_mov_b32 vcc_lo, s0
	v_div_fmas_f64 v[48:49], v[48:49], v[56:57], v[68:69]
	s_delay_alu instid0(VALU_DEP_2) | instskip(NEXT) | instid1(VALU_DEP_2)
	v_div_fixup_f64 v[56:57], v[46:47], v[58:59], v[42:43]
	v_div_fixup_f64 v[54:55], v[48:49], v[60:61], v[44:45]
.LBB117_130:                            ;   in Loop: Header=BB117_114 Depth=1
	s_or_b32 exec_lo, exec_lo, s20
                                        ; implicit-def: $vgpr48_vgpr49
                                        ; implicit-def: $vgpr42_vgpr43
.LBB117_131:                            ;   in Loop: Header=BB117_114 Depth=1
	s_and_not1_saveexec_b32 s0, s1
	s_cbranch_execz .LBB117_133
; %bb.132:                              ;   in Loop: Header=BB117_114 Depth=1
	v_div_scale_f64 v[54:55], null, v[48:49], v[48:49], v[46:47]
	v_div_scale_f64 v[60:61], vcc_lo, v[46:47], v[48:49], v[46:47]
	s_delay_alu instid0(VALU_DEP_2) | instskip(SKIP_1) | instid1(TRANS32_DEP_1)
	v_rcp_f64_e32 v[56:57], v[54:55]
	v_nop
	v_fma_f64 v[58:59], -v[54:55], v[56:57], 1.0
	s_delay_alu instid0(VALU_DEP_1) | instskip(NEXT) | instid1(VALU_DEP_1)
	v_fmac_f64_e32 v[56:57], v[56:57], v[58:59]
	v_fma_f64 v[58:59], -v[54:55], v[56:57], 1.0
	s_delay_alu instid0(VALU_DEP_1) | instskip(NEXT) | instid1(VALU_DEP_1)
	v_fmac_f64_e32 v[56:57], v[56:57], v[58:59]
	v_mul_f64_e32 v[58:59], v[60:61], v[56:57]
	s_delay_alu instid0(VALU_DEP_1) | instskip(NEXT) | instid1(VALU_DEP_1)
	v_fma_f64 v[54:55], -v[54:55], v[58:59], v[60:61]
	v_div_fmas_f64 v[54:55], v[54:55], v[56:57], v[58:59]
	s_delay_alu instid0(VALU_DEP_1) | instskip(NEXT) | instid1(VALU_DEP_1)
	v_div_fixup_f64 v[54:55], v[54:55], v[48:49], v[46:47]
	v_fmac_f64_e32 v[48:49], v[46:47], v[54:55]
	s_delay_alu instid0(VALU_DEP_1) | instskip(SKIP_1) | instid1(VALU_DEP_2)
	v_div_scale_f64 v[46:47], null, v[48:49], v[48:49], 1.0
	v_div_scale_f64 v[60:61], vcc_lo, 1.0, v[48:49], 1.0
	v_rcp_f64_e32 v[56:57], v[46:47]
	v_nop
	s_delay_alu instid0(TRANS32_DEP_1) | instskip(NEXT) | instid1(VALU_DEP_1)
	v_fma_f64 v[58:59], -v[46:47], v[56:57], 1.0
	v_fmac_f64_e32 v[56:57], v[56:57], v[58:59]
	s_delay_alu instid0(VALU_DEP_1) | instskip(NEXT) | instid1(VALU_DEP_1)
	v_fma_f64 v[58:59], -v[46:47], v[56:57], 1.0
	v_fmac_f64_e32 v[56:57], v[56:57], v[58:59]
	s_delay_alu instid0(VALU_DEP_1) | instskip(NEXT) | instid1(VALU_DEP_1)
	v_mul_f64_e32 v[58:59], v[60:61], v[56:57]
	v_fma_f64 v[46:47], -v[46:47], v[58:59], v[60:61]
	s_delay_alu instid0(VALU_DEP_1) | instskip(SKIP_3) | instid1(VALU_DEP_3)
	v_div_fmas_f64 v[46:47], v[46:47], v[56:57], v[58:59]
	s_wait_loadcnt 0x2
	v_fma_f64 v[56:57], v[42:43], v[54:55], v[44:45]
	v_fma_f64 v[42:43], v[44:45], v[54:55], -v[42:43]
	v_div_fixup_f64 v[46:47], v[46:47], v[48:49], 1.0
	s_delay_alu instid0(VALU_DEP_1) | instskip(NEXT) | instid1(VALU_DEP_3)
	v_mul_f64_e32 v[56:57], v[56:57], v[46:47]
	v_mul_f64_e32 v[54:55], v[42:43], v[46:47]
.LBB117_133:                            ;   in Loop: Header=BB117_114 Depth=1
	s_or_b32 exec_lo, exec_lo, s0
.LBB117_134:                            ;   in Loop: Header=BB117_114 Depth=1
	s_wait_loadcnt 0xa
	v_cmp_gt_f64_e32 vcc_lo, 0, v[38:39]
	s_wait_loadcnt 0x2
	v_xor_b32_e32 v42, 0x80000000, v39
	v_mov_b32_e32 v46, v38
	v_xor_b32_e32 v43, 0x80000000, v41
	s_mov_b32 s1, -1
                                        ; implicit-def: $vgpr44_vgpr45
	s_delay_alu instid0(VALU_DEP_3) | instskip(SKIP_1) | instid1(VALU_DEP_3)
	v_dual_mov_b32 v48, v40 :: v_dual_cndmask_b32 v47, v39, v42
	v_cmp_gt_f64_e32 vcc_lo, 0, v[40:41]
	v_cndmask_b32_e32 v49, v41, v43, vcc_lo
	s_and_not1_b32 vcc_lo, exec_lo, s6
                                        ; implicit-def: $vgpr42_vgpr43
	s_delay_alu instid0(VALU_DEP_1)
	v_cmp_ge_f64_e64 s0, v[46:47], v[48:49]
	s_cbranch_vccnz .LBB117_144
; %bb.135:                              ;   in Loop: Header=BB117_114 Depth=1
                                        ; implicit-def: $vgpr42_vgpr43
                                        ; implicit-def: $vgpr58_vgpr59
	s_and_saveexec_b32 s1, s0
	s_delay_alu instid0(SALU_CYCLE_1)
	s_xor_b32 s20, exec_lo, s1
	s_cbranch_execz .LBB117_141
; %bb.136:                              ;   in Loop: Header=BB117_114 Depth=1
	v_cmp_neq_f64_e32 vcc_lo, 0, v[38:39]
	v_cmp_neq_f64_e64 s1, 0, v[40:41]
                                        ; implicit-def: $vgpr42_vgpr43
                                        ; implicit-def: $vgpr58_vgpr59
	s_or_b32 s1, vcc_lo, s1
	s_delay_alu instid0(SALU_CYCLE_1) | instskip(NEXT) | instid1(SALU_CYCLE_1)
	s_and_saveexec_b32 s21, s1
	s_xor_b32 s1, exec_lo, s21
	s_cbranch_execz .LBB117_138
; %bb.137:                              ;   in Loop: Header=BB117_114 Depth=1
	v_div_scale_f64 v[42:43], null, v[38:39], v[38:39], v[40:41]
	v_div_scale_f64 v[60:61], vcc_lo, v[40:41], v[38:39], v[40:41]
	s_delay_alu instid0(VALU_DEP_2) | instskip(SKIP_1) | instid1(TRANS32_DEP_1)
	v_rcp_f64_e32 v[44:45], v[42:43]
	v_nop
	v_fma_f64 v[58:59], -v[42:43], v[44:45], 1.0
	s_delay_alu instid0(VALU_DEP_1) | instskip(NEXT) | instid1(VALU_DEP_1)
	v_fmac_f64_e32 v[44:45], v[44:45], v[58:59]
	v_fma_f64 v[58:59], -v[42:43], v[44:45], 1.0
	s_delay_alu instid0(VALU_DEP_1) | instskip(NEXT) | instid1(VALU_DEP_1)
	v_fmac_f64_e32 v[44:45], v[44:45], v[58:59]
	v_mul_f64_e32 v[58:59], v[60:61], v[44:45]
	s_delay_alu instid0(VALU_DEP_1) | instskip(NEXT) | instid1(VALU_DEP_1)
	v_fma_f64 v[42:43], -v[42:43], v[58:59], v[60:61]
	v_div_fmas_f64 v[42:43], v[42:43], v[44:45], v[58:59]
	s_delay_alu instid0(VALU_DEP_1) | instskip(NEXT) | instid1(VALU_DEP_1)
	v_div_fixup_f64 v[42:43], v[42:43], v[38:39], v[40:41]
	v_fma_f64 v[44:45], v[40:41], v[42:43], v[38:39]
	s_delay_alu instid0(VALU_DEP_1) | instskip(SKIP_1) | instid1(VALU_DEP_2)
	v_div_scale_f64 v[58:59], null, v[44:45], v[44:45], 1.0
	v_div_scale_f64 v[64:65], vcc_lo, 1.0, v[44:45], 1.0
	v_rcp_f64_e32 v[60:61], v[58:59]
	v_nop
	s_delay_alu instid0(TRANS32_DEP_1) | instskip(NEXT) | instid1(VALU_DEP_1)
	v_fma_f64 v[62:63], -v[58:59], v[60:61], 1.0
	v_fmac_f64_e32 v[60:61], v[60:61], v[62:63]
	s_delay_alu instid0(VALU_DEP_1) | instskip(NEXT) | instid1(VALU_DEP_1)
	v_fma_f64 v[62:63], -v[58:59], v[60:61], 1.0
	v_fmac_f64_e32 v[60:61], v[60:61], v[62:63]
	s_delay_alu instid0(VALU_DEP_1) | instskip(NEXT) | instid1(VALU_DEP_1)
	v_mul_f64_e32 v[62:63], v[64:65], v[60:61]
	v_fma_f64 v[58:59], -v[58:59], v[62:63], v[64:65]
	s_delay_alu instid0(VALU_DEP_1) | instskip(SKIP_2) | instid1(VALU_DEP_3)
	v_div_fmas_f64 v[58:59], v[58:59], v[60:61], v[62:63]
	v_fma_f64 v[60:61], v[36:37], v[42:43], v[34:35]
	v_fma_f64 v[42:43], -v[34:35], v[42:43], v[36:37]
	v_div_fixup_f64 v[44:45], v[58:59], v[44:45], 1.0
	s_delay_alu instid0(VALU_DEP_1) | instskip(NEXT) | instid1(VALU_DEP_3)
	v_mul_f64_e32 v[58:59], v[60:61], v[44:45]
	v_mul_f64_e32 v[42:43], v[42:43], v[44:45]
.LBB117_138:                            ;   in Loop: Header=BB117_114 Depth=1
	s_and_not1_saveexec_b32 s21, s1
	s_cbranch_execz .LBB117_140
; %bb.139:                              ;   in Loop: Header=BB117_114 Depth=1
	v_div_scale_f64 v[42:43], null, v[46:47], v[46:47], v[34:35]
	v_div_scale_f64 v[44:45], null, v[48:49], v[48:49], v[36:37]
	v_div_scale_f64 v[66:67], vcc_lo, v[34:35], v[46:47], v[34:35]
	s_delay_alu instid0(VALU_DEP_3) | instskip(NEXT) | instid1(VALU_DEP_2)
	v_rcp_f64_e32 v[58:59], v[42:43]
	v_rcp_f64_e32 v[60:61], v[44:45]
	s_delay_alu instid0(TRANS32_DEP_2) | instskip(NEXT) | instid1(TRANS32_DEP_1)
	v_fma_f64 v[62:63], -v[42:43], v[58:59], 1.0
	v_fma_f64 v[64:65], -v[44:45], v[60:61], 1.0
	s_delay_alu instid0(VALU_DEP_2) | instskip(NEXT) | instid1(VALU_DEP_2)
	v_fmac_f64_e32 v[58:59], v[58:59], v[62:63]
	v_fmac_f64_e32 v[60:61], v[60:61], v[64:65]
	s_delay_alu instid0(VALU_DEP_2) | instskip(NEXT) | instid1(VALU_DEP_2)
	v_fma_f64 v[62:63], -v[42:43], v[58:59], 1.0
	v_fma_f64 v[64:65], -v[44:45], v[60:61], 1.0
	s_delay_alu instid0(VALU_DEP_2) | instskip(SKIP_1) | instid1(VALU_DEP_3)
	v_fmac_f64_e32 v[58:59], v[58:59], v[62:63]
	v_div_scale_f64 v[62:63], s1, v[36:37], v[48:49], v[36:37]
	v_fmac_f64_e32 v[60:61], v[60:61], v[64:65]
	s_delay_alu instid0(VALU_DEP_3) | instskip(NEXT) | instid1(VALU_DEP_2)
	v_mul_f64_e32 v[64:65], v[66:67], v[58:59]
	v_mul_f64_e32 v[68:69], v[62:63], v[60:61]
	s_delay_alu instid0(VALU_DEP_2) | instskip(NEXT) | instid1(VALU_DEP_2)
	v_fma_f64 v[42:43], -v[42:43], v[64:65], v[66:67]
	v_fma_f64 v[44:45], -v[44:45], v[68:69], v[62:63]
	s_delay_alu instid0(VALU_DEP_2) | instskip(SKIP_1) | instid1(VALU_DEP_2)
	v_div_fmas_f64 v[42:43], v[42:43], v[58:59], v[64:65]
	s_mov_b32 vcc_lo, s1
	v_div_fmas_f64 v[44:45], v[44:45], v[60:61], v[68:69]
	s_delay_alu instid0(VALU_DEP_2) | instskip(NEXT) | instid1(VALU_DEP_2)
	v_div_fixup_f64 v[58:59], v[42:43], v[46:47], v[34:35]
	v_div_fixup_f64 v[42:43], v[44:45], v[48:49], v[36:37]
.LBB117_140:                            ;   in Loop: Header=BB117_114 Depth=1
	s_or_b32 exec_lo, exec_lo, s21
.LBB117_141:                            ;   in Loop: Header=BB117_114 Depth=1
	s_and_not1_saveexec_b32 s1, s20
	s_cbranch_execz .LBB117_143
; %bb.142:                              ;   in Loop: Header=BB117_114 Depth=1
	v_div_scale_f64 v[42:43], null, v[40:41], v[40:41], v[38:39]
	v_div_scale_f64 v[60:61], vcc_lo, v[38:39], v[40:41], v[38:39]
	s_delay_alu instid0(VALU_DEP_2) | instskip(SKIP_1) | instid1(TRANS32_DEP_1)
	v_rcp_f64_e32 v[44:45], v[42:43]
	v_nop
	v_fma_f64 v[58:59], -v[42:43], v[44:45], 1.0
	s_delay_alu instid0(VALU_DEP_1) | instskip(NEXT) | instid1(VALU_DEP_1)
	v_fmac_f64_e32 v[44:45], v[44:45], v[58:59]
	v_fma_f64 v[58:59], -v[42:43], v[44:45], 1.0
	s_delay_alu instid0(VALU_DEP_1) | instskip(NEXT) | instid1(VALU_DEP_1)
	v_fmac_f64_e32 v[44:45], v[44:45], v[58:59]
	v_mul_f64_e32 v[58:59], v[60:61], v[44:45]
	s_delay_alu instid0(VALU_DEP_1) | instskip(NEXT) | instid1(VALU_DEP_1)
	v_fma_f64 v[42:43], -v[42:43], v[58:59], v[60:61]
	v_div_fmas_f64 v[42:43], v[42:43], v[44:45], v[58:59]
	s_delay_alu instid0(VALU_DEP_1) | instskip(NEXT) | instid1(VALU_DEP_1)
	v_div_fixup_f64 v[42:43], v[42:43], v[40:41], v[38:39]
	v_fma_f64 v[44:45], v[38:39], v[42:43], v[40:41]
	s_delay_alu instid0(VALU_DEP_1) | instskip(SKIP_1) | instid1(VALU_DEP_2)
	v_div_scale_f64 v[58:59], null, v[44:45], v[44:45], 1.0
	v_div_scale_f64 v[64:65], vcc_lo, 1.0, v[44:45], 1.0
	v_rcp_f64_e32 v[60:61], v[58:59]
	v_nop
	s_delay_alu instid0(TRANS32_DEP_1) | instskip(NEXT) | instid1(VALU_DEP_1)
	v_fma_f64 v[62:63], -v[58:59], v[60:61], 1.0
	v_fmac_f64_e32 v[60:61], v[60:61], v[62:63]
	s_delay_alu instid0(VALU_DEP_1) | instskip(NEXT) | instid1(VALU_DEP_1)
	v_fma_f64 v[62:63], -v[58:59], v[60:61], 1.0
	v_fmac_f64_e32 v[60:61], v[60:61], v[62:63]
	s_delay_alu instid0(VALU_DEP_1) | instskip(NEXT) | instid1(VALU_DEP_1)
	v_mul_f64_e32 v[62:63], v[64:65], v[60:61]
	v_fma_f64 v[58:59], -v[58:59], v[62:63], v[64:65]
	s_delay_alu instid0(VALU_DEP_1) | instskip(SKIP_2) | instid1(VALU_DEP_3)
	v_div_fmas_f64 v[58:59], v[58:59], v[60:61], v[62:63]
	v_fma_f64 v[60:61], v[34:35], v[42:43], v[36:37]
	v_fma_f64 v[42:43], v[36:37], v[42:43], -v[34:35]
	v_div_fixup_f64 v[44:45], v[58:59], v[44:45], 1.0
	s_delay_alu instid0(VALU_DEP_1) | instskip(NEXT) | instid1(VALU_DEP_3)
	v_mul_f64_e32 v[58:59], v[60:61], v[44:45]
	v_mul_f64_e32 v[42:43], v[42:43], v[44:45]
.LBB117_143:                            ;   in Loop: Header=BB117_114 Depth=1
	s_or_b32 exec_lo, exec_lo, s1
	s_delay_alu instid0(VALU_DEP_1) | instskip(SKIP_2) | instid1(VALU_DEP_2)
	v_mul_f64_e32 v[60:61], s[10:11], v[42:43]
	v_mul_f64_e32 v[44:45], s[8:9], v[42:43]
	s_mov_b32 s1, 0
	v_fma_f64 v[42:43], s[8:9], v[58:59], -v[60:61]
	s_delay_alu instid0(VALU_DEP_2)
	v_fmac_f64_e32 v[44:45], s[10:11], v[58:59]
.LBB117_144:                            ;   in Loop: Header=BB117_114 Depth=1
	s_and_b32 vcc_lo, exec_lo, s1
	s_cbranch_vccz .LBB117_154
; %bb.145:                              ;   in Loop: Header=BB117_114 Depth=1
                                        ; implicit-def: $vgpr44_vgpr45
                                        ; implicit-def: $vgpr42_vgpr43
	s_and_saveexec_b32 s1, s0
	s_delay_alu instid0(SALU_CYCLE_1)
	s_xor_b32 s1, exec_lo, s1
	s_cbranch_execz .LBB117_151
; %bb.146:                              ;   in Loop: Header=BB117_114 Depth=1
	v_cmp_neq_f64_e32 vcc_lo, 0, v[38:39]
	v_cmp_neq_f64_e64 s0, 0, v[40:41]
                                        ; implicit-def: $vgpr44_vgpr45
                                        ; implicit-def: $vgpr42_vgpr43
	s_or_b32 s0, vcc_lo, s0
	s_delay_alu instid0(SALU_CYCLE_1) | instskip(NEXT) | instid1(SALU_CYCLE_1)
	s_and_saveexec_b32 s20, s0
	s_xor_b32 s0, exec_lo, s20
	s_cbranch_execz .LBB117_148
; %bb.147:                              ;   in Loop: Header=BB117_114 Depth=1
	v_div_scale_f64 v[42:43], null, v[38:39], v[38:39], v[40:41]
	v_div_scale_f64 v[48:49], vcc_lo, v[40:41], v[38:39], v[40:41]
	s_delay_alu instid0(VALU_DEP_2) | instskip(SKIP_1) | instid1(TRANS32_DEP_1)
	v_rcp_f64_e32 v[44:45], v[42:43]
	v_nop
	v_fma_f64 v[46:47], -v[42:43], v[44:45], 1.0
	s_delay_alu instid0(VALU_DEP_1) | instskip(NEXT) | instid1(VALU_DEP_1)
	v_fmac_f64_e32 v[44:45], v[44:45], v[46:47]
	v_fma_f64 v[46:47], -v[42:43], v[44:45], 1.0
	s_delay_alu instid0(VALU_DEP_1) | instskip(NEXT) | instid1(VALU_DEP_1)
	v_fmac_f64_e32 v[44:45], v[44:45], v[46:47]
	v_mul_f64_e32 v[46:47], v[48:49], v[44:45]
	s_delay_alu instid0(VALU_DEP_1) | instskip(NEXT) | instid1(VALU_DEP_1)
	v_fma_f64 v[42:43], -v[42:43], v[46:47], v[48:49]
	v_div_fmas_f64 v[42:43], v[42:43], v[44:45], v[46:47]
	s_delay_alu instid0(VALU_DEP_1) | instskip(NEXT) | instid1(VALU_DEP_1)
	v_div_fixup_f64 v[42:43], v[42:43], v[38:39], v[40:41]
	v_fmac_f64_e32 v[38:39], v[40:41], v[42:43]
	s_delay_alu instid0(VALU_DEP_1) | instskip(SKIP_1) | instid1(VALU_DEP_2)
	v_div_scale_f64 v[40:41], null, v[38:39], v[38:39], 1.0
	v_div_scale_f64 v[48:49], vcc_lo, 1.0, v[38:39], 1.0
	v_rcp_f64_e32 v[44:45], v[40:41]
	v_nop
	s_delay_alu instid0(TRANS32_DEP_1) | instskip(NEXT) | instid1(VALU_DEP_1)
	v_fma_f64 v[46:47], -v[40:41], v[44:45], 1.0
	v_fmac_f64_e32 v[44:45], v[44:45], v[46:47]
	s_delay_alu instid0(VALU_DEP_1) | instskip(NEXT) | instid1(VALU_DEP_1)
	v_fma_f64 v[46:47], -v[40:41], v[44:45], 1.0
	v_fmac_f64_e32 v[44:45], v[44:45], v[46:47]
	s_delay_alu instid0(VALU_DEP_1) | instskip(NEXT) | instid1(VALU_DEP_1)
	v_mul_f64_e32 v[46:47], v[48:49], v[44:45]
	v_fma_f64 v[40:41], -v[40:41], v[46:47], v[48:49]
                                        ; implicit-def: $vgpr48_vgpr49
	s_delay_alu instid0(VALU_DEP_1) | instskip(SKIP_2) | instid1(VALU_DEP_3)
	v_div_fmas_f64 v[40:41], v[40:41], v[44:45], v[46:47]
	v_fma_f64 v[44:45], v[36:37], v[42:43], v[34:35]
	v_fma_f64 v[34:35], -v[34:35], v[42:43], v[36:37]
                                        ; implicit-def: $vgpr46_vgpr47
	v_div_fixup_f64 v[38:39], v[40:41], v[38:39], 1.0
	s_delay_alu instid0(VALU_DEP_1) | instskip(NEXT) | instid1(VALU_DEP_3)
	v_mul_f64_e32 v[42:43], v[44:45], v[38:39]
	v_mul_f64_e32 v[44:45], v[34:35], v[38:39]
                                        ; implicit-def: $vgpr34_vgpr35
.LBB117_148:                            ;   in Loop: Header=BB117_114 Depth=1
	s_and_not1_saveexec_b32 s20, s0
	s_cbranch_execz .LBB117_150
; %bb.149:                              ;   in Loop: Header=BB117_114 Depth=1
	v_div_scale_f64 v[38:39], null, v[46:47], v[46:47], v[34:35]
	v_div_scale_f64 v[40:41], null, v[48:49], v[48:49], v[36:37]
	v_div_scale_f64 v[62:63], vcc_lo, v[34:35], v[46:47], v[34:35]
	s_delay_alu instid0(VALU_DEP_3) | instskip(NEXT) | instid1(VALU_DEP_2)
	v_rcp_f64_e32 v[42:43], v[38:39]
	v_rcp_f64_e32 v[44:45], v[40:41]
	s_delay_alu instid0(TRANS32_DEP_2) | instskip(NEXT) | instid1(TRANS32_DEP_1)
	v_fma_f64 v[58:59], -v[38:39], v[42:43], 1.0
	v_fma_f64 v[60:61], -v[40:41], v[44:45], 1.0
	s_delay_alu instid0(VALU_DEP_2) | instskip(NEXT) | instid1(VALU_DEP_2)
	v_fmac_f64_e32 v[42:43], v[42:43], v[58:59]
	v_fmac_f64_e32 v[44:45], v[44:45], v[60:61]
	s_delay_alu instid0(VALU_DEP_2) | instskip(NEXT) | instid1(VALU_DEP_2)
	v_fma_f64 v[58:59], -v[38:39], v[42:43], 1.0
	v_fma_f64 v[60:61], -v[40:41], v[44:45], 1.0
	s_delay_alu instid0(VALU_DEP_2) | instskip(SKIP_1) | instid1(VALU_DEP_3)
	v_fmac_f64_e32 v[42:43], v[42:43], v[58:59]
	v_div_scale_f64 v[58:59], s0, v[36:37], v[48:49], v[36:37]
	v_fmac_f64_e32 v[44:45], v[44:45], v[60:61]
	s_delay_alu instid0(VALU_DEP_3) | instskip(NEXT) | instid1(VALU_DEP_2)
	v_mul_f64_e32 v[60:61], v[62:63], v[42:43]
	v_mul_f64_e32 v[64:65], v[58:59], v[44:45]
	s_delay_alu instid0(VALU_DEP_2) | instskip(NEXT) | instid1(VALU_DEP_2)
	v_fma_f64 v[38:39], -v[38:39], v[60:61], v[62:63]
	v_fma_f64 v[40:41], -v[40:41], v[64:65], v[58:59]
	s_delay_alu instid0(VALU_DEP_2) | instskip(SKIP_1) | instid1(VALU_DEP_2)
	v_div_fmas_f64 v[38:39], v[38:39], v[42:43], v[60:61]
	s_mov_b32 vcc_lo, s0
	v_div_fmas_f64 v[40:41], v[40:41], v[44:45], v[64:65]
	s_delay_alu instid0(VALU_DEP_2) | instskip(NEXT) | instid1(VALU_DEP_2)
	v_div_fixup_f64 v[42:43], v[38:39], v[46:47], v[34:35]
	v_div_fixup_f64 v[44:45], v[40:41], v[48:49], v[36:37]
.LBB117_150:                            ;   in Loop: Header=BB117_114 Depth=1
	s_or_b32 exec_lo, exec_lo, s20
                                        ; implicit-def: $vgpr40_vgpr41
                                        ; implicit-def: $vgpr34_vgpr35
.LBB117_151:                            ;   in Loop: Header=BB117_114 Depth=1
	s_and_not1_saveexec_b32 s0, s1
	s_cbranch_execz .LBB117_153
; %bb.152:                              ;   in Loop: Header=BB117_114 Depth=1
	v_div_scale_f64 v[42:43], null, v[40:41], v[40:41], v[38:39]
	v_div_scale_f64 v[48:49], vcc_lo, v[38:39], v[40:41], v[38:39]
	s_delay_alu instid0(VALU_DEP_2) | instskip(SKIP_1) | instid1(TRANS32_DEP_1)
	v_rcp_f64_e32 v[44:45], v[42:43]
	v_nop
	v_fma_f64 v[46:47], -v[42:43], v[44:45], 1.0
	s_delay_alu instid0(VALU_DEP_1) | instskip(NEXT) | instid1(VALU_DEP_1)
	v_fmac_f64_e32 v[44:45], v[44:45], v[46:47]
	v_fma_f64 v[46:47], -v[42:43], v[44:45], 1.0
	s_delay_alu instid0(VALU_DEP_1) | instskip(NEXT) | instid1(VALU_DEP_1)
	v_fmac_f64_e32 v[44:45], v[44:45], v[46:47]
	v_mul_f64_e32 v[46:47], v[48:49], v[44:45]
	s_delay_alu instid0(VALU_DEP_1) | instskip(NEXT) | instid1(VALU_DEP_1)
	v_fma_f64 v[42:43], -v[42:43], v[46:47], v[48:49]
	v_div_fmas_f64 v[42:43], v[42:43], v[44:45], v[46:47]
	s_delay_alu instid0(VALU_DEP_1) | instskip(NEXT) | instid1(VALU_DEP_1)
	v_div_fixup_f64 v[42:43], v[42:43], v[40:41], v[38:39]
	v_fmac_f64_e32 v[40:41], v[38:39], v[42:43]
	s_delay_alu instid0(VALU_DEP_1) | instskip(SKIP_1) | instid1(VALU_DEP_2)
	v_div_scale_f64 v[38:39], null, v[40:41], v[40:41], 1.0
	v_div_scale_f64 v[48:49], vcc_lo, 1.0, v[40:41], 1.0
	v_rcp_f64_e32 v[44:45], v[38:39]
	v_nop
	s_delay_alu instid0(TRANS32_DEP_1) | instskip(NEXT) | instid1(VALU_DEP_1)
	v_fma_f64 v[46:47], -v[38:39], v[44:45], 1.0
	v_fmac_f64_e32 v[44:45], v[44:45], v[46:47]
	s_delay_alu instid0(VALU_DEP_1) | instskip(NEXT) | instid1(VALU_DEP_1)
	v_fma_f64 v[46:47], -v[38:39], v[44:45], 1.0
	v_fmac_f64_e32 v[44:45], v[44:45], v[46:47]
	s_delay_alu instid0(VALU_DEP_1) | instskip(NEXT) | instid1(VALU_DEP_1)
	v_mul_f64_e32 v[46:47], v[48:49], v[44:45]
	v_fma_f64 v[38:39], -v[38:39], v[46:47], v[48:49]
	s_delay_alu instid0(VALU_DEP_1) | instskip(SKIP_2) | instid1(VALU_DEP_3)
	v_div_fmas_f64 v[38:39], v[38:39], v[44:45], v[46:47]
	v_fma_f64 v[44:45], v[34:35], v[42:43], v[36:37]
	v_fma_f64 v[34:35], v[36:37], v[42:43], -v[34:35]
	v_div_fixup_f64 v[38:39], v[38:39], v[40:41], 1.0
	s_delay_alu instid0(VALU_DEP_1) | instskip(NEXT) | instid1(VALU_DEP_3)
	v_mul_f64_e32 v[42:43], v[44:45], v[38:39]
	v_mul_f64_e32 v[44:45], v[34:35], v[38:39]
.LBB117_153:                            ;   in Loop: Header=BB117_114 Depth=1
	s_or_b32 exec_lo, exec_lo, s0
.LBB117_154:                            ;   in Loop: Header=BB117_114 Depth=1
	s_wait_loadcnt 0x0
	v_cmp_gt_f64_e32 vcc_lo, 0, v[30:31]
	v_xor_b32_e32 v34, 0x80000000, v31
	v_mov_b32_e32 v38, v30
	v_xor_b32_e32 v35, 0x80000000, v33
	s_mov_b32 s1, -1
                                        ; implicit-def: $vgpr36_vgpr37
	s_delay_alu instid0(VALU_DEP_3) | instskip(SKIP_1) | instid1(VALU_DEP_3)
	v_dual_mov_b32 v40, v32 :: v_dual_cndmask_b32 v39, v31, v34
	v_cmp_gt_f64_e32 vcc_lo, 0, v[32:33]
	v_cndmask_b32_e32 v41, v33, v35, vcc_lo
	s_and_not1_b32 vcc_lo, exec_lo, s6
                                        ; implicit-def: $vgpr34_vgpr35
	s_delay_alu instid0(VALU_DEP_1)
	v_cmp_ge_f64_e64 s0, v[38:39], v[40:41]
	s_cbranch_vccnz .LBB117_164
; %bb.155:                              ;   in Loop: Header=BB117_114 Depth=1
                                        ; implicit-def: $vgpr34_vgpr35
                                        ; implicit-def: $vgpr46_vgpr47
	s_and_saveexec_b32 s1, s0
	s_delay_alu instid0(SALU_CYCLE_1)
	s_xor_b32 s20, exec_lo, s1
	s_cbranch_execz .LBB117_161
; %bb.156:                              ;   in Loop: Header=BB117_114 Depth=1
	v_cmp_neq_f64_e32 vcc_lo, 0, v[30:31]
	v_cmp_neq_f64_e64 s1, 0, v[32:33]
                                        ; implicit-def: $vgpr34_vgpr35
                                        ; implicit-def: $vgpr46_vgpr47
	s_or_b32 s1, vcc_lo, s1
	s_delay_alu instid0(SALU_CYCLE_1) | instskip(NEXT) | instid1(SALU_CYCLE_1)
	s_and_saveexec_b32 s21, s1
	s_xor_b32 s1, exec_lo, s21
	s_cbranch_execz .LBB117_158
; %bb.157:                              ;   in Loop: Header=BB117_114 Depth=1
	v_div_scale_f64 v[34:35], null, v[30:31], v[30:31], v[32:33]
	v_div_scale_f64 v[48:49], vcc_lo, v[32:33], v[30:31], v[32:33]
	s_delay_alu instid0(VALU_DEP_2) | instskip(SKIP_1) | instid1(TRANS32_DEP_1)
	v_rcp_f64_e32 v[36:37], v[34:35]
	v_nop
	v_fma_f64 v[46:47], -v[34:35], v[36:37], 1.0
	s_delay_alu instid0(VALU_DEP_1) | instskip(NEXT) | instid1(VALU_DEP_1)
	v_fmac_f64_e32 v[36:37], v[36:37], v[46:47]
	v_fma_f64 v[46:47], -v[34:35], v[36:37], 1.0
	s_delay_alu instid0(VALU_DEP_1) | instskip(NEXT) | instid1(VALU_DEP_1)
	v_fmac_f64_e32 v[36:37], v[36:37], v[46:47]
	v_mul_f64_e32 v[46:47], v[48:49], v[36:37]
	s_delay_alu instid0(VALU_DEP_1) | instskip(NEXT) | instid1(VALU_DEP_1)
	v_fma_f64 v[34:35], -v[34:35], v[46:47], v[48:49]
	v_div_fmas_f64 v[34:35], v[34:35], v[36:37], v[46:47]
	s_delay_alu instid0(VALU_DEP_1) | instskip(NEXT) | instid1(VALU_DEP_1)
	v_div_fixup_f64 v[34:35], v[34:35], v[30:31], v[32:33]
	v_fma_f64 v[36:37], v[32:33], v[34:35], v[30:31]
	s_delay_alu instid0(VALU_DEP_1) | instskip(SKIP_1) | instid1(VALU_DEP_2)
	v_div_scale_f64 v[46:47], null, v[36:37], v[36:37], 1.0
	v_div_scale_f64 v[60:61], vcc_lo, 1.0, v[36:37], 1.0
	v_rcp_f64_e32 v[48:49], v[46:47]
	v_nop
	s_delay_alu instid0(TRANS32_DEP_1) | instskip(NEXT) | instid1(VALU_DEP_1)
	v_fma_f64 v[58:59], -v[46:47], v[48:49], 1.0
	v_fmac_f64_e32 v[48:49], v[48:49], v[58:59]
	s_delay_alu instid0(VALU_DEP_1) | instskip(NEXT) | instid1(VALU_DEP_1)
	v_fma_f64 v[58:59], -v[46:47], v[48:49], 1.0
	v_fmac_f64_e32 v[48:49], v[48:49], v[58:59]
	s_delay_alu instid0(VALU_DEP_1) | instskip(NEXT) | instid1(VALU_DEP_1)
	v_mul_f64_e32 v[58:59], v[60:61], v[48:49]
	v_fma_f64 v[46:47], -v[46:47], v[58:59], v[60:61]
	s_delay_alu instid0(VALU_DEP_1) | instskip(SKIP_2) | instid1(VALU_DEP_3)
	v_div_fmas_f64 v[46:47], v[46:47], v[48:49], v[58:59]
	v_fma_f64 v[48:49], v[28:29], v[34:35], v[26:27]
	v_fma_f64 v[34:35], -v[26:27], v[34:35], v[28:29]
	v_div_fixup_f64 v[36:37], v[46:47], v[36:37], 1.0
	s_delay_alu instid0(VALU_DEP_1) | instskip(NEXT) | instid1(VALU_DEP_3)
	v_mul_f64_e32 v[46:47], v[48:49], v[36:37]
	v_mul_f64_e32 v[34:35], v[34:35], v[36:37]
.LBB117_158:                            ;   in Loop: Header=BB117_114 Depth=1
	s_and_not1_saveexec_b32 s21, s1
	s_cbranch_execz .LBB117_160
; %bb.159:                              ;   in Loop: Header=BB117_114 Depth=1
	v_div_scale_f64 v[34:35], null, v[38:39], v[38:39], v[26:27]
	v_div_scale_f64 v[36:37], null, v[40:41], v[40:41], v[28:29]
	v_div_scale_f64 v[62:63], vcc_lo, v[26:27], v[38:39], v[26:27]
	s_delay_alu instid0(VALU_DEP_3) | instskip(NEXT) | instid1(VALU_DEP_2)
	v_rcp_f64_e32 v[46:47], v[34:35]
	v_rcp_f64_e32 v[48:49], v[36:37]
	s_delay_alu instid0(TRANS32_DEP_2) | instskip(NEXT) | instid1(TRANS32_DEP_1)
	v_fma_f64 v[58:59], -v[34:35], v[46:47], 1.0
	v_fma_f64 v[60:61], -v[36:37], v[48:49], 1.0
	s_delay_alu instid0(VALU_DEP_2) | instskip(NEXT) | instid1(VALU_DEP_2)
	v_fmac_f64_e32 v[46:47], v[46:47], v[58:59]
	v_fmac_f64_e32 v[48:49], v[48:49], v[60:61]
	s_delay_alu instid0(VALU_DEP_2) | instskip(NEXT) | instid1(VALU_DEP_2)
	v_fma_f64 v[58:59], -v[34:35], v[46:47], 1.0
	v_fma_f64 v[60:61], -v[36:37], v[48:49], 1.0
	s_delay_alu instid0(VALU_DEP_2) | instskip(SKIP_1) | instid1(VALU_DEP_3)
	v_fmac_f64_e32 v[46:47], v[46:47], v[58:59]
	v_div_scale_f64 v[58:59], s1, v[28:29], v[40:41], v[28:29]
	v_fmac_f64_e32 v[48:49], v[48:49], v[60:61]
	s_delay_alu instid0(VALU_DEP_3) | instskip(NEXT) | instid1(VALU_DEP_2)
	v_mul_f64_e32 v[60:61], v[62:63], v[46:47]
	v_mul_f64_e32 v[64:65], v[58:59], v[48:49]
	s_delay_alu instid0(VALU_DEP_2) | instskip(NEXT) | instid1(VALU_DEP_2)
	v_fma_f64 v[34:35], -v[34:35], v[60:61], v[62:63]
	v_fma_f64 v[36:37], -v[36:37], v[64:65], v[58:59]
	s_delay_alu instid0(VALU_DEP_2) | instskip(SKIP_1) | instid1(VALU_DEP_2)
	v_div_fmas_f64 v[34:35], v[34:35], v[46:47], v[60:61]
	s_mov_b32 vcc_lo, s1
	v_div_fmas_f64 v[36:37], v[36:37], v[48:49], v[64:65]
	s_delay_alu instid0(VALU_DEP_2) | instskip(NEXT) | instid1(VALU_DEP_2)
	v_div_fixup_f64 v[46:47], v[34:35], v[38:39], v[26:27]
	v_div_fixup_f64 v[34:35], v[36:37], v[40:41], v[28:29]
.LBB117_160:                            ;   in Loop: Header=BB117_114 Depth=1
	s_or_b32 exec_lo, exec_lo, s21
.LBB117_161:                            ;   in Loop: Header=BB117_114 Depth=1
	s_and_not1_saveexec_b32 s1, s20
	s_cbranch_execz .LBB117_163
; %bb.162:                              ;   in Loop: Header=BB117_114 Depth=1
	v_div_scale_f64 v[34:35], null, v[32:33], v[32:33], v[30:31]
	v_div_scale_f64 v[48:49], vcc_lo, v[30:31], v[32:33], v[30:31]
	s_delay_alu instid0(VALU_DEP_2) | instskip(SKIP_1) | instid1(TRANS32_DEP_1)
	v_rcp_f64_e32 v[36:37], v[34:35]
	v_nop
	v_fma_f64 v[46:47], -v[34:35], v[36:37], 1.0
	s_delay_alu instid0(VALU_DEP_1) | instskip(NEXT) | instid1(VALU_DEP_1)
	v_fmac_f64_e32 v[36:37], v[36:37], v[46:47]
	v_fma_f64 v[46:47], -v[34:35], v[36:37], 1.0
	s_delay_alu instid0(VALU_DEP_1) | instskip(NEXT) | instid1(VALU_DEP_1)
	v_fmac_f64_e32 v[36:37], v[36:37], v[46:47]
	v_mul_f64_e32 v[46:47], v[48:49], v[36:37]
	s_delay_alu instid0(VALU_DEP_1) | instskip(NEXT) | instid1(VALU_DEP_1)
	v_fma_f64 v[34:35], -v[34:35], v[46:47], v[48:49]
	v_div_fmas_f64 v[34:35], v[34:35], v[36:37], v[46:47]
	s_delay_alu instid0(VALU_DEP_1) | instskip(NEXT) | instid1(VALU_DEP_1)
	v_div_fixup_f64 v[34:35], v[34:35], v[32:33], v[30:31]
	v_fma_f64 v[36:37], v[30:31], v[34:35], v[32:33]
	s_delay_alu instid0(VALU_DEP_1) | instskip(SKIP_1) | instid1(VALU_DEP_2)
	v_div_scale_f64 v[46:47], null, v[36:37], v[36:37], 1.0
	v_div_scale_f64 v[60:61], vcc_lo, 1.0, v[36:37], 1.0
	v_rcp_f64_e32 v[48:49], v[46:47]
	v_nop
	s_delay_alu instid0(TRANS32_DEP_1) | instskip(NEXT) | instid1(VALU_DEP_1)
	v_fma_f64 v[58:59], -v[46:47], v[48:49], 1.0
	v_fmac_f64_e32 v[48:49], v[48:49], v[58:59]
	s_delay_alu instid0(VALU_DEP_1) | instskip(NEXT) | instid1(VALU_DEP_1)
	v_fma_f64 v[58:59], -v[46:47], v[48:49], 1.0
	v_fmac_f64_e32 v[48:49], v[48:49], v[58:59]
	s_delay_alu instid0(VALU_DEP_1) | instskip(NEXT) | instid1(VALU_DEP_1)
	v_mul_f64_e32 v[58:59], v[60:61], v[48:49]
	v_fma_f64 v[46:47], -v[46:47], v[58:59], v[60:61]
	s_delay_alu instid0(VALU_DEP_1) | instskip(SKIP_2) | instid1(VALU_DEP_3)
	v_div_fmas_f64 v[46:47], v[46:47], v[48:49], v[58:59]
	v_fma_f64 v[48:49], v[26:27], v[34:35], v[28:29]
	v_fma_f64 v[34:35], v[28:29], v[34:35], -v[26:27]
	v_div_fixup_f64 v[36:37], v[46:47], v[36:37], 1.0
	s_delay_alu instid0(VALU_DEP_1) | instskip(NEXT) | instid1(VALU_DEP_3)
	v_mul_f64_e32 v[46:47], v[48:49], v[36:37]
	v_mul_f64_e32 v[34:35], v[34:35], v[36:37]
.LBB117_163:                            ;   in Loop: Header=BB117_114 Depth=1
	s_or_b32 exec_lo, exec_lo, s1
	s_delay_alu instid0(VALU_DEP_1) | instskip(SKIP_2) | instid1(VALU_DEP_2)
	v_mul_f64_e32 v[36:37], s[10:11], v[34:35]
	v_mul_f64_e32 v[34:35], s[8:9], v[34:35]
	s_mov_b32 s1, 0
	v_fma_f64 v[36:37], s[8:9], v[46:47], -v[36:37]
	s_delay_alu instid0(VALU_DEP_2)
	v_fmac_f64_e32 v[34:35], s[10:11], v[46:47]
.LBB117_164:                            ;   in Loop: Header=BB117_114 Depth=1
	s_and_b32 vcc_lo, exec_lo, s1
	s_cbranch_vccz .LBB117_174
; %bb.165:                              ;   in Loop: Header=BB117_114 Depth=1
                                        ; implicit-def: $vgpr34_vgpr35
                                        ; implicit-def: $vgpr36_vgpr37
	s_and_saveexec_b32 s1, s0
	s_delay_alu instid0(SALU_CYCLE_1)
	s_xor_b32 s1, exec_lo, s1
	s_cbranch_execz .LBB117_171
; %bb.166:                              ;   in Loop: Header=BB117_114 Depth=1
	v_cmp_neq_f64_e32 vcc_lo, 0, v[30:31]
	v_cmp_neq_f64_e64 s0, 0, v[32:33]
                                        ; implicit-def: $vgpr34_vgpr35
                                        ; implicit-def: $vgpr36_vgpr37
	s_or_b32 s0, vcc_lo, s0
	s_delay_alu instid0(SALU_CYCLE_1) | instskip(NEXT) | instid1(SALU_CYCLE_1)
	s_and_saveexec_b32 s20, s0
	s_xor_b32 s0, exec_lo, s20
	s_cbranch_execz .LBB117_168
; %bb.167:                              ;   in Loop: Header=BB117_114 Depth=1
	v_div_scale_f64 v[34:35], null, v[30:31], v[30:31], v[32:33]
	v_div_scale_f64 v[40:41], vcc_lo, v[32:33], v[30:31], v[32:33]
	s_delay_alu instid0(VALU_DEP_2) | instskip(SKIP_1) | instid1(TRANS32_DEP_1)
	v_rcp_f64_e32 v[36:37], v[34:35]
	v_nop
	v_fma_f64 v[38:39], -v[34:35], v[36:37], 1.0
	s_delay_alu instid0(VALU_DEP_1) | instskip(NEXT) | instid1(VALU_DEP_1)
	v_fmac_f64_e32 v[36:37], v[36:37], v[38:39]
	v_fma_f64 v[38:39], -v[34:35], v[36:37], 1.0
	s_delay_alu instid0(VALU_DEP_1) | instskip(NEXT) | instid1(VALU_DEP_1)
	v_fmac_f64_e32 v[36:37], v[36:37], v[38:39]
	v_mul_f64_e32 v[38:39], v[40:41], v[36:37]
	s_delay_alu instid0(VALU_DEP_1) | instskip(NEXT) | instid1(VALU_DEP_1)
	v_fma_f64 v[34:35], -v[34:35], v[38:39], v[40:41]
	v_div_fmas_f64 v[34:35], v[34:35], v[36:37], v[38:39]
	s_delay_alu instid0(VALU_DEP_1) | instskip(NEXT) | instid1(VALU_DEP_1)
	v_div_fixup_f64 v[34:35], v[34:35], v[30:31], v[32:33]
	v_fmac_f64_e32 v[30:31], v[32:33], v[34:35]
	s_delay_alu instid0(VALU_DEP_1) | instskip(SKIP_1) | instid1(VALU_DEP_2)
	v_div_scale_f64 v[32:33], null, v[30:31], v[30:31], 1.0
	v_div_scale_f64 v[40:41], vcc_lo, 1.0, v[30:31], 1.0
	v_rcp_f64_e32 v[36:37], v[32:33]
	v_nop
	s_delay_alu instid0(TRANS32_DEP_1) | instskip(NEXT) | instid1(VALU_DEP_1)
	v_fma_f64 v[38:39], -v[32:33], v[36:37], 1.0
	v_fmac_f64_e32 v[36:37], v[36:37], v[38:39]
	s_delay_alu instid0(VALU_DEP_1) | instskip(NEXT) | instid1(VALU_DEP_1)
	v_fma_f64 v[38:39], -v[32:33], v[36:37], 1.0
	v_fmac_f64_e32 v[36:37], v[36:37], v[38:39]
	s_delay_alu instid0(VALU_DEP_1) | instskip(NEXT) | instid1(VALU_DEP_1)
	v_mul_f64_e32 v[38:39], v[40:41], v[36:37]
	v_fma_f64 v[32:33], -v[32:33], v[38:39], v[40:41]
                                        ; implicit-def: $vgpr40_vgpr41
	s_delay_alu instid0(VALU_DEP_1) | instskip(SKIP_2) | instid1(VALU_DEP_3)
	v_div_fmas_f64 v[32:33], v[32:33], v[36:37], v[38:39]
	v_fma_f64 v[36:37], v[28:29], v[34:35], v[26:27]
	v_fma_f64 v[26:27], -v[26:27], v[34:35], v[28:29]
                                        ; implicit-def: $vgpr38_vgpr39
	v_div_fixup_f64 v[30:31], v[32:33], v[30:31], 1.0
	s_delay_alu instid0(VALU_DEP_1) | instskip(NEXT) | instid1(VALU_DEP_3)
	v_mul_f64_e32 v[36:37], v[36:37], v[30:31]
	v_mul_f64_e32 v[34:35], v[26:27], v[30:31]
                                        ; implicit-def: $vgpr26_vgpr27
.LBB117_168:                            ;   in Loop: Header=BB117_114 Depth=1
	s_and_not1_saveexec_b32 s20, s0
	s_cbranch_execz .LBB117_170
; %bb.169:                              ;   in Loop: Header=BB117_114 Depth=1
	v_div_scale_f64 v[30:31], null, v[38:39], v[38:39], v[26:27]
	v_div_scale_f64 v[32:33], null, v[40:41], v[40:41], v[28:29]
	v_div_scale_f64 v[58:59], vcc_lo, v[26:27], v[38:39], v[26:27]
	s_delay_alu instid0(VALU_DEP_3) | instskip(NEXT) | instid1(VALU_DEP_2)
	v_rcp_f64_e32 v[34:35], v[30:31]
	v_rcp_f64_e32 v[36:37], v[32:33]
	s_delay_alu instid0(TRANS32_DEP_2) | instskip(NEXT) | instid1(TRANS32_DEP_1)
	v_fma_f64 v[46:47], -v[30:31], v[34:35], 1.0
	v_fma_f64 v[48:49], -v[32:33], v[36:37], 1.0
	s_delay_alu instid0(VALU_DEP_2) | instskip(NEXT) | instid1(VALU_DEP_2)
	v_fmac_f64_e32 v[34:35], v[34:35], v[46:47]
	v_fmac_f64_e32 v[36:37], v[36:37], v[48:49]
	s_delay_alu instid0(VALU_DEP_2) | instskip(NEXT) | instid1(VALU_DEP_2)
	v_fma_f64 v[46:47], -v[30:31], v[34:35], 1.0
	v_fma_f64 v[48:49], -v[32:33], v[36:37], 1.0
	s_delay_alu instid0(VALU_DEP_2) | instskip(SKIP_1) | instid1(VALU_DEP_3)
	v_fmac_f64_e32 v[34:35], v[34:35], v[46:47]
	v_div_scale_f64 v[46:47], s0, v[28:29], v[40:41], v[28:29]
	v_fmac_f64_e32 v[36:37], v[36:37], v[48:49]
	s_delay_alu instid0(VALU_DEP_3) | instskip(NEXT) | instid1(VALU_DEP_2)
	v_mul_f64_e32 v[48:49], v[58:59], v[34:35]
	v_mul_f64_e32 v[60:61], v[46:47], v[36:37]
	s_delay_alu instid0(VALU_DEP_2) | instskip(NEXT) | instid1(VALU_DEP_2)
	v_fma_f64 v[30:31], -v[30:31], v[48:49], v[58:59]
	v_fma_f64 v[32:33], -v[32:33], v[60:61], v[46:47]
	s_delay_alu instid0(VALU_DEP_2) | instskip(SKIP_1) | instid1(VALU_DEP_2)
	v_div_fmas_f64 v[30:31], v[30:31], v[34:35], v[48:49]
	s_mov_b32 vcc_lo, s0
	v_div_fmas_f64 v[32:33], v[32:33], v[36:37], v[60:61]
	s_delay_alu instid0(VALU_DEP_2) | instskip(NEXT) | instid1(VALU_DEP_2)
	v_div_fixup_f64 v[36:37], v[30:31], v[38:39], v[26:27]
	v_div_fixup_f64 v[34:35], v[32:33], v[40:41], v[28:29]
.LBB117_170:                            ;   in Loop: Header=BB117_114 Depth=1
	s_or_b32 exec_lo, exec_lo, s20
                                        ; implicit-def: $vgpr32_vgpr33
                                        ; implicit-def: $vgpr26_vgpr27
.LBB117_171:                            ;   in Loop: Header=BB117_114 Depth=1
	s_and_not1_saveexec_b32 s0, s1
	s_cbranch_execz .LBB117_173
; %bb.172:                              ;   in Loop: Header=BB117_114 Depth=1
	v_div_scale_f64 v[34:35], null, v[32:33], v[32:33], v[30:31]
	v_div_scale_f64 v[40:41], vcc_lo, v[30:31], v[32:33], v[30:31]
	s_delay_alu instid0(VALU_DEP_2) | instskip(SKIP_1) | instid1(TRANS32_DEP_1)
	v_rcp_f64_e32 v[36:37], v[34:35]
	v_nop
	v_fma_f64 v[38:39], -v[34:35], v[36:37], 1.0
	s_delay_alu instid0(VALU_DEP_1) | instskip(NEXT) | instid1(VALU_DEP_1)
	v_fmac_f64_e32 v[36:37], v[36:37], v[38:39]
	v_fma_f64 v[38:39], -v[34:35], v[36:37], 1.0
	s_delay_alu instid0(VALU_DEP_1) | instskip(NEXT) | instid1(VALU_DEP_1)
	v_fmac_f64_e32 v[36:37], v[36:37], v[38:39]
	v_mul_f64_e32 v[38:39], v[40:41], v[36:37]
	s_delay_alu instid0(VALU_DEP_1) | instskip(NEXT) | instid1(VALU_DEP_1)
	v_fma_f64 v[34:35], -v[34:35], v[38:39], v[40:41]
	v_div_fmas_f64 v[34:35], v[34:35], v[36:37], v[38:39]
	s_delay_alu instid0(VALU_DEP_1) | instskip(NEXT) | instid1(VALU_DEP_1)
	v_div_fixup_f64 v[34:35], v[34:35], v[32:33], v[30:31]
	v_fmac_f64_e32 v[32:33], v[30:31], v[34:35]
	s_delay_alu instid0(VALU_DEP_1) | instskip(SKIP_1) | instid1(VALU_DEP_2)
	v_div_scale_f64 v[30:31], null, v[32:33], v[32:33], 1.0
	v_div_scale_f64 v[40:41], vcc_lo, 1.0, v[32:33], 1.0
	v_rcp_f64_e32 v[36:37], v[30:31]
	v_nop
	s_delay_alu instid0(TRANS32_DEP_1) | instskip(NEXT) | instid1(VALU_DEP_1)
	v_fma_f64 v[38:39], -v[30:31], v[36:37], 1.0
	v_fmac_f64_e32 v[36:37], v[36:37], v[38:39]
	s_delay_alu instid0(VALU_DEP_1) | instskip(NEXT) | instid1(VALU_DEP_1)
	v_fma_f64 v[38:39], -v[30:31], v[36:37], 1.0
	v_fmac_f64_e32 v[36:37], v[36:37], v[38:39]
	s_delay_alu instid0(VALU_DEP_1) | instskip(NEXT) | instid1(VALU_DEP_1)
	v_mul_f64_e32 v[38:39], v[40:41], v[36:37]
	v_fma_f64 v[30:31], -v[30:31], v[38:39], v[40:41]
	s_delay_alu instid0(VALU_DEP_1) | instskip(SKIP_2) | instid1(VALU_DEP_3)
	v_div_fmas_f64 v[30:31], v[30:31], v[36:37], v[38:39]
	v_fma_f64 v[36:37], v[26:27], v[34:35], v[28:29]
	v_fma_f64 v[26:27], v[28:29], v[34:35], -v[26:27]
	v_div_fixup_f64 v[30:31], v[30:31], v[32:33], 1.0
	s_delay_alu instid0(VALU_DEP_1) | instskip(NEXT) | instid1(VALU_DEP_3)
	v_mul_f64_e32 v[36:37], v[36:37], v[30:31]
	v_mul_f64_e32 v[34:35], v[26:27], v[30:31]
.LBB117_173:                            ;   in Loop: Header=BB117_114 Depth=1
	s_or_b32 exec_lo, exec_lo, s0
.LBB117_174:                            ;   in Loop: Header=BB117_114 Depth=1
	v_cmp_gt_f64_e32 vcc_lo, 0, v[22:23]
	v_xor_b32_e32 v27, 0x80000000, v23
	v_mov_b32_e32 v26, v22
	v_xor_b32_e32 v28, 0x80000000, v25
	s_mov_b32 s1, -1
                                        ; implicit-def: $vgpr30_vgpr31
                                        ; implicit-def: $vgpr32_vgpr33
	s_delay_alu instid0(VALU_DEP_3) | instskip(SKIP_1) | instid1(VALU_DEP_3)
	v_cndmask_b32_e32 v27, v23, v27, vcc_lo
	v_cmp_gt_f64_e32 vcc_lo, 0, v[24:25]
	v_dual_cndmask_b32 v29, v25, v28 :: v_dual_mov_b32 v28, v24
	s_and_not1_b32 vcc_lo, exec_lo, s6
	s_delay_alu instid0(VALU_DEP_1)
	v_cmp_ge_f64_e64 s0, v[26:27], v[28:29]
	s_cbranch_vccnz .LBB117_184
; %bb.175:                              ;   in Loop: Header=BB117_114 Depth=1
                                        ; implicit-def: $vgpr30_vgpr31
                                        ; implicit-def: $vgpr38_vgpr39
	s_and_saveexec_b32 s1, s0
	s_delay_alu instid0(SALU_CYCLE_1)
	s_xor_b32 s20, exec_lo, s1
	s_cbranch_execz .LBB117_181
; %bb.176:                              ;   in Loop: Header=BB117_114 Depth=1
	v_cmp_neq_f64_e32 vcc_lo, 0, v[22:23]
	v_cmp_neq_f64_e64 s1, 0, v[24:25]
                                        ; implicit-def: $vgpr30_vgpr31
                                        ; implicit-def: $vgpr38_vgpr39
	s_or_b32 s1, vcc_lo, s1
	s_delay_alu instid0(SALU_CYCLE_1) | instskip(NEXT) | instid1(SALU_CYCLE_1)
	s_and_saveexec_b32 s21, s1
	s_xor_b32 s1, exec_lo, s21
	s_cbranch_execz .LBB117_178
; %bb.177:                              ;   in Loop: Header=BB117_114 Depth=1
	v_div_scale_f64 v[30:31], null, v[22:23], v[22:23], v[24:25]
	v_div_scale_f64 v[40:41], vcc_lo, v[24:25], v[22:23], v[24:25]
	s_delay_alu instid0(VALU_DEP_2) | instskip(SKIP_1) | instid1(TRANS32_DEP_1)
	v_rcp_f64_e32 v[32:33], v[30:31]
	v_nop
	v_fma_f64 v[38:39], -v[30:31], v[32:33], 1.0
	s_delay_alu instid0(VALU_DEP_1) | instskip(NEXT) | instid1(VALU_DEP_1)
	v_fmac_f64_e32 v[32:33], v[32:33], v[38:39]
	v_fma_f64 v[38:39], -v[30:31], v[32:33], 1.0
	s_delay_alu instid0(VALU_DEP_1) | instskip(NEXT) | instid1(VALU_DEP_1)
	v_fmac_f64_e32 v[32:33], v[32:33], v[38:39]
	v_mul_f64_e32 v[38:39], v[40:41], v[32:33]
	s_delay_alu instid0(VALU_DEP_1) | instskip(NEXT) | instid1(VALU_DEP_1)
	v_fma_f64 v[30:31], -v[30:31], v[38:39], v[40:41]
	v_div_fmas_f64 v[30:31], v[30:31], v[32:33], v[38:39]
	s_delay_alu instid0(VALU_DEP_1) | instskip(NEXT) | instid1(VALU_DEP_1)
	v_div_fixup_f64 v[30:31], v[30:31], v[22:23], v[24:25]
	v_fma_f64 v[32:33], v[24:25], v[30:31], v[22:23]
	s_delay_alu instid0(VALU_DEP_1) | instskip(SKIP_1) | instid1(VALU_DEP_2)
	v_div_scale_f64 v[38:39], null, v[32:33], v[32:33], 1.0
	v_div_scale_f64 v[48:49], vcc_lo, 1.0, v[32:33], 1.0
	v_rcp_f64_e32 v[40:41], v[38:39]
	v_nop
	s_delay_alu instid0(TRANS32_DEP_1) | instskip(NEXT) | instid1(VALU_DEP_1)
	v_fma_f64 v[46:47], -v[38:39], v[40:41], 1.0
	v_fmac_f64_e32 v[40:41], v[40:41], v[46:47]
	s_delay_alu instid0(VALU_DEP_1) | instskip(NEXT) | instid1(VALU_DEP_1)
	v_fma_f64 v[46:47], -v[38:39], v[40:41], 1.0
	v_fmac_f64_e32 v[40:41], v[40:41], v[46:47]
	s_delay_alu instid0(VALU_DEP_1) | instskip(NEXT) | instid1(VALU_DEP_1)
	v_mul_f64_e32 v[46:47], v[48:49], v[40:41]
	v_fma_f64 v[38:39], -v[38:39], v[46:47], v[48:49]
	s_delay_alu instid0(VALU_DEP_1) | instskip(SKIP_2) | instid1(VALU_DEP_3)
	v_div_fmas_f64 v[38:39], v[38:39], v[40:41], v[46:47]
	v_fma_f64 v[40:41], v[20:21], v[30:31], v[18:19]
	v_fma_f64 v[30:31], -v[18:19], v[30:31], v[20:21]
	v_div_fixup_f64 v[32:33], v[38:39], v[32:33], 1.0
	s_delay_alu instid0(VALU_DEP_1) | instskip(NEXT) | instid1(VALU_DEP_3)
	v_mul_f64_e32 v[38:39], v[40:41], v[32:33]
	v_mul_f64_e32 v[30:31], v[30:31], v[32:33]
.LBB117_178:                            ;   in Loop: Header=BB117_114 Depth=1
	s_and_not1_saveexec_b32 s21, s1
	s_cbranch_execz .LBB117_180
; %bb.179:                              ;   in Loop: Header=BB117_114 Depth=1
	v_div_scale_f64 v[30:31], null, v[26:27], v[26:27], v[18:19]
	v_div_scale_f64 v[32:33], null, v[28:29], v[28:29], v[20:21]
	v_div_scale_f64 v[58:59], vcc_lo, v[18:19], v[26:27], v[18:19]
	s_delay_alu instid0(VALU_DEP_3) | instskip(NEXT) | instid1(VALU_DEP_2)
	v_rcp_f64_e32 v[38:39], v[30:31]
	v_rcp_f64_e32 v[40:41], v[32:33]
	s_delay_alu instid0(TRANS32_DEP_2) | instskip(NEXT) | instid1(TRANS32_DEP_1)
	v_fma_f64 v[46:47], -v[30:31], v[38:39], 1.0
	v_fma_f64 v[48:49], -v[32:33], v[40:41], 1.0
	s_delay_alu instid0(VALU_DEP_2) | instskip(NEXT) | instid1(VALU_DEP_2)
	v_fmac_f64_e32 v[38:39], v[38:39], v[46:47]
	v_fmac_f64_e32 v[40:41], v[40:41], v[48:49]
	s_delay_alu instid0(VALU_DEP_2) | instskip(NEXT) | instid1(VALU_DEP_2)
	v_fma_f64 v[46:47], -v[30:31], v[38:39], 1.0
	v_fma_f64 v[48:49], -v[32:33], v[40:41], 1.0
	s_delay_alu instid0(VALU_DEP_2) | instskip(SKIP_1) | instid1(VALU_DEP_3)
	v_fmac_f64_e32 v[38:39], v[38:39], v[46:47]
	v_div_scale_f64 v[46:47], s1, v[20:21], v[28:29], v[20:21]
	v_fmac_f64_e32 v[40:41], v[40:41], v[48:49]
	s_delay_alu instid0(VALU_DEP_3) | instskip(NEXT) | instid1(VALU_DEP_2)
	v_mul_f64_e32 v[48:49], v[58:59], v[38:39]
	v_mul_f64_e32 v[60:61], v[46:47], v[40:41]
	s_delay_alu instid0(VALU_DEP_2) | instskip(NEXT) | instid1(VALU_DEP_2)
	v_fma_f64 v[30:31], -v[30:31], v[48:49], v[58:59]
	v_fma_f64 v[32:33], -v[32:33], v[60:61], v[46:47]
	s_delay_alu instid0(VALU_DEP_2) | instskip(SKIP_1) | instid1(VALU_DEP_2)
	v_div_fmas_f64 v[30:31], v[30:31], v[38:39], v[48:49]
	s_mov_b32 vcc_lo, s1
	v_div_fmas_f64 v[32:33], v[32:33], v[40:41], v[60:61]
	s_delay_alu instid0(VALU_DEP_2) | instskip(NEXT) | instid1(VALU_DEP_2)
	v_div_fixup_f64 v[38:39], v[30:31], v[26:27], v[18:19]
	v_div_fixup_f64 v[30:31], v[32:33], v[28:29], v[20:21]
.LBB117_180:                            ;   in Loop: Header=BB117_114 Depth=1
	s_or_b32 exec_lo, exec_lo, s21
.LBB117_181:                            ;   in Loop: Header=BB117_114 Depth=1
	s_and_not1_saveexec_b32 s1, s20
	s_cbranch_execz .LBB117_183
; %bb.182:                              ;   in Loop: Header=BB117_114 Depth=1
	v_div_scale_f64 v[30:31], null, v[24:25], v[24:25], v[22:23]
	v_div_scale_f64 v[40:41], vcc_lo, v[22:23], v[24:25], v[22:23]
	s_delay_alu instid0(VALU_DEP_2) | instskip(SKIP_1) | instid1(TRANS32_DEP_1)
	v_rcp_f64_e32 v[32:33], v[30:31]
	v_nop
	v_fma_f64 v[38:39], -v[30:31], v[32:33], 1.0
	s_delay_alu instid0(VALU_DEP_1) | instskip(NEXT) | instid1(VALU_DEP_1)
	v_fmac_f64_e32 v[32:33], v[32:33], v[38:39]
	v_fma_f64 v[38:39], -v[30:31], v[32:33], 1.0
	s_delay_alu instid0(VALU_DEP_1) | instskip(NEXT) | instid1(VALU_DEP_1)
	v_fmac_f64_e32 v[32:33], v[32:33], v[38:39]
	v_mul_f64_e32 v[38:39], v[40:41], v[32:33]
	s_delay_alu instid0(VALU_DEP_1) | instskip(NEXT) | instid1(VALU_DEP_1)
	v_fma_f64 v[30:31], -v[30:31], v[38:39], v[40:41]
	v_div_fmas_f64 v[30:31], v[30:31], v[32:33], v[38:39]
	s_delay_alu instid0(VALU_DEP_1) | instskip(NEXT) | instid1(VALU_DEP_1)
	v_div_fixup_f64 v[30:31], v[30:31], v[24:25], v[22:23]
	v_fma_f64 v[32:33], v[22:23], v[30:31], v[24:25]
	s_delay_alu instid0(VALU_DEP_1) | instskip(SKIP_1) | instid1(VALU_DEP_2)
	v_div_scale_f64 v[38:39], null, v[32:33], v[32:33], 1.0
	v_div_scale_f64 v[48:49], vcc_lo, 1.0, v[32:33], 1.0
	v_rcp_f64_e32 v[40:41], v[38:39]
	v_nop
	s_delay_alu instid0(TRANS32_DEP_1) | instskip(NEXT) | instid1(VALU_DEP_1)
	v_fma_f64 v[46:47], -v[38:39], v[40:41], 1.0
	v_fmac_f64_e32 v[40:41], v[40:41], v[46:47]
	s_delay_alu instid0(VALU_DEP_1) | instskip(NEXT) | instid1(VALU_DEP_1)
	v_fma_f64 v[46:47], -v[38:39], v[40:41], 1.0
	v_fmac_f64_e32 v[40:41], v[40:41], v[46:47]
	s_delay_alu instid0(VALU_DEP_1) | instskip(NEXT) | instid1(VALU_DEP_1)
	v_mul_f64_e32 v[46:47], v[48:49], v[40:41]
	v_fma_f64 v[38:39], -v[38:39], v[46:47], v[48:49]
	s_delay_alu instid0(VALU_DEP_1) | instskip(SKIP_2) | instid1(VALU_DEP_3)
	v_div_fmas_f64 v[38:39], v[38:39], v[40:41], v[46:47]
	v_fma_f64 v[40:41], v[18:19], v[30:31], v[20:21]
	v_fma_f64 v[30:31], v[20:21], v[30:31], -v[18:19]
	v_div_fixup_f64 v[32:33], v[38:39], v[32:33], 1.0
	s_delay_alu instid0(VALU_DEP_1) | instskip(NEXT) | instid1(VALU_DEP_3)
	v_mul_f64_e32 v[38:39], v[40:41], v[32:33]
	v_mul_f64_e32 v[30:31], v[30:31], v[32:33]
.LBB117_183:                            ;   in Loop: Header=BB117_114 Depth=1
	s_or_b32 exec_lo, exec_lo, s1
	s_delay_alu instid0(VALU_DEP_1) | instskip(SKIP_2) | instid1(VALU_DEP_2)
	v_mul_f64_e32 v[32:33], s[10:11], v[30:31]
	v_mul_f64_e32 v[30:31], s[8:9], v[30:31]
	s_mov_b32 s1, 0
	v_fma_f64 v[32:33], s[8:9], v[38:39], -v[32:33]
	s_delay_alu instid0(VALU_DEP_2)
	v_fmac_f64_e32 v[30:31], s[10:11], v[38:39]
.LBB117_184:                            ;   in Loop: Header=BB117_114 Depth=1
	s_and_b32 vcc_lo, exec_lo, s1
	s_cbranch_vccz .LBB117_113
; %bb.185:                              ;   in Loop: Header=BB117_114 Depth=1
                                        ; implicit-def: $vgpr30_vgpr31
                                        ; implicit-def: $vgpr32_vgpr33
	s_and_saveexec_b32 s1, s0
	s_delay_alu instid0(SALU_CYCLE_1)
	s_xor_b32 s1, exec_lo, s1
	s_cbranch_execz .LBB117_191
; %bb.186:                              ;   in Loop: Header=BB117_114 Depth=1
	v_cmp_neq_f64_e32 vcc_lo, 0, v[22:23]
	v_cmp_neq_f64_e64 s0, 0, v[24:25]
                                        ; implicit-def: $vgpr30_vgpr31
                                        ; implicit-def: $vgpr32_vgpr33
	s_or_b32 s0, vcc_lo, s0
	s_delay_alu instid0(SALU_CYCLE_1) | instskip(NEXT) | instid1(SALU_CYCLE_1)
	s_and_saveexec_b32 s20, s0
	s_xor_b32 s0, exec_lo, s20
	s_cbranch_execz .LBB117_188
; %bb.187:                              ;   in Loop: Header=BB117_114 Depth=1
	v_div_scale_f64 v[26:27], null, v[22:23], v[22:23], v[24:25]
	v_div_scale_f64 v[32:33], vcc_lo, v[24:25], v[22:23], v[24:25]
	s_delay_alu instid0(VALU_DEP_2) | instskip(SKIP_1) | instid1(TRANS32_DEP_1)
	v_rcp_f64_e32 v[28:29], v[26:27]
	v_nop
	v_fma_f64 v[30:31], -v[26:27], v[28:29], 1.0
	s_delay_alu instid0(VALU_DEP_1) | instskip(NEXT) | instid1(VALU_DEP_1)
	v_fmac_f64_e32 v[28:29], v[28:29], v[30:31]
	v_fma_f64 v[30:31], -v[26:27], v[28:29], 1.0
	s_delay_alu instid0(VALU_DEP_1) | instskip(NEXT) | instid1(VALU_DEP_1)
	v_fmac_f64_e32 v[28:29], v[28:29], v[30:31]
	v_mul_f64_e32 v[30:31], v[32:33], v[28:29]
	s_delay_alu instid0(VALU_DEP_1) | instskip(NEXT) | instid1(VALU_DEP_1)
	v_fma_f64 v[26:27], -v[26:27], v[30:31], v[32:33]
	v_div_fmas_f64 v[26:27], v[26:27], v[28:29], v[30:31]
	s_delay_alu instid0(VALU_DEP_1) | instskip(NEXT) | instid1(VALU_DEP_1)
	v_div_fixup_f64 v[26:27], v[26:27], v[22:23], v[24:25]
	v_fmac_f64_e32 v[22:23], v[24:25], v[26:27]
	s_delay_alu instid0(VALU_DEP_1) | instskip(SKIP_1) | instid1(VALU_DEP_2)
	v_div_scale_f64 v[24:25], null, v[22:23], v[22:23], 1.0
	v_div_scale_f64 v[32:33], vcc_lo, 1.0, v[22:23], 1.0
	v_rcp_f64_e32 v[28:29], v[24:25]
	v_nop
	s_delay_alu instid0(TRANS32_DEP_1) | instskip(NEXT) | instid1(VALU_DEP_1)
	v_fma_f64 v[30:31], -v[24:25], v[28:29], 1.0
	v_fmac_f64_e32 v[28:29], v[28:29], v[30:31]
	s_delay_alu instid0(VALU_DEP_1) | instskip(NEXT) | instid1(VALU_DEP_1)
	v_fma_f64 v[30:31], -v[24:25], v[28:29], 1.0
	v_fmac_f64_e32 v[28:29], v[28:29], v[30:31]
	s_delay_alu instid0(VALU_DEP_1) | instskip(NEXT) | instid1(VALU_DEP_1)
	v_mul_f64_e32 v[30:31], v[32:33], v[28:29]
	v_fma_f64 v[24:25], -v[24:25], v[30:31], v[32:33]
	s_delay_alu instid0(VALU_DEP_1) | instskip(SKIP_2) | instid1(VALU_DEP_3)
	v_div_fmas_f64 v[24:25], v[24:25], v[28:29], v[30:31]
	v_fma_f64 v[28:29], v[20:21], v[26:27], v[18:19]
	v_fma_f64 v[18:19], -v[18:19], v[26:27], v[20:21]
                                        ; implicit-def: $vgpr26_vgpr27
	v_div_fixup_f64 v[22:23], v[24:25], v[22:23], 1.0
	s_delay_alu instid0(VALU_DEP_1) | instskip(NEXT) | instid1(VALU_DEP_3)
	v_mul_f64_e32 v[32:33], v[28:29], v[22:23]
	v_mul_f64_e32 v[30:31], v[18:19], v[22:23]
                                        ; implicit-def: $vgpr18_vgpr19
                                        ; implicit-def: $vgpr28_vgpr29
.LBB117_188:                            ;   in Loop: Header=BB117_114 Depth=1
	s_and_not1_saveexec_b32 s20, s0
	s_cbranch_execz .LBB117_190
; %bb.189:                              ;   in Loop: Header=BB117_114 Depth=1
	v_div_scale_f64 v[22:23], null, v[26:27], v[26:27], v[18:19]
	v_div_scale_f64 v[24:25], null, v[28:29], v[28:29], v[20:21]
	v_div_scale_f64 v[46:47], vcc_lo, v[18:19], v[26:27], v[18:19]
	s_delay_alu instid0(VALU_DEP_3) | instskip(NEXT) | instid1(VALU_DEP_2)
	v_rcp_f64_e32 v[30:31], v[22:23]
	v_rcp_f64_e32 v[32:33], v[24:25]
	s_delay_alu instid0(TRANS32_DEP_2) | instskip(NEXT) | instid1(TRANS32_DEP_1)
	v_fma_f64 v[38:39], -v[22:23], v[30:31], 1.0
	v_fma_f64 v[40:41], -v[24:25], v[32:33], 1.0
	s_delay_alu instid0(VALU_DEP_2) | instskip(NEXT) | instid1(VALU_DEP_2)
	v_fmac_f64_e32 v[30:31], v[30:31], v[38:39]
	v_fmac_f64_e32 v[32:33], v[32:33], v[40:41]
	s_delay_alu instid0(VALU_DEP_2) | instskip(NEXT) | instid1(VALU_DEP_2)
	v_fma_f64 v[38:39], -v[22:23], v[30:31], 1.0
	v_fma_f64 v[40:41], -v[24:25], v[32:33], 1.0
	s_delay_alu instid0(VALU_DEP_2) | instskip(SKIP_1) | instid1(VALU_DEP_3)
	v_fmac_f64_e32 v[30:31], v[30:31], v[38:39]
	v_div_scale_f64 v[38:39], s0, v[20:21], v[28:29], v[20:21]
	v_fmac_f64_e32 v[32:33], v[32:33], v[40:41]
	s_delay_alu instid0(VALU_DEP_3) | instskip(NEXT) | instid1(VALU_DEP_2)
	v_mul_f64_e32 v[40:41], v[46:47], v[30:31]
	v_mul_f64_e32 v[48:49], v[38:39], v[32:33]
	s_delay_alu instid0(VALU_DEP_2) | instskip(NEXT) | instid1(VALU_DEP_2)
	v_fma_f64 v[22:23], -v[22:23], v[40:41], v[46:47]
	v_fma_f64 v[24:25], -v[24:25], v[48:49], v[38:39]
	s_delay_alu instid0(VALU_DEP_2) | instskip(SKIP_1) | instid1(VALU_DEP_2)
	v_div_fmas_f64 v[22:23], v[22:23], v[30:31], v[40:41]
	s_mov_b32 vcc_lo, s0
	v_div_fmas_f64 v[24:25], v[24:25], v[32:33], v[48:49]
	s_delay_alu instid0(VALU_DEP_2) | instskip(NEXT) | instid1(VALU_DEP_2)
	v_div_fixup_f64 v[32:33], v[22:23], v[26:27], v[18:19]
	v_div_fixup_f64 v[30:31], v[24:25], v[28:29], v[20:21]
.LBB117_190:                            ;   in Loop: Header=BB117_114 Depth=1
	s_or_b32 exec_lo, exec_lo, s20
                                        ; implicit-def: $vgpr24_vgpr25
                                        ; implicit-def: $vgpr18_vgpr19
.LBB117_191:                            ;   in Loop: Header=BB117_114 Depth=1
	s_and_not1_saveexec_b32 s0, s1
	s_cbranch_execz .LBB117_112
; %bb.192:                              ;   in Loop: Header=BB117_114 Depth=1
	v_div_scale_f64 v[26:27], null, v[24:25], v[24:25], v[22:23]
	v_div_scale_f64 v[32:33], vcc_lo, v[22:23], v[24:25], v[22:23]
	s_delay_alu instid0(VALU_DEP_2) | instskip(SKIP_1) | instid1(TRANS32_DEP_1)
	v_rcp_f64_e32 v[28:29], v[26:27]
	v_nop
	v_fma_f64 v[30:31], -v[26:27], v[28:29], 1.0
	s_delay_alu instid0(VALU_DEP_1) | instskip(NEXT) | instid1(VALU_DEP_1)
	v_fmac_f64_e32 v[28:29], v[28:29], v[30:31]
	v_fma_f64 v[30:31], -v[26:27], v[28:29], 1.0
	s_delay_alu instid0(VALU_DEP_1) | instskip(NEXT) | instid1(VALU_DEP_1)
	v_fmac_f64_e32 v[28:29], v[28:29], v[30:31]
	v_mul_f64_e32 v[30:31], v[32:33], v[28:29]
	s_delay_alu instid0(VALU_DEP_1) | instskip(NEXT) | instid1(VALU_DEP_1)
	v_fma_f64 v[26:27], -v[26:27], v[30:31], v[32:33]
	v_div_fmas_f64 v[26:27], v[26:27], v[28:29], v[30:31]
	s_delay_alu instid0(VALU_DEP_1) | instskip(NEXT) | instid1(VALU_DEP_1)
	v_div_fixup_f64 v[26:27], v[26:27], v[24:25], v[22:23]
	v_fmac_f64_e32 v[24:25], v[22:23], v[26:27]
	s_delay_alu instid0(VALU_DEP_1) | instskip(SKIP_1) | instid1(VALU_DEP_2)
	v_div_scale_f64 v[22:23], null, v[24:25], v[24:25], 1.0
	v_div_scale_f64 v[32:33], vcc_lo, 1.0, v[24:25], 1.0
	v_rcp_f64_e32 v[28:29], v[22:23]
	v_nop
	s_delay_alu instid0(TRANS32_DEP_1) | instskip(NEXT) | instid1(VALU_DEP_1)
	v_fma_f64 v[30:31], -v[22:23], v[28:29], 1.0
	v_fmac_f64_e32 v[28:29], v[28:29], v[30:31]
	s_delay_alu instid0(VALU_DEP_1) | instskip(NEXT) | instid1(VALU_DEP_1)
	v_fma_f64 v[30:31], -v[22:23], v[28:29], 1.0
	v_fmac_f64_e32 v[28:29], v[28:29], v[30:31]
	s_delay_alu instid0(VALU_DEP_1) | instskip(NEXT) | instid1(VALU_DEP_1)
	v_mul_f64_e32 v[30:31], v[32:33], v[28:29]
	v_fma_f64 v[22:23], -v[22:23], v[30:31], v[32:33]
	s_delay_alu instid0(VALU_DEP_1) | instskip(SKIP_2) | instid1(VALU_DEP_3)
	v_div_fmas_f64 v[22:23], v[22:23], v[28:29], v[30:31]
	v_fma_f64 v[28:29], v[18:19], v[26:27], v[20:21]
	v_fma_f64 v[18:19], v[20:21], v[26:27], -v[18:19]
	v_div_fixup_f64 v[22:23], v[22:23], v[24:25], 1.0
	s_delay_alu instid0(VALU_DEP_1) | instskip(NEXT) | instid1(VALU_DEP_3)
	v_mul_f64_e32 v[32:33], v[28:29], v[22:23]
	v_mul_f64_e32 v[30:31], v[18:19], v[22:23]
	s_branch .LBB117_112
.LBB117_193:
	s_sendmsg sendmsg(MSG_DEALLOC_VGPRS)
	s_endpgm
	.section	.rodata,"a",@progbits
	.p2align	6, 0x0
	.amdhsa_kernel _ZN2at6native12_GLOBAL__N_125multi_tensor_apply_kernelINS1_28TensorListScalarListMetadataIN3c107complexIdEELi4EEENS1_28PointwiseOpScalarListFunctorIS6_Li4ELi3ELi3EEEJSt7dividesIS6_EEEEvT_T0_DpT1_
		.amdhsa_group_segment_fixed_size 0
		.amdhsa_private_segment_fixed_size 0
		.amdhsa_kernarg_size 3880
		.amdhsa_user_sgpr_count 2
		.amdhsa_user_sgpr_dispatch_ptr 0
		.amdhsa_user_sgpr_queue_ptr 0
		.amdhsa_user_sgpr_kernarg_segment_ptr 1
		.amdhsa_user_sgpr_dispatch_id 0
		.amdhsa_user_sgpr_kernarg_preload_length 0
		.amdhsa_user_sgpr_kernarg_preload_offset 0
		.amdhsa_user_sgpr_private_segment_size 0
		.amdhsa_wavefront_size32 1
		.amdhsa_uses_dynamic_stack 0
		.amdhsa_enable_private_segment 0
		.amdhsa_system_sgpr_workgroup_id_x 1
		.amdhsa_system_sgpr_workgroup_id_y 0
		.amdhsa_system_sgpr_workgroup_id_z 0
		.amdhsa_system_sgpr_workgroup_info 0
		.amdhsa_system_vgpr_workitem_id 0
		.amdhsa_next_free_vgpr 82
		.amdhsa_next_free_sgpr 36
		.amdhsa_named_barrier_count 0
		.amdhsa_reserve_vcc 1
		.amdhsa_float_round_mode_32 0
		.amdhsa_float_round_mode_16_64 0
		.amdhsa_float_denorm_mode_32 3
		.amdhsa_float_denorm_mode_16_64 3
		.amdhsa_fp16_overflow 0
		.amdhsa_memory_ordered 1
		.amdhsa_forward_progress 1
		.amdhsa_inst_pref_size 109
		.amdhsa_round_robin_scheduling 0
		.amdhsa_exception_fp_ieee_invalid_op 0
		.amdhsa_exception_fp_denorm_src 0
		.amdhsa_exception_fp_ieee_div_zero 0
		.amdhsa_exception_fp_ieee_overflow 0
		.amdhsa_exception_fp_ieee_underflow 0
		.amdhsa_exception_fp_ieee_inexact 0
		.amdhsa_exception_int_div_zero 0
	.end_amdhsa_kernel
	.section	.text._ZN2at6native12_GLOBAL__N_125multi_tensor_apply_kernelINS1_28TensorListScalarListMetadataIN3c107complexIdEELi4EEENS1_28PointwiseOpScalarListFunctorIS6_Li4ELi3ELi3EEEJSt7dividesIS6_EEEEvT_T0_DpT1_,"axG",@progbits,_ZN2at6native12_GLOBAL__N_125multi_tensor_apply_kernelINS1_28TensorListScalarListMetadataIN3c107complexIdEELi4EEENS1_28PointwiseOpScalarListFunctorIS6_Li4ELi3ELi3EEEJSt7dividesIS6_EEEEvT_T0_DpT1_,comdat
.Lfunc_end117:
	.size	_ZN2at6native12_GLOBAL__N_125multi_tensor_apply_kernelINS1_28TensorListScalarListMetadataIN3c107complexIdEELi4EEENS1_28PointwiseOpScalarListFunctorIS6_Li4ELi3ELi3EEEJSt7dividesIS6_EEEEvT_T0_DpT1_, .Lfunc_end117-_ZN2at6native12_GLOBAL__N_125multi_tensor_apply_kernelINS1_28TensorListScalarListMetadataIN3c107complexIdEELi4EEENS1_28PointwiseOpScalarListFunctorIS6_Li4ELi3ELi3EEEJSt7dividesIS6_EEEEvT_T0_DpT1_
                                        ; -- End function
	.set _ZN2at6native12_GLOBAL__N_125multi_tensor_apply_kernelINS1_28TensorListScalarListMetadataIN3c107complexIdEELi4EEENS1_28PointwiseOpScalarListFunctorIS6_Li4ELi3ELi3EEEJSt7dividesIS6_EEEEvT_T0_DpT1_.num_vgpr, 82
	.set _ZN2at6native12_GLOBAL__N_125multi_tensor_apply_kernelINS1_28TensorListScalarListMetadataIN3c107complexIdEELi4EEENS1_28PointwiseOpScalarListFunctorIS6_Li4ELi3ELi3EEEJSt7dividesIS6_EEEEvT_T0_DpT1_.num_agpr, 0
	.set _ZN2at6native12_GLOBAL__N_125multi_tensor_apply_kernelINS1_28TensorListScalarListMetadataIN3c107complexIdEELi4EEENS1_28PointwiseOpScalarListFunctorIS6_Li4ELi3ELi3EEEJSt7dividesIS6_EEEEvT_T0_DpT1_.numbered_sgpr, 36
	.set _ZN2at6native12_GLOBAL__N_125multi_tensor_apply_kernelINS1_28TensorListScalarListMetadataIN3c107complexIdEELi4EEENS1_28PointwiseOpScalarListFunctorIS6_Li4ELi3ELi3EEEJSt7dividesIS6_EEEEvT_T0_DpT1_.num_named_barrier, 0
	.set _ZN2at6native12_GLOBAL__N_125multi_tensor_apply_kernelINS1_28TensorListScalarListMetadataIN3c107complexIdEELi4EEENS1_28PointwiseOpScalarListFunctorIS6_Li4ELi3ELi3EEEJSt7dividesIS6_EEEEvT_T0_DpT1_.private_seg_size, 0
	.set _ZN2at6native12_GLOBAL__N_125multi_tensor_apply_kernelINS1_28TensorListScalarListMetadataIN3c107complexIdEELi4EEENS1_28PointwiseOpScalarListFunctorIS6_Li4ELi3ELi3EEEJSt7dividesIS6_EEEEvT_T0_DpT1_.uses_vcc, 1
	.set _ZN2at6native12_GLOBAL__N_125multi_tensor_apply_kernelINS1_28TensorListScalarListMetadataIN3c107complexIdEELi4EEENS1_28PointwiseOpScalarListFunctorIS6_Li4ELi3ELi3EEEJSt7dividesIS6_EEEEvT_T0_DpT1_.uses_flat_scratch, 0
	.set _ZN2at6native12_GLOBAL__N_125multi_tensor_apply_kernelINS1_28TensorListScalarListMetadataIN3c107complexIdEELi4EEENS1_28PointwiseOpScalarListFunctorIS6_Li4ELi3ELi3EEEJSt7dividesIS6_EEEEvT_T0_DpT1_.has_dyn_sized_stack, 0
	.set _ZN2at6native12_GLOBAL__N_125multi_tensor_apply_kernelINS1_28TensorListScalarListMetadataIN3c107complexIdEELi4EEENS1_28PointwiseOpScalarListFunctorIS6_Li4ELi3ELi3EEEJSt7dividesIS6_EEEEvT_T0_DpT1_.has_recursion, 0
	.set _ZN2at6native12_GLOBAL__N_125multi_tensor_apply_kernelINS1_28TensorListScalarListMetadataIN3c107complexIdEELi4EEENS1_28PointwiseOpScalarListFunctorIS6_Li4ELi3ELi3EEEJSt7dividesIS6_EEEEvT_T0_DpT1_.has_indirect_call, 0
	.section	.AMDGPU.csdata,"",@progbits
; Kernel info:
; codeLenInByte = 13860
; TotalNumSgprs: 38
; NumVgprs: 82
; ScratchSize: 0
; MemoryBound: 1
; FloatMode: 240
; IeeeMode: 1
; LDSByteSize: 0 bytes/workgroup (compile time only)
; SGPRBlocks: 0
; VGPRBlocks: 5
; NumSGPRsForWavesPerEU: 38
; NumVGPRsForWavesPerEU: 82
; NamedBarCnt: 0
; Occupancy: 10
; WaveLimiterHint : 0
; COMPUTE_PGM_RSRC2:SCRATCH_EN: 0
; COMPUTE_PGM_RSRC2:USER_SGPR: 2
; COMPUTE_PGM_RSRC2:TRAP_HANDLER: 0
; COMPUTE_PGM_RSRC2:TGID_X_EN: 1
; COMPUTE_PGM_RSRC2:TGID_Y_EN: 0
; COMPUTE_PGM_RSRC2:TGID_Z_EN: 0
; COMPUTE_PGM_RSRC2:TIDIG_COMP_CNT: 0
	.section	.text._ZN2at6native12_GLOBAL__N_125multi_tensor_apply_kernelINS1_28TensorListScalarListMetadataIN3c107complexIfEELi4EEENS1_28PointwiseOpScalarListFunctorIS6_Li4ELi3ELi3EEEJSt7dividesIS6_EEEEvT_T0_DpT1_,"axG",@progbits,_ZN2at6native12_GLOBAL__N_125multi_tensor_apply_kernelINS1_28TensorListScalarListMetadataIN3c107complexIfEELi4EEENS1_28PointwiseOpScalarListFunctorIS6_Li4ELi3ELi3EEEJSt7dividesIS6_EEEEvT_T0_DpT1_,comdat
	.globl	_ZN2at6native12_GLOBAL__N_125multi_tensor_apply_kernelINS1_28TensorListScalarListMetadataIN3c107complexIfEELi4EEENS1_28PointwiseOpScalarListFunctorIS6_Li4ELi3ELi3EEEJSt7dividesIS6_EEEEvT_T0_DpT1_ ; -- Begin function _ZN2at6native12_GLOBAL__N_125multi_tensor_apply_kernelINS1_28TensorListScalarListMetadataIN3c107complexIfEELi4EEENS1_28PointwiseOpScalarListFunctorIS6_Li4ELi3ELi3EEEJSt7dividesIS6_EEEEvT_T0_DpT1_
	.p2align	8
	.type	_ZN2at6native12_GLOBAL__N_125multi_tensor_apply_kernelINS1_28TensorListScalarListMetadataIN3c107complexIfEELi4EEENS1_28PointwiseOpScalarListFunctorIS6_Li4ELi3ELi3EEEJSt7dividesIS6_EEEEvT_T0_DpT1_,@function
_ZN2at6native12_GLOBAL__N_125multi_tensor_apply_kernelINS1_28TensorListScalarListMetadataIN3c107complexIfEELi4EEENS1_28PointwiseOpScalarListFunctorIS6_Li4ELi3ELi3EEEJSt7dividesIS6_EEEEvT_T0_DpT1_: ; @_ZN2at6native12_GLOBAL__N_125multi_tensor_apply_kernelINS1_28TensorListScalarListMetadataIN3c107complexIfEELi4EEENS1_28PointwiseOpScalarListFunctorIS6_Li4ELi3ELi3EEEJSt7dividesIS6_EEEEvT_T0_DpT1_
; %bb.0:
	s_bfe_u32 s2, ttmp6, 0x4000c
	s_and_b32 s3, ttmp6, 15
	s_add_co_i32 s2, s2, 1
	s_getreg_b32 s4, hwreg(HW_REG_IB_STS2, 6, 4)
	s_mul_i32 s2, ttmp9, s2
	s_delay_alu instid0(SALU_CYCLE_1)
	s_add_co_i32 s3, s3, s2
	s_cmp_eq_u32 s4, 0
	s_cselect_b32 s2, ttmp9, s3
	s_mov_b32 s3, 0
	s_load_u8 s20, s[0:1], s2 offset:0x6c0
	s_add_nc_u64 s[4:5], s[0:1], s[2:3]
	s_mul_u64 s[6:7], s[2:3], 3
	s_delay_alu instid0(SALU_CYCLE_1)
	s_add_nc_u64 s[4:5], s[4:5], s[6:7]
	s_load_b32 s6, s[4:5], 0x800
	s_wait_kmcnt 0x0
	s_clause 0x5
	s_load_b64 s[10:11], s[0:1], s20 offset:0x240 scale_offset
	s_load_b64 s[12:13], s[0:1], s20 offset:0x360 scale_offset
	;; [unrolled: 1-line block ×6, first 2 shown]
	s_ashr_i32 s7, s6, 31
	s_delay_alu instid0(SALU_CYCLE_1)
	s_lshl_b64 s[4:5], s[6:7], 19
	s_wait_kmcnt 0x0
	s_add_nc_u64 s[10:11], s[10:11], s[4:5]
	s_add_nc_u64 s[12:13], s[12:13], s[4:5]
	;; [unrolled: 1-line block ×3, first 2 shown]
	s_or_b32 s2, s12, s10
	s_add_nc_u64 s[16:17], s[16:17], s[4:5]
	s_and_b32 s20, s2, 31
	s_and_b32 s2, s14, 31
	s_cmp_eq_u32 s20, 0
	s_cselect_b32 s20, -1, 0
	s_and_b64 s[4:5], s[16:17], 31
	s_cmp_eq_u64 s[2:3], 0
	s_cselect_b32 s21, -1, 0
	s_and_b32 s2, s18, 3
	s_and_b32 s20, s20, s21
	s_or_b64 s[2:3], s[4:5], s[2:3]
	s_lshl_b64 s[4:5], s[6:7], 16
	s_cmp_eq_u64 s[2:3], 0
	s_sub_nc_u64 s[18:19], s[18:19], s[4:5]
	s_cselect_b32 s2, -1, 0
	s_delay_alu instid0(SALU_CYCLE_1) | instskip(NEXT) | instid1(SALU_CYCLE_1)
	s_and_b32 s2, s20, s2
	s_and_b32 vcc_lo, exec_lo, s2
	s_mov_b32 s2, -1
	s_cbranch_vccnz .LBB118_109
; %bb.1:
	v_cmp_lt_i64_e64 s2, s[18:19], 1
	s_and_b32 vcc_lo, exec_lo, s2
	s_cbranch_vccnz .LBB118_108
; %bb.2:
	s_load_b32 s2, s[0:1], 0xd14
	v_min_i64 v[2:3], 0x10000, s[18:19]
	v_min_u64 v[4:5], 0x10000, s[18:19]
	s_and_b32 s3, s9, 0x7fffffff
	v_mov_b32_e32 v1, 0
	s_mov_b32 s21, 0
	s_mov_b32 s22, s9
	s_mov_b32 s23, s8
	s_mov_b32 s25, s21
	s_mov_b32 s27, s21
	s_mov_b32 s29, s21
	s_mov_b64 s[30:31], 0
	s_wait_kmcnt 0x0
	s_and_b32 s20, s2, 0xffff
	s_delay_alu instid0(SALU_CYCLE_1)
	s_lshl_b32 s24, s20, 1
	s_cmp_lg_u32 s3, 0
	s_mul_i32 s26, s20, 3
	s_cselect_b32 s2, -1, 0
	s_cmp_neq_f32 s8, 1.0
	s_cselect_b32 s3, -1, 0
	s_lshl_b32 s28, s20, 2
	s_or_b32 s33, s3, s2
	s_branch .LBB118_4
.LBB118_3:                              ;   in Loop: Header=BB118_4 Depth=1
	s_wait_xcnt 0x0
	s_or_b32 exec_lo, exec_lo, s2
	s_add_nc_u64 s[30:31], s[30:31], s[28:29]
	s_delay_alu instid0(SALU_CYCLE_1)
	v_cmp_ge_i64_e32 vcc_lo, s[30:31], v[2:3]
	s_cbranch_vccnz .LBB118_108
.LBB118_4:                              ; =>This Inner Loop Header: Depth=1
	v_add_nc_u64_e32 v[6:7], s[30:31], v[0:1]
	v_dual_mov_b32 v9, 0 :: v_dual_mov_b32 v8, 0
	v_dual_mov_b32 v32, 0 :: v_dual_mov_b32 v33, 0
	s_delay_alu instid0(VALU_DEP_3)
	v_cmp_lt_u64_e64 s2, v[6:7], v[4:5]
	s_and_saveexec_b32 s3, s2
	s_cbranch_execz .LBB118_6
; %bb.5:                                ;   in Loop: Header=BB118_4 Depth=1
	v_lshlrev_b64_e32 v[8:9], 3, v[6:7]
	s_delay_alu instid0(VALU_DEP_1)
	v_add_nc_u64_e32 v[10:11], s[14:15], v[8:9]
	v_add_nc_u64_e32 v[12:13], s[16:17], v[8:9]
	global_load_b64 v[14:15], v[10:11], off
	global_load_b64 v[8:9], v[12:13], off
	s_wait_loadcnt 0x1
	v_dual_mov_b32 v32, v15 :: v_dual_mov_b32 v33, v14
.LBB118_6:                              ;   in Loop: Header=BB118_4 Depth=1
	s_wait_xcnt 0x0
	s_or_b32 exec_lo, exec_lo, s3
	v_dual_mov_b32 v11, 0 :: v_dual_mov_b32 v39, 0
	v_mov_b32_e32 v38, 0
	s_and_saveexec_b32 s3, s2
	s_cbranch_execz .LBB118_8
; %bb.7:                                ;   in Loop: Header=BB118_4 Depth=1
	v_lshl_add_u64 v[12:13], v[6:7], 3, s[10:11]
	global_load_b64 v[38:39], v[12:13], off
.LBB118_8:                              ;   in Loop: Header=BB118_4 Depth=1
	s_wait_xcnt 0x0
	s_or_b32 exec_lo, exec_lo, s3
	v_add_nc_u64_e32 v[12:13], s[20:21], v[6:7]
	v_dual_mov_b32 v10, 0 :: v_dual_mov_b32 v34, 0
	v_mov_b32_e32 v35, 0
	s_delay_alu instid0(VALU_DEP_3)
	v_cmp_lt_u64_e64 s3, v[12:13], v[4:5]
	s_and_saveexec_b32 s4, s3
	s_cbranch_execz .LBB118_10
; %bb.9:                                ;   in Loop: Header=BB118_4 Depth=1
	v_lshlrev_b64_e32 v[10:11], 3, v[12:13]
	s_delay_alu instid0(VALU_DEP_1)
	v_add_nc_u64_e32 v[14:15], s[14:15], v[10:11]
	v_add_nc_u64_e32 v[16:17], s[16:17], v[10:11]
	global_load_b64 v[18:19], v[14:15], off
	global_load_b64 v[10:11], v[16:17], off
	s_wait_loadcnt 0x1
	v_dual_mov_b32 v34, v19 :: v_dual_mov_b32 v35, v18
.LBB118_10:                             ;   in Loop: Header=BB118_4 Depth=1
	s_wait_xcnt 0x0
	s_or_b32 exec_lo, exec_lo, s4
	v_dual_mov_b32 v15, 0 :: v_dual_mov_b32 v37, 0
	v_mov_b32_e32 v36, 0
	s_and_saveexec_b32 s4, s3
	s_cbranch_execz .LBB118_12
; %bb.11:                               ;   in Loop: Header=BB118_4 Depth=1
	v_lshl_add_u64 v[16:17], v[12:13], 3, s[10:11]
	global_load_b64 v[36:37], v[16:17], off
.LBB118_12:                             ;   in Loop: Header=BB118_4 Depth=1
	s_wait_xcnt 0x0
	s_or_b32 exec_lo, exec_lo, s4
	v_add_nc_u64_e32 v[16:17], s[24:25], v[6:7]
	v_dual_mov_b32 v14, 0 :: v_dual_mov_b32 v28, 0
	v_mov_b32_e32 v29, 0
	s_delay_alu instid0(VALU_DEP_3)
	v_cmp_lt_u64_e64 s4, v[16:17], v[4:5]
	s_and_saveexec_b32 s5, s4
	s_cbranch_execz .LBB118_14
; %bb.13:                               ;   in Loop: Header=BB118_4 Depth=1
	v_lshlrev_b64_e32 v[14:15], 3, v[16:17]
	s_delay_alu instid0(VALU_DEP_1)
	v_add_nc_u64_e32 v[18:19], s[14:15], v[14:15]
	v_add_nc_u64_e32 v[20:21], s[16:17], v[14:15]
	global_load_b64 v[22:23], v[18:19], off
	global_load_b64 v[14:15], v[20:21], off
	s_wait_loadcnt 0x1
	v_dual_mov_b32 v28, v23 :: v_dual_mov_b32 v29, v22
.LBB118_14:                             ;   in Loop: Header=BB118_4 Depth=1
	s_wait_xcnt 0x0
	s_or_b32 exec_lo, exec_lo, s5
	v_dual_mov_b32 v19, 0 :: v_dual_mov_b32 v31, 0
	v_mov_b32_e32 v30, 0
	s_and_saveexec_b32 s5, s4
	s_cbranch_execz .LBB118_16
; %bb.15:                               ;   in Loop: Header=BB118_4 Depth=1
	v_lshl_add_u64 v[20:21], v[16:17], 3, s[10:11]
	global_load_b64 v[30:31], v[20:21], off
.LBB118_16:                             ;   in Loop: Header=BB118_4 Depth=1
	s_wait_xcnt 0x0
	s_or_b32 exec_lo, exec_lo, s5
	v_add_nc_u64_e32 v[20:21], s[26:27], v[6:7]
	v_dual_mov_b32 v18, 0 :: v_dual_mov_b32 v22, 0
	v_mov_b32_e32 v23, 0
	s_delay_alu instid0(VALU_DEP_3)
	v_cmp_lt_u64_e64 s5, v[20:21], v[4:5]
	s_and_saveexec_b32 s6, s5
	s_cbranch_execz .LBB118_18
; %bb.17:                               ;   in Loop: Header=BB118_4 Depth=1
	v_lshlrev_b64_e32 v[18:19], 3, v[20:21]
	s_delay_alu instid0(VALU_DEP_1)
	v_add_nc_u64_e32 v[22:23], s[14:15], v[18:19]
	v_add_nc_u64_e32 v[24:25], s[16:17], v[18:19]
	global_load_b64 v[26:27], v[22:23], off
	global_load_b64 v[18:19], v[24:25], off
	s_wait_loadcnt 0x1
	s_wait_xcnt 0x1
	v_dual_mov_b32 v22, v27 :: v_dual_mov_b32 v23, v26
.LBB118_18:                             ;   in Loop: Header=BB118_4 Depth=1
	s_wait_xcnt 0x0
	s_or_b32 exec_lo, exec_lo, s6
	v_dual_mov_b32 v25, 0 :: v_dual_mov_b32 v24, 0
	s_and_saveexec_b32 s6, s5
	s_cbranch_execz .LBB118_20
; %bb.19:                               ;   in Loop: Header=BB118_4 Depth=1
	v_lshl_add_u64 v[24:25], v[20:21], 3, s[10:11]
	global_load_b64 v[24:25], v[24:25], off
.LBB118_20:                             ;   in Loop: Header=BB118_4 Depth=1
	s_wait_xcnt 0x0
	s_or_b32 exec_lo, exec_lo, s6
	s_wait_loadcnt 0x0
	v_cmp_gt_f32_e32 vcc_lo, 0, v38
	s_mov_b32 s7, -1
                                        ; implicit-def: $vgpr27
	v_cndmask_b32_e64 v41, v38, -v38, vcc_lo
	v_cmp_gt_f32_e32 vcc_lo, 0, v39
	v_cndmask_b32_e64 v42, v39, -v39, vcc_lo
	s_and_b32 vcc_lo, exec_lo, s33
	s_delay_alu instid0(VALU_DEP_1)
	v_cmp_ge_f32_e64 s6, v41, v42
	s_cbranch_vccz .LBB118_30
; %bb.21:                               ;   in Loop: Header=BB118_4 Depth=1
                                        ; implicit-def: $vgpr40
                                        ; implicit-def: $vgpr26
	s_and_saveexec_b32 s7, s6
	s_delay_alu instid0(SALU_CYCLE_1)
	s_xor_b32 s34, exec_lo, s7
	s_cbranch_execz .LBB118_27
; %bb.22:                               ;   in Loop: Header=BB118_4 Depth=1
	v_cmp_neq_f32_e32 vcc_lo, 0, v38
	v_cmp_neq_f32_e64 s7, 0, v39
                                        ; implicit-def: $vgpr40
                                        ; implicit-def: $vgpr26
	s_or_b32 s7, s7, vcc_lo
	s_delay_alu instid0(SALU_CYCLE_1) | instskip(NEXT) | instid1(SALU_CYCLE_1)
	s_and_saveexec_b32 s35, s7
	s_xor_b32 s7, exec_lo, s35
	s_cbranch_execz .LBB118_24
; %bb.23:                               ;   in Loop: Header=BB118_4 Depth=1
	v_div_scale_f32 v26, null, v38, v38, v39
	v_div_scale_f32 v43, vcc_lo, v39, v38, v39
	s_delay_alu instid0(VALU_DEP_2) | instskip(SKIP_1) | instid1(TRANS32_DEP_1)
	v_rcp_f32_e32 v27, v26
	v_nop
	v_fma_f32 v40, -v26, v27, 1.0
	s_delay_alu instid0(VALU_DEP_1) | instskip(NEXT) | instid1(VALU_DEP_1)
	v_fmac_f32_e32 v27, v40, v27
	v_mul_f32_e32 v40, v43, v27
	s_delay_alu instid0(VALU_DEP_1) | instskip(NEXT) | instid1(VALU_DEP_1)
	v_fma_f32 v44, -v26, v40, v43
	v_fmac_f32_e32 v40, v44, v27
	s_delay_alu instid0(VALU_DEP_1) | instskip(NEXT) | instid1(VALU_DEP_1)
	v_fma_f32 v26, -v26, v40, v43
	v_div_fmas_f32 v26, v26, v27, v40
	s_delay_alu instid0(VALU_DEP_1) | instskip(NEXT) | instid1(VALU_DEP_1)
	v_div_fixup_f32 v26, v26, v38, v39
	v_fma_f32 v27, v39, v26, v38
	s_delay_alu instid0(VALU_DEP_1) | instskip(SKIP_1) | instid1(VALU_DEP_2)
	v_div_scale_f32 v40, null, v27, v27, 1.0
	v_div_scale_f32 v45, vcc_lo, 1.0, v27, 1.0
	v_rcp_f32_e32 v43, v40
	v_nop
	s_delay_alu instid0(TRANS32_DEP_1) | instskip(NEXT) | instid1(VALU_DEP_1)
	v_fma_f32 v44, -v40, v43, 1.0
	v_fmac_f32_e32 v43, v44, v43
	s_delay_alu instid0(VALU_DEP_1) | instskip(NEXT) | instid1(VALU_DEP_1)
	v_mul_f32_e32 v44, v45, v43
	v_fma_f32 v46, -v40, v44, v45
	s_delay_alu instid0(VALU_DEP_1) | instskip(NEXT) | instid1(VALU_DEP_1)
	v_fmac_f32_e32 v44, v46, v43
	v_fma_f32 v40, -v40, v44, v45
	s_delay_alu instid0(VALU_DEP_1) | instskip(SKIP_1) | instid1(VALU_DEP_2)
	v_div_fmas_f32 v40, v40, v43, v44
	v_fma_f32 v43, v32, v26, v33
	v_div_fixup_f32 v27, v40, v27, 1.0
	s_delay_alu instid0(VALU_DEP_1) | instskip(NEXT) | instid1(VALU_DEP_1)
	v_dual_fma_f32 v40, -v33, v26, v32 :: v_dual_mul_f32 v26, v43, v27
	v_mul_f32_e32 v40, v40, v27
.LBB118_24:                             ;   in Loop: Header=BB118_4 Depth=1
	s_and_not1_saveexec_b32 s35, s7
	s_cbranch_execz .LBB118_26
; %bb.25:                               ;   in Loop: Header=BB118_4 Depth=1
	v_div_scale_f32 v26, null, v41, v41, v33
	v_div_scale_f32 v27, null, v42, v42, v32
	v_div_scale_f32 v46, vcc_lo, v33, v41, v33
	s_delay_alu instid0(VALU_DEP_3) | instskip(NEXT) | instid1(VALU_DEP_2)
	v_rcp_f32_e32 v40, v26
	v_rcp_f32_e32 v43, v27
	s_delay_alu instid0(TRANS32_DEP_2) | instskip(NEXT) | instid1(TRANS32_DEP_1)
	v_fma_f32 v44, -v26, v40, 1.0
	v_fma_f32 v45, -v27, v43, 1.0
	s_delay_alu instid0(VALU_DEP_1) | instskip(SKIP_1) | instid1(VALU_DEP_1)
	v_dual_fmac_f32 v40, v44, v40 :: v_dual_fmac_f32 v43, v45, v43
	v_div_scale_f32 v44, s7, v32, v42, v32
	v_dual_mul_f32 v45, v46, v40 :: v_dual_mul_f32 v47, v44, v43
	s_delay_alu instid0(VALU_DEP_1) | instskip(NEXT) | instid1(VALU_DEP_1)
	v_dual_fma_f32 v48, -v26, v45, v46 :: v_dual_fma_f32 v49, -v27, v47, v44
	v_dual_fmac_f32 v45, v48, v40 :: v_dual_fmac_f32 v47, v49, v43
	s_delay_alu instid0(VALU_DEP_1) | instskip(NEXT) | instid1(VALU_DEP_1)
	v_dual_fma_f32 v26, -v26, v45, v46 :: v_dual_fma_f32 v27, -v27, v47, v44
	v_div_fmas_f32 v26, v26, v40, v45
	s_mov_b32 vcc_lo, s7
	s_delay_alu instid0(VALU_DEP_2) | instskip(NEXT) | instid1(VALU_DEP_2)
	v_div_fmas_f32 v27, v27, v43, v47
	v_div_fixup_f32 v26, v26, v41, v33
	s_delay_alu instid0(VALU_DEP_2)
	v_div_fixup_f32 v40, v27, v42, v32
.LBB118_26:                             ;   in Loop: Header=BB118_4 Depth=1
	s_or_b32 exec_lo, exec_lo, s35
.LBB118_27:                             ;   in Loop: Header=BB118_4 Depth=1
	s_and_not1_saveexec_b32 s7, s34
	s_cbranch_execz .LBB118_29
; %bb.28:                               ;   in Loop: Header=BB118_4 Depth=1
	v_div_scale_f32 v26, null, v39, v39, v38
	v_div_scale_f32 v43, vcc_lo, v38, v39, v38
	s_delay_alu instid0(VALU_DEP_2) | instskip(SKIP_1) | instid1(TRANS32_DEP_1)
	v_rcp_f32_e32 v27, v26
	v_nop
	v_fma_f32 v40, -v26, v27, 1.0
	s_delay_alu instid0(VALU_DEP_1) | instskip(NEXT) | instid1(VALU_DEP_1)
	v_fmac_f32_e32 v27, v40, v27
	v_mul_f32_e32 v40, v43, v27
	s_delay_alu instid0(VALU_DEP_1) | instskip(NEXT) | instid1(VALU_DEP_1)
	v_fma_f32 v44, -v26, v40, v43
	v_fmac_f32_e32 v40, v44, v27
	s_delay_alu instid0(VALU_DEP_1) | instskip(NEXT) | instid1(VALU_DEP_1)
	v_fma_f32 v26, -v26, v40, v43
	v_div_fmas_f32 v26, v26, v27, v40
	s_delay_alu instid0(VALU_DEP_1) | instskip(NEXT) | instid1(VALU_DEP_1)
	v_div_fixup_f32 v26, v26, v39, v38
	v_fma_f32 v27, v38, v26, v39
	s_delay_alu instid0(VALU_DEP_1) | instskip(SKIP_1) | instid1(VALU_DEP_2)
	v_div_scale_f32 v40, null, v27, v27, 1.0
	v_div_scale_f32 v45, vcc_lo, 1.0, v27, 1.0
	v_rcp_f32_e32 v43, v40
	v_nop
	s_delay_alu instid0(TRANS32_DEP_1) | instskip(NEXT) | instid1(VALU_DEP_1)
	v_fma_f32 v44, -v40, v43, 1.0
	v_fmac_f32_e32 v43, v44, v43
	s_delay_alu instid0(VALU_DEP_1) | instskip(NEXT) | instid1(VALU_DEP_1)
	v_mul_f32_e32 v44, v45, v43
	v_fma_f32 v46, -v40, v44, v45
	s_delay_alu instid0(VALU_DEP_1) | instskip(NEXT) | instid1(VALU_DEP_1)
	v_fmac_f32_e32 v44, v46, v43
	v_fma_f32 v40, -v40, v44, v45
	s_delay_alu instid0(VALU_DEP_1) | instskip(SKIP_1) | instid1(VALU_DEP_2)
	v_div_fmas_f32 v40, v40, v43, v44
	v_fma_f32 v43, v33, v26, v32
	v_div_fixup_f32 v27, v40, v27, 1.0
	s_delay_alu instid0(VALU_DEP_1) | instskip(NEXT) | instid1(VALU_DEP_1)
	v_dual_fma_f32 v40, v32, v26, -v33 :: v_dual_mul_f32 v26, v43, v27
	v_mul_f32_e32 v40, v40, v27
.LBB118_29:                             ;   in Loop: Header=BB118_4 Depth=1
	s_or_b32 exec_lo, exec_lo, s7
	v_mov_b64_e32 v[44:45], s[8:9]
	v_mov_b64_e32 v[46:47], s[22:23]
	s_mov_b32 s7, 0
	s_delay_alu instid0(VALU_DEP_2) | instskip(NEXT) | instid1(VALU_DEP_2)
	v_pk_mul_f32 v[44:45], v[40:41], v[44:45] op_sel_hi:[0,1]
	v_pk_mul_f32 v[48:49], v[26:27], v[46:47] op_sel_hi:[0,1]
	s_delay_alu instid0(VALU_DEP_2) | instskip(NEXT) | instid1(VALU_DEP_2)
	v_pk_fma_f32 v[26:27], v[26:27], v[46:47], v[44:45] op_sel_hi:[0,1,1] neg_lo:[0,0,1] neg_hi:[0,0,1]
	v_add_f32_e32 v26, v48, v44
.LBB118_30:                             ;   in Loop: Header=BB118_4 Depth=1
	s_and_b32 vcc_lo, exec_lo, s7
	s_cbranch_vccz .LBB118_40
; %bb.31:                               ;   in Loop: Header=BB118_4 Depth=1
                                        ; implicit-def: $vgpr27
	s_and_saveexec_b32 s7, s6
	s_delay_alu instid0(SALU_CYCLE_1)
	s_xor_b32 s7, exec_lo, s7
	s_cbranch_execz .LBB118_37
; %bb.32:                               ;   in Loop: Header=BB118_4 Depth=1
	v_cmp_neq_f32_e32 vcc_lo, 0, v38
	v_cmp_neq_f32_e64 s6, 0, v39
                                        ; implicit-def: $vgpr27
	s_or_b32 s6, s6, vcc_lo
	s_delay_alu instid0(SALU_CYCLE_1) | instskip(NEXT) | instid1(SALU_CYCLE_1)
	s_and_saveexec_b32 s34, s6
	s_xor_b32 s6, exec_lo, s34
	s_cbranch_execz .LBB118_34
; %bb.33:                               ;   in Loop: Header=BB118_4 Depth=1
	v_div_scale_f32 v26, null, v38, v38, v39
	v_div_scale_f32 v41, vcc_lo, v39, v38, v39
	s_delay_alu instid0(VALU_DEP_2) | instskip(SKIP_1) | instid1(TRANS32_DEP_1)
	v_rcp_f32_e32 v27, v26
	v_nop
	v_fma_f32 v40, -v26, v27, 1.0
	s_delay_alu instid0(VALU_DEP_1) | instskip(NEXT) | instid1(VALU_DEP_1)
	v_fmac_f32_e32 v27, v40, v27
	v_mul_f32_e32 v40, v41, v27
	s_delay_alu instid0(VALU_DEP_1) | instskip(NEXT) | instid1(VALU_DEP_1)
	v_fma_f32 v42, -v26, v40, v41
	v_fmac_f32_e32 v40, v42, v27
	s_delay_alu instid0(VALU_DEP_1) | instskip(NEXT) | instid1(VALU_DEP_1)
	v_fma_f32 v26, -v26, v40, v41
	v_div_fmas_f32 v26, v26, v27, v40
	s_delay_alu instid0(VALU_DEP_1) | instskip(NEXT) | instid1(VALU_DEP_1)
	v_div_fixup_f32 v26, v26, v38, v39
	v_fmac_f32_e32 v38, v39, v26
	s_delay_alu instid0(VALU_DEP_1) | instskip(SKIP_1) | instid1(VALU_DEP_2)
	v_div_scale_f32 v27, null, v38, v38, 1.0
	v_div_scale_f32 v41, vcc_lo, 1.0, v38, 1.0
	v_rcp_f32_e32 v39, v27
	v_nop
	s_delay_alu instid0(TRANS32_DEP_1) | instskip(NEXT) | instid1(VALU_DEP_1)
	v_fma_f32 v40, -v27, v39, 1.0
	v_fmac_f32_e32 v39, v40, v39
	s_delay_alu instid0(VALU_DEP_1) | instskip(NEXT) | instid1(VALU_DEP_1)
	v_mul_f32_e32 v40, v41, v39
	v_fma_f32 v42, -v27, v40, v41
	s_delay_alu instid0(VALU_DEP_1) | instskip(NEXT) | instid1(VALU_DEP_1)
	v_fmac_f32_e32 v40, v42, v39
                                        ; implicit-def: $vgpr42
	v_fma_f32 v27, -v27, v40, v41
	s_delay_alu instid0(VALU_DEP_1) | instskip(SKIP_2) | instid1(VALU_DEP_3)
	v_div_fmas_f32 v39, v27, v39, v40
	v_pk_fma_f32 v[40:41], v[32:33], v[26:27], v[32:33] op_sel:[1,0,0] op_sel_hi:[0,0,1]
	v_pk_fma_f32 v[26:27], v[32:33], v[26:27], v[32:33] op_sel:[1,0,0] op_sel_hi:[0,1,1] neg_lo:[1,0,0] neg_hi:[1,0,0]
	v_div_fixup_f32 v32, v39, v38, 1.0
	s_delay_alu instid0(VALU_DEP_3) | instskip(NEXT) | instid1(VALU_DEP_1)
	v_mov_b32_e32 v27, v41
                                        ; implicit-def: $vgpr41
	v_pk_mul_f32 v[26:27], v[26:27], v[32:33] op_sel_hi:[1,0]
                                        ; implicit-def: $vgpr32_vgpr33
.LBB118_34:                             ;   in Loop: Header=BB118_4 Depth=1
	s_and_not1_saveexec_b32 s34, s6
	s_cbranch_execz .LBB118_36
; %bb.35:                               ;   in Loop: Header=BB118_4 Depth=1
	v_div_scale_f32 v26, null, v42, v42, v32
	v_div_scale_f32 v27, null, v41, v41, v33
	v_div_scale_f32 v44, vcc_lo, v32, v42, v32
	s_delay_alu instid0(VALU_DEP_3) | instskip(NEXT) | instid1(VALU_DEP_2)
	v_rcp_f32_e32 v38, v26
	v_rcp_f32_e32 v39, v27
	s_delay_alu instid0(TRANS32_DEP_2) | instskip(NEXT) | instid1(TRANS32_DEP_1)
	v_fma_f32 v40, -v26, v38, 1.0
	v_fma_f32 v43, -v27, v39, 1.0
	s_delay_alu instid0(VALU_DEP_1) | instskip(SKIP_1) | instid1(VALU_DEP_1)
	v_dual_fmac_f32 v38, v40, v38 :: v_dual_fmac_f32 v39, v43, v39
	v_div_scale_f32 v40, s6, v33, v41, v33
	v_mul_f32_e32 v45, v40, v39
	s_delay_alu instid0(VALU_DEP_1) | instskip(NEXT) | instid1(VALU_DEP_1)
	v_dual_mul_f32 v43, v44, v38 :: v_dual_fma_f32 v47, -v27, v45, v40
	v_fma_f32 v46, -v26, v43, v44
	s_delay_alu instid0(VALU_DEP_1) | instskip(NEXT) | instid1(VALU_DEP_1)
	v_dual_fmac_f32 v43, v46, v38 :: v_dual_fmac_f32 v45, v47, v39
	v_fma_f32 v26, -v26, v43, v44
	s_delay_alu instid0(VALU_DEP_2) | instskip(NEXT) | instid1(VALU_DEP_2)
	v_fma_f32 v27, -v27, v45, v40
	v_div_fmas_f32 v26, v26, v38, v43
	s_mov_b32 vcc_lo, s6
	s_delay_alu instid0(VALU_DEP_2) | instskip(NEXT) | instid1(VALU_DEP_2)
	v_div_fmas_f32 v27, v27, v39, v45
	v_div_fixup_f32 v26, v26, v42, v32
	s_delay_alu instid0(VALU_DEP_2)
	v_div_fixup_f32 v27, v27, v41, v33
.LBB118_36:                             ;   in Loop: Header=BB118_4 Depth=1
	s_or_b32 exec_lo, exec_lo, s34
                                        ; implicit-def: $vgpr39
                                        ; implicit-def: $vgpr32_vgpr33
.LBB118_37:                             ;   in Loop: Header=BB118_4 Depth=1
	s_and_not1_saveexec_b32 s6, s7
	s_cbranch_execz .LBB118_39
; %bb.38:                               ;   in Loop: Header=BB118_4 Depth=1
	v_div_scale_f32 v26, null, v39, v39, v38
	v_div_scale_f32 v41, vcc_lo, v38, v39, v38
	s_delay_alu instid0(VALU_DEP_2) | instskip(SKIP_1) | instid1(TRANS32_DEP_1)
	v_rcp_f32_e32 v27, v26
	v_nop
	v_fma_f32 v40, -v26, v27, 1.0
	s_delay_alu instid0(VALU_DEP_1) | instskip(NEXT) | instid1(VALU_DEP_1)
	v_fmac_f32_e32 v27, v40, v27
	v_mul_f32_e32 v40, v41, v27
	s_delay_alu instid0(VALU_DEP_1) | instskip(NEXT) | instid1(VALU_DEP_1)
	v_fma_f32 v42, -v26, v40, v41
	v_fmac_f32_e32 v40, v42, v27
	s_delay_alu instid0(VALU_DEP_1) | instskip(NEXT) | instid1(VALU_DEP_1)
	v_fma_f32 v26, -v26, v40, v41
	v_div_fmas_f32 v26, v26, v27, v40
	s_delay_alu instid0(VALU_DEP_1) | instskip(NEXT) | instid1(VALU_DEP_1)
	v_div_fixup_f32 v26, v26, v39, v38
	v_fmac_f32_e32 v39, v38, v26
	s_delay_alu instid0(VALU_DEP_1) | instskip(SKIP_1) | instid1(VALU_DEP_2)
	v_div_scale_f32 v27, null, v39, v39, 1.0
	v_div_scale_f32 v41, vcc_lo, 1.0, v39, 1.0
	v_rcp_f32_e32 v38, v27
	v_nop
	s_delay_alu instid0(TRANS32_DEP_1) | instskip(NEXT) | instid1(VALU_DEP_1)
	v_fma_f32 v40, -v27, v38, 1.0
	v_fmac_f32_e32 v38, v40, v38
	s_delay_alu instid0(VALU_DEP_1) | instskip(NEXT) | instid1(VALU_DEP_1)
	v_mul_f32_e32 v40, v41, v38
	v_fma_f32 v42, -v27, v40, v41
	s_delay_alu instid0(VALU_DEP_1) | instskip(NEXT) | instid1(VALU_DEP_1)
	v_fmac_f32_e32 v40, v42, v38
	v_fma_f32 v27, -v27, v40, v41
	s_delay_alu instid0(VALU_DEP_1) | instskip(SKIP_2) | instid1(VALU_DEP_3)
	v_div_fmas_f32 v38, v27, v38, v40
	v_pk_fma_f32 v[40:41], v[32:33], v[26:27], v[32:33] op_sel:[0,0,1] op_sel_hi:[1,0,0]
	v_pk_fma_f32 v[26:27], v[32:33], v[26:27], v[32:33] op_sel:[0,0,1] op_sel_hi:[1,1,0] neg_lo:[0,0,1] neg_hi:[0,0,1]
	v_div_fixup_f32 v32, v38, v39, 1.0
	s_delay_alu instid0(VALU_DEP_3) | instskip(NEXT) | instid1(VALU_DEP_1)
	v_mov_b32_e32 v27, v41
	v_pk_mul_f32 v[26:27], v[26:27], v[32:33] op_sel_hi:[1,0]
.LBB118_39:                             ;   in Loop: Header=BB118_4 Depth=1
	s_or_b32 exec_lo, exec_lo, s6
.LBB118_40:                             ;   in Loop: Header=BB118_4 Depth=1
	v_cmp_gt_f32_e32 vcc_lo, 0, v36
	s_mov_b32 s7, -1
                                        ; implicit-def: $vgpr33
	v_cndmask_b32_e64 v39, v36, -v36, vcc_lo
	v_cmp_gt_f32_e32 vcc_lo, 0, v37
	v_cndmask_b32_e64 v40, v37, -v37, vcc_lo
	s_and_not1_b32 vcc_lo, exec_lo, s33
	s_delay_alu instid0(VALU_DEP_1)
	v_cmp_ge_f32_e64 s6, v39, v40
	s_cbranch_vccnz .LBB118_50
; %bb.41:                               ;   in Loop: Header=BB118_4 Depth=1
                                        ; implicit-def: $vgpr38
                                        ; implicit-def: $vgpr32
	s_and_saveexec_b32 s7, s6
	s_delay_alu instid0(SALU_CYCLE_1)
	s_xor_b32 s34, exec_lo, s7
	s_cbranch_execz .LBB118_47
; %bb.42:                               ;   in Loop: Header=BB118_4 Depth=1
	v_cmp_neq_f32_e32 vcc_lo, 0, v36
	v_cmp_neq_f32_e64 s7, 0, v37
                                        ; implicit-def: $vgpr38
                                        ; implicit-def: $vgpr32
	s_or_b32 s7, s7, vcc_lo
	s_delay_alu instid0(SALU_CYCLE_1) | instskip(NEXT) | instid1(SALU_CYCLE_1)
	s_and_saveexec_b32 s35, s7
	s_xor_b32 s7, exec_lo, s35
	s_cbranch_execz .LBB118_44
; %bb.43:                               ;   in Loop: Header=BB118_4 Depth=1
	v_div_scale_f32 v32, null, v36, v36, v37
	v_div_scale_f32 v41, vcc_lo, v37, v36, v37
	s_delay_alu instid0(VALU_DEP_2) | instskip(SKIP_1) | instid1(TRANS32_DEP_1)
	v_rcp_f32_e32 v33, v32
	v_nop
	v_fma_f32 v38, -v32, v33, 1.0
	s_delay_alu instid0(VALU_DEP_1) | instskip(NEXT) | instid1(VALU_DEP_1)
	v_fmac_f32_e32 v33, v38, v33
	v_mul_f32_e32 v38, v41, v33
	s_delay_alu instid0(VALU_DEP_1) | instskip(NEXT) | instid1(VALU_DEP_1)
	v_fma_f32 v42, -v32, v38, v41
	v_fmac_f32_e32 v38, v42, v33
	s_delay_alu instid0(VALU_DEP_1) | instskip(NEXT) | instid1(VALU_DEP_1)
	v_fma_f32 v32, -v32, v38, v41
	v_div_fmas_f32 v32, v32, v33, v38
	s_delay_alu instid0(VALU_DEP_1) | instskip(NEXT) | instid1(VALU_DEP_1)
	v_div_fixup_f32 v32, v32, v36, v37
	v_fma_f32 v33, v37, v32, v36
	s_delay_alu instid0(VALU_DEP_1) | instskip(SKIP_1) | instid1(VALU_DEP_2)
	v_div_scale_f32 v38, null, v33, v33, 1.0
	v_div_scale_f32 v43, vcc_lo, 1.0, v33, 1.0
	v_rcp_f32_e32 v41, v38
	v_nop
	s_delay_alu instid0(TRANS32_DEP_1) | instskip(NEXT) | instid1(VALU_DEP_1)
	v_fma_f32 v42, -v38, v41, 1.0
	v_fmac_f32_e32 v41, v42, v41
	s_delay_alu instid0(VALU_DEP_1) | instskip(NEXT) | instid1(VALU_DEP_1)
	v_mul_f32_e32 v42, v43, v41
	v_fma_f32 v44, -v38, v42, v43
	s_delay_alu instid0(VALU_DEP_1) | instskip(NEXT) | instid1(VALU_DEP_1)
	v_fmac_f32_e32 v42, v44, v41
	v_fma_f32 v38, -v38, v42, v43
	s_delay_alu instid0(VALU_DEP_1) | instskip(SKIP_1) | instid1(VALU_DEP_2)
	v_div_fmas_f32 v38, v38, v41, v42
	v_fma_f32 v41, v34, v32, v35
	v_div_fixup_f32 v33, v38, v33, 1.0
	s_delay_alu instid0(VALU_DEP_1) | instskip(NEXT) | instid1(VALU_DEP_1)
	v_dual_fma_f32 v38, -v35, v32, v34 :: v_dual_mul_f32 v32, v41, v33
	v_mul_f32_e32 v38, v38, v33
.LBB118_44:                             ;   in Loop: Header=BB118_4 Depth=1
	s_and_not1_saveexec_b32 s35, s7
	s_cbranch_execz .LBB118_46
; %bb.45:                               ;   in Loop: Header=BB118_4 Depth=1
	v_div_scale_f32 v32, null, v39, v39, v35
	v_div_scale_f32 v33, null, v40, v40, v34
	v_div_scale_f32 v44, vcc_lo, v35, v39, v35
	s_delay_alu instid0(VALU_DEP_3) | instskip(NEXT) | instid1(VALU_DEP_2)
	v_rcp_f32_e32 v38, v32
	v_rcp_f32_e32 v41, v33
	s_delay_alu instid0(TRANS32_DEP_2) | instskip(NEXT) | instid1(TRANS32_DEP_1)
	v_fma_f32 v42, -v32, v38, 1.0
	v_fma_f32 v43, -v33, v41, 1.0
	s_delay_alu instid0(VALU_DEP_1) | instskip(SKIP_1) | instid1(VALU_DEP_1)
	v_dual_fmac_f32 v38, v42, v38 :: v_dual_fmac_f32 v41, v43, v41
	v_div_scale_f32 v42, s7, v34, v40, v34
	v_dual_mul_f32 v43, v44, v38 :: v_dual_mul_f32 v45, v42, v41
	s_delay_alu instid0(VALU_DEP_1) | instskip(NEXT) | instid1(VALU_DEP_1)
	v_dual_fma_f32 v46, -v32, v43, v44 :: v_dual_fma_f32 v47, -v33, v45, v42
	v_dual_fmac_f32 v43, v46, v38 :: v_dual_fmac_f32 v45, v47, v41
	s_delay_alu instid0(VALU_DEP_1) | instskip(NEXT) | instid1(VALU_DEP_1)
	v_dual_fma_f32 v32, -v32, v43, v44 :: v_dual_fma_f32 v33, -v33, v45, v42
	v_div_fmas_f32 v32, v32, v38, v43
	s_mov_b32 vcc_lo, s7
	s_delay_alu instid0(VALU_DEP_2) | instskip(NEXT) | instid1(VALU_DEP_2)
	v_div_fmas_f32 v33, v33, v41, v45
	v_div_fixup_f32 v32, v32, v39, v35
	s_delay_alu instid0(VALU_DEP_2)
	v_div_fixup_f32 v38, v33, v40, v34
.LBB118_46:                             ;   in Loop: Header=BB118_4 Depth=1
	s_or_b32 exec_lo, exec_lo, s35
.LBB118_47:                             ;   in Loop: Header=BB118_4 Depth=1
	s_and_not1_saveexec_b32 s7, s34
	s_cbranch_execz .LBB118_49
; %bb.48:                               ;   in Loop: Header=BB118_4 Depth=1
	v_div_scale_f32 v32, null, v37, v37, v36
	v_div_scale_f32 v41, vcc_lo, v36, v37, v36
	s_delay_alu instid0(VALU_DEP_2) | instskip(SKIP_1) | instid1(TRANS32_DEP_1)
	v_rcp_f32_e32 v33, v32
	v_nop
	v_fma_f32 v38, -v32, v33, 1.0
	s_delay_alu instid0(VALU_DEP_1) | instskip(NEXT) | instid1(VALU_DEP_1)
	v_fmac_f32_e32 v33, v38, v33
	v_mul_f32_e32 v38, v41, v33
	s_delay_alu instid0(VALU_DEP_1) | instskip(NEXT) | instid1(VALU_DEP_1)
	v_fma_f32 v42, -v32, v38, v41
	v_fmac_f32_e32 v38, v42, v33
	s_delay_alu instid0(VALU_DEP_1) | instskip(NEXT) | instid1(VALU_DEP_1)
	v_fma_f32 v32, -v32, v38, v41
	v_div_fmas_f32 v32, v32, v33, v38
	s_delay_alu instid0(VALU_DEP_1) | instskip(NEXT) | instid1(VALU_DEP_1)
	v_div_fixup_f32 v32, v32, v37, v36
	v_fma_f32 v33, v36, v32, v37
	s_delay_alu instid0(VALU_DEP_1) | instskip(SKIP_1) | instid1(VALU_DEP_2)
	v_div_scale_f32 v38, null, v33, v33, 1.0
	v_div_scale_f32 v43, vcc_lo, 1.0, v33, 1.0
	v_rcp_f32_e32 v41, v38
	v_nop
	s_delay_alu instid0(TRANS32_DEP_1) | instskip(NEXT) | instid1(VALU_DEP_1)
	v_fma_f32 v42, -v38, v41, 1.0
	v_fmac_f32_e32 v41, v42, v41
	s_delay_alu instid0(VALU_DEP_1) | instskip(NEXT) | instid1(VALU_DEP_1)
	v_mul_f32_e32 v42, v43, v41
	v_fma_f32 v44, -v38, v42, v43
	s_delay_alu instid0(VALU_DEP_1) | instskip(NEXT) | instid1(VALU_DEP_1)
	v_fmac_f32_e32 v42, v44, v41
	v_fma_f32 v38, -v38, v42, v43
	s_delay_alu instid0(VALU_DEP_1) | instskip(SKIP_1) | instid1(VALU_DEP_2)
	v_div_fmas_f32 v38, v38, v41, v42
	v_fma_f32 v41, v35, v32, v34
	v_div_fixup_f32 v33, v38, v33, 1.0
	s_delay_alu instid0(VALU_DEP_1) | instskip(NEXT) | instid1(VALU_DEP_1)
	v_dual_fma_f32 v38, v34, v32, -v35 :: v_dual_mul_f32 v32, v41, v33
	v_mul_f32_e32 v38, v38, v33
.LBB118_49:                             ;   in Loop: Header=BB118_4 Depth=1
	s_or_b32 exec_lo, exec_lo, s7
	v_mov_b64_e32 v[42:43], s[8:9]
	v_mov_b64_e32 v[44:45], s[22:23]
	s_mov_b32 s7, 0
	s_delay_alu instid0(VALU_DEP_2) | instskip(NEXT) | instid1(VALU_DEP_2)
	v_pk_mul_f32 v[42:43], v[38:39], v[42:43] op_sel_hi:[0,1]
	v_pk_mul_f32 v[46:47], v[32:33], v[44:45] op_sel_hi:[0,1]
	s_delay_alu instid0(VALU_DEP_2) | instskip(NEXT) | instid1(VALU_DEP_2)
	v_pk_fma_f32 v[32:33], v[32:33], v[44:45], v[42:43] op_sel_hi:[0,1,1] neg_lo:[0,0,1] neg_hi:[0,0,1]
	v_add_f32_e32 v32, v46, v42
.LBB118_50:                             ;   in Loop: Header=BB118_4 Depth=1
	s_and_b32 vcc_lo, exec_lo, s7
	s_cbranch_vccz .LBB118_60
; %bb.51:                               ;   in Loop: Header=BB118_4 Depth=1
                                        ; implicit-def: $vgpr33
	s_and_saveexec_b32 s7, s6
	s_delay_alu instid0(SALU_CYCLE_1)
	s_xor_b32 s7, exec_lo, s7
	s_cbranch_execz .LBB118_57
; %bb.52:                               ;   in Loop: Header=BB118_4 Depth=1
	v_cmp_neq_f32_e32 vcc_lo, 0, v36
	v_cmp_neq_f32_e64 s6, 0, v37
                                        ; implicit-def: $vgpr33
	s_or_b32 s6, s6, vcc_lo
	s_delay_alu instid0(SALU_CYCLE_1) | instskip(NEXT) | instid1(SALU_CYCLE_1)
	s_and_saveexec_b32 s34, s6
	s_xor_b32 s6, exec_lo, s34
	s_cbranch_execz .LBB118_54
; %bb.53:                               ;   in Loop: Header=BB118_4 Depth=1
	v_div_scale_f32 v32, null, v36, v36, v37
	v_div_scale_f32 v39, vcc_lo, v37, v36, v37
	s_delay_alu instid0(VALU_DEP_2) | instskip(SKIP_1) | instid1(TRANS32_DEP_1)
	v_rcp_f32_e32 v33, v32
	v_nop
	v_fma_f32 v38, -v32, v33, 1.0
	s_delay_alu instid0(VALU_DEP_1) | instskip(NEXT) | instid1(VALU_DEP_1)
	v_fmac_f32_e32 v33, v38, v33
	v_mul_f32_e32 v38, v39, v33
	s_delay_alu instid0(VALU_DEP_1) | instskip(NEXT) | instid1(VALU_DEP_1)
	v_fma_f32 v40, -v32, v38, v39
	v_fmac_f32_e32 v38, v40, v33
	s_delay_alu instid0(VALU_DEP_1) | instskip(NEXT) | instid1(VALU_DEP_1)
	v_fma_f32 v32, -v32, v38, v39
	v_div_fmas_f32 v32, v32, v33, v38
	s_delay_alu instid0(VALU_DEP_1) | instskip(NEXT) | instid1(VALU_DEP_1)
	v_div_fixup_f32 v32, v32, v36, v37
	v_fmac_f32_e32 v36, v37, v32
	s_delay_alu instid0(VALU_DEP_1) | instskip(SKIP_1) | instid1(VALU_DEP_2)
	v_div_scale_f32 v33, null, v36, v36, 1.0
	v_div_scale_f32 v39, vcc_lo, 1.0, v36, 1.0
	v_rcp_f32_e32 v37, v33
	v_nop
	s_delay_alu instid0(TRANS32_DEP_1) | instskip(NEXT) | instid1(VALU_DEP_1)
	v_fma_f32 v38, -v33, v37, 1.0
	v_fmac_f32_e32 v37, v38, v37
	s_delay_alu instid0(VALU_DEP_1) | instskip(NEXT) | instid1(VALU_DEP_1)
	v_mul_f32_e32 v38, v39, v37
	v_fma_f32 v40, -v33, v38, v39
	s_delay_alu instid0(VALU_DEP_1) | instskip(NEXT) | instid1(VALU_DEP_1)
	v_fmac_f32_e32 v38, v40, v37
                                        ; implicit-def: $vgpr40
	v_fma_f32 v33, -v33, v38, v39
	s_delay_alu instid0(VALU_DEP_1) | instskip(SKIP_2) | instid1(VALU_DEP_3)
	v_div_fmas_f32 v37, v33, v37, v38
	v_pk_fma_f32 v[38:39], v[34:35], v[32:33], v[34:35] op_sel:[1,0,0] op_sel_hi:[0,0,1]
	v_pk_fma_f32 v[32:33], v[34:35], v[32:33], v[34:35] op_sel:[1,0,0] op_sel_hi:[0,1,1] neg_lo:[1,0,0] neg_hi:[1,0,0]
	v_div_fixup_f32 v34, v37, v36, 1.0
	s_delay_alu instid0(VALU_DEP_3) | instskip(NEXT) | instid1(VALU_DEP_1)
	v_mov_b32_e32 v33, v39
                                        ; implicit-def: $vgpr39
	v_pk_mul_f32 v[32:33], v[32:33], v[34:35] op_sel_hi:[1,0]
                                        ; implicit-def: $vgpr34_vgpr35
.LBB118_54:                             ;   in Loop: Header=BB118_4 Depth=1
	s_and_not1_saveexec_b32 s34, s6
	s_cbranch_execz .LBB118_56
; %bb.55:                               ;   in Loop: Header=BB118_4 Depth=1
	v_div_scale_f32 v32, null, v40, v40, v34
	v_div_scale_f32 v33, null, v39, v39, v35
	v_div_scale_f32 v42, vcc_lo, v34, v40, v34
	s_delay_alu instid0(VALU_DEP_3) | instskip(NEXT) | instid1(VALU_DEP_2)
	v_rcp_f32_e32 v36, v32
	v_rcp_f32_e32 v37, v33
	s_delay_alu instid0(TRANS32_DEP_2) | instskip(NEXT) | instid1(TRANS32_DEP_1)
	v_fma_f32 v38, -v32, v36, 1.0
	v_fma_f32 v41, -v33, v37, 1.0
	s_delay_alu instid0(VALU_DEP_1) | instskip(SKIP_1) | instid1(VALU_DEP_1)
	v_dual_fmac_f32 v36, v38, v36 :: v_dual_fmac_f32 v37, v41, v37
	v_div_scale_f32 v38, s6, v35, v39, v35
	v_mul_f32_e32 v43, v38, v37
	s_delay_alu instid0(VALU_DEP_1) | instskip(NEXT) | instid1(VALU_DEP_1)
	v_dual_mul_f32 v41, v42, v36 :: v_dual_fma_f32 v45, -v33, v43, v38
	v_fma_f32 v44, -v32, v41, v42
	s_delay_alu instid0(VALU_DEP_1) | instskip(NEXT) | instid1(VALU_DEP_1)
	v_dual_fmac_f32 v41, v44, v36 :: v_dual_fmac_f32 v43, v45, v37
	v_fma_f32 v32, -v32, v41, v42
	s_delay_alu instid0(VALU_DEP_2) | instskip(NEXT) | instid1(VALU_DEP_2)
	v_fma_f32 v33, -v33, v43, v38
	v_div_fmas_f32 v32, v32, v36, v41
	s_mov_b32 vcc_lo, s6
	s_delay_alu instid0(VALU_DEP_2) | instskip(NEXT) | instid1(VALU_DEP_2)
	v_div_fmas_f32 v33, v33, v37, v43
	v_div_fixup_f32 v32, v32, v40, v34
	s_delay_alu instid0(VALU_DEP_2)
	v_div_fixup_f32 v33, v33, v39, v35
.LBB118_56:                             ;   in Loop: Header=BB118_4 Depth=1
	s_or_b32 exec_lo, exec_lo, s34
                                        ; implicit-def: $vgpr37
                                        ; implicit-def: $vgpr34_vgpr35
.LBB118_57:                             ;   in Loop: Header=BB118_4 Depth=1
	s_and_not1_saveexec_b32 s6, s7
	s_cbranch_execz .LBB118_59
; %bb.58:                               ;   in Loop: Header=BB118_4 Depth=1
	v_div_scale_f32 v32, null, v37, v37, v36
	v_div_scale_f32 v39, vcc_lo, v36, v37, v36
	s_delay_alu instid0(VALU_DEP_2) | instskip(SKIP_1) | instid1(TRANS32_DEP_1)
	v_rcp_f32_e32 v33, v32
	v_nop
	v_fma_f32 v38, -v32, v33, 1.0
	s_delay_alu instid0(VALU_DEP_1) | instskip(NEXT) | instid1(VALU_DEP_1)
	v_fmac_f32_e32 v33, v38, v33
	v_mul_f32_e32 v38, v39, v33
	s_delay_alu instid0(VALU_DEP_1) | instskip(NEXT) | instid1(VALU_DEP_1)
	v_fma_f32 v40, -v32, v38, v39
	v_fmac_f32_e32 v38, v40, v33
	s_delay_alu instid0(VALU_DEP_1) | instskip(NEXT) | instid1(VALU_DEP_1)
	v_fma_f32 v32, -v32, v38, v39
	v_div_fmas_f32 v32, v32, v33, v38
	s_delay_alu instid0(VALU_DEP_1) | instskip(NEXT) | instid1(VALU_DEP_1)
	v_div_fixup_f32 v32, v32, v37, v36
	v_fmac_f32_e32 v37, v36, v32
	s_delay_alu instid0(VALU_DEP_1) | instskip(SKIP_1) | instid1(VALU_DEP_2)
	v_div_scale_f32 v33, null, v37, v37, 1.0
	v_div_scale_f32 v39, vcc_lo, 1.0, v37, 1.0
	v_rcp_f32_e32 v36, v33
	v_nop
	s_delay_alu instid0(TRANS32_DEP_1) | instskip(NEXT) | instid1(VALU_DEP_1)
	v_fma_f32 v38, -v33, v36, 1.0
	v_fmac_f32_e32 v36, v38, v36
	s_delay_alu instid0(VALU_DEP_1) | instskip(NEXT) | instid1(VALU_DEP_1)
	v_mul_f32_e32 v38, v39, v36
	v_fma_f32 v40, -v33, v38, v39
	s_delay_alu instid0(VALU_DEP_1) | instskip(NEXT) | instid1(VALU_DEP_1)
	v_fmac_f32_e32 v38, v40, v36
	v_fma_f32 v33, -v33, v38, v39
	s_delay_alu instid0(VALU_DEP_1) | instskip(SKIP_2) | instid1(VALU_DEP_3)
	v_div_fmas_f32 v36, v33, v36, v38
	v_pk_fma_f32 v[38:39], v[34:35], v[32:33], v[34:35] op_sel:[0,0,1] op_sel_hi:[1,0,0]
	v_pk_fma_f32 v[32:33], v[34:35], v[32:33], v[34:35] op_sel:[0,0,1] op_sel_hi:[1,1,0] neg_lo:[0,0,1] neg_hi:[0,0,1]
	v_div_fixup_f32 v34, v36, v37, 1.0
	s_delay_alu instid0(VALU_DEP_3) | instskip(NEXT) | instid1(VALU_DEP_1)
	v_mov_b32_e32 v33, v39
	v_pk_mul_f32 v[32:33], v[32:33], v[34:35] op_sel_hi:[1,0]
.LBB118_59:                             ;   in Loop: Header=BB118_4 Depth=1
	s_or_b32 exec_lo, exec_lo, s6
.LBB118_60:                             ;   in Loop: Header=BB118_4 Depth=1
	v_cmp_gt_f32_e32 vcc_lo, 0, v30
	s_mov_b32 s7, -1
                                        ; implicit-def: $vgpr35
	v_cndmask_b32_e64 v37, v30, -v30, vcc_lo
	v_cmp_gt_f32_e32 vcc_lo, 0, v31
	v_cndmask_b32_e64 v38, v31, -v31, vcc_lo
	s_and_not1_b32 vcc_lo, exec_lo, s33
	s_delay_alu instid0(VALU_DEP_1)
	v_cmp_ge_f32_e64 s6, v37, v38
	s_cbranch_vccnz .LBB118_70
; %bb.61:                               ;   in Loop: Header=BB118_4 Depth=1
                                        ; implicit-def: $vgpr36
                                        ; implicit-def: $vgpr34
	s_and_saveexec_b32 s7, s6
	s_delay_alu instid0(SALU_CYCLE_1)
	s_xor_b32 s34, exec_lo, s7
	s_cbranch_execz .LBB118_67
; %bb.62:                               ;   in Loop: Header=BB118_4 Depth=1
	v_cmp_neq_f32_e32 vcc_lo, 0, v30
	v_cmp_neq_f32_e64 s7, 0, v31
                                        ; implicit-def: $vgpr36
                                        ; implicit-def: $vgpr34
	s_or_b32 s7, s7, vcc_lo
	s_delay_alu instid0(SALU_CYCLE_1) | instskip(NEXT) | instid1(SALU_CYCLE_1)
	s_and_saveexec_b32 s35, s7
	s_xor_b32 s7, exec_lo, s35
	s_cbranch_execz .LBB118_64
; %bb.63:                               ;   in Loop: Header=BB118_4 Depth=1
	v_div_scale_f32 v34, null, v30, v30, v31
	v_div_scale_f32 v39, vcc_lo, v31, v30, v31
	s_delay_alu instid0(VALU_DEP_2) | instskip(SKIP_1) | instid1(TRANS32_DEP_1)
	v_rcp_f32_e32 v35, v34
	v_nop
	v_fma_f32 v36, -v34, v35, 1.0
	s_delay_alu instid0(VALU_DEP_1) | instskip(NEXT) | instid1(VALU_DEP_1)
	v_fmac_f32_e32 v35, v36, v35
	v_mul_f32_e32 v36, v39, v35
	s_delay_alu instid0(VALU_DEP_1) | instskip(NEXT) | instid1(VALU_DEP_1)
	v_fma_f32 v40, -v34, v36, v39
	v_fmac_f32_e32 v36, v40, v35
	s_delay_alu instid0(VALU_DEP_1) | instskip(NEXT) | instid1(VALU_DEP_1)
	v_fma_f32 v34, -v34, v36, v39
	v_div_fmas_f32 v34, v34, v35, v36
	s_delay_alu instid0(VALU_DEP_1) | instskip(NEXT) | instid1(VALU_DEP_1)
	v_div_fixup_f32 v34, v34, v30, v31
	v_fma_f32 v35, v31, v34, v30
	s_delay_alu instid0(VALU_DEP_1) | instskip(SKIP_1) | instid1(VALU_DEP_2)
	v_div_scale_f32 v36, null, v35, v35, 1.0
	v_div_scale_f32 v41, vcc_lo, 1.0, v35, 1.0
	v_rcp_f32_e32 v39, v36
	v_nop
	s_delay_alu instid0(TRANS32_DEP_1) | instskip(NEXT) | instid1(VALU_DEP_1)
	v_fma_f32 v40, -v36, v39, 1.0
	v_fmac_f32_e32 v39, v40, v39
	s_delay_alu instid0(VALU_DEP_1) | instskip(NEXT) | instid1(VALU_DEP_1)
	v_mul_f32_e32 v40, v41, v39
	v_fma_f32 v42, -v36, v40, v41
	s_delay_alu instid0(VALU_DEP_1) | instskip(NEXT) | instid1(VALU_DEP_1)
	v_fmac_f32_e32 v40, v42, v39
	v_fma_f32 v36, -v36, v40, v41
	s_delay_alu instid0(VALU_DEP_1) | instskip(SKIP_1) | instid1(VALU_DEP_2)
	v_div_fmas_f32 v36, v36, v39, v40
	v_fma_f32 v39, v28, v34, v29
	v_div_fixup_f32 v35, v36, v35, 1.0
	s_delay_alu instid0(VALU_DEP_1) | instskip(NEXT) | instid1(VALU_DEP_1)
	v_dual_fma_f32 v36, -v29, v34, v28 :: v_dual_mul_f32 v34, v39, v35
	v_mul_f32_e32 v36, v36, v35
.LBB118_64:                             ;   in Loop: Header=BB118_4 Depth=1
	s_and_not1_saveexec_b32 s35, s7
	s_cbranch_execz .LBB118_66
; %bb.65:                               ;   in Loop: Header=BB118_4 Depth=1
	v_div_scale_f32 v34, null, v37, v37, v29
	v_div_scale_f32 v35, null, v38, v38, v28
	v_div_scale_f32 v42, vcc_lo, v29, v37, v29
	s_delay_alu instid0(VALU_DEP_3) | instskip(NEXT) | instid1(VALU_DEP_2)
	v_rcp_f32_e32 v36, v34
	v_rcp_f32_e32 v39, v35
	s_delay_alu instid0(TRANS32_DEP_2) | instskip(NEXT) | instid1(TRANS32_DEP_1)
	v_fma_f32 v40, -v34, v36, 1.0
	v_fma_f32 v41, -v35, v39, 1.0
	s_delay_alu instid0(VALU_DEP_1) | instskip(SKIP_1) | instid1(VALU_DEP_1)
	v_dual_fmac_f32 v36, v40, v36 :: v_dual_fmac_f32 v39, v41, v39
	v_div_scale_f32 v40, s7, v28, v38, v28
	v_dual_mul_f32 v41, v42, v36 :: v_dual_mul_f32 v43, v40, v39
	s_delay_alu instid0(VALU_DEP_1) | instskip(NEXT) | instid1(VALU_DEP_1)
	v_dual_fma_f32 v44, -v34, v41, v42 :: v_dual_fma_f32 v45, -v35, v43, v40
	v_dual_fmac_f32 v41, v44, v36 :: v_dual_fmac_f32 v43, v45, v39
	s_delay_alu instid0(VALU_DEP_1) | instskip(NEXT) | instid1(VALU_DEP_1)
	v_dual_fma_f32 v34, -v34, v41, v42 :: v_dual_fma_f32 v35, -v35, v43, v40
	v_div_fmas_f32 v34, v34, v36, v41
	s_mov_b32 vcc_lo, s7
	s_delay_alu instid0(VALU_DEP_2) | instskip(NEXT) | instid1(VALU_DEP_2)
	v_div_fmas_f32 v35, v35, v39, v43
	v_div_fixup_f32 v34, v34, v37, v29
	s_delay_alu instid0(VALU_DEP_2)
	v_div_fixup_f32 v36, v35, v38, v28
.LBB118_66:                             ;   in Loop: Header=BB118_4 Depth=1
	s_or_b32 exec_lo, exec_lo, s35
.LBB118_67:                             ;   in Loop: Header=BB118_4 Depth=1
	s_and_not1_saveexec_b32 s7, s34
	s_cbranch_execz .LBB118_69
; %bb.68:                               ;   in Loop: Header=BB118_4 Depth=1
	v_div_scale_f32 v34, null, v31, v31, v30
	v_div_scale_f32 v39, vcc_lo, v30, v31, v30
	s_delay_alu instid0(VALU_DEP_2) | instskip(SKIP_1) | instid1(TRANS32_DEP_1)
	v_rcp_f32_e32 v35, v34
	v_nop
	v_fma_f32 v36, -v34, v35, 1.0
	s_delay_alu instid0(VALU_DEP_1) | instskip(NEXT) | instid1(VALU_DEP_1)
	v_fmac_f32_e32 v35, v36, v35
	v_mul_f32_e32 v36, v39, v35
	s_delay_alu instid0(VALU_DEP_1) | instskip(NEXT) | instid1(VALU_DEP_1)
	v_fma_f32 v40, -v34, v36, v39
	v_fmac_f32_e32 v36, v40, v35
	s_delay_alu instid0(VALU_DEP_1) | instskip(NEXT) | instid1(VALU_DEP_1)
	v_fma_f32 v34, -v34, v36, v39
	v_div_fmas_f32 v34, v34, v35, v36
	s_delay_alu instid0(VALU_DEP_1) | instskip(NEXT) | instid1(VALU_DEP_1)
	v_div_fixup_f32 v34, v34, v31, v30
	v_fma_f32 v35, v30, v34, v31
	s_delay_alu instid0(VALU_DEP_1) | instskip(SKIP_1) | instid1(VALU_DEP_2)
	v_div_scale_f32 v36, null, v35, v35, 1.0
	v_div_scale_f32 v41, vcc_lo, 1.0, v35, 1.0
	v_rcp_f32_e32 v39, v36
	v_nop
	s_delay_alu instid0(TRANS32_DEP_1) | instskip(NEXT) | instid1(VALU_DEP_1)
	v_fma_f32 v40, -v36, v39, 1.0
	v_fmac_f32_e32 v39, v40, v39
	s_delay_alu instid0(VALU_DEP_1) | instskip(NEXT) | instid1(VALU_DEP_1)
	v_mul_f32_e32 v40, v41, v39
	v_fma_f32 v42, -v36, v40, v41
	s_delay_alu instid0(VALU_DEP_1) | instskip(NEXT) | instid1(VALU_DEP_1)
	v_fmac_f32_e32 v40, v42, v39
	v_fma_f32 v36, -v36, v40, v41
	s_delay_alu instid0(VALU_DEP_1) | instskip(SKIP_1) | instid1(VALU_DEP_2)
	v_div_fmas_f32 v36, v36, v39, v40
	v_fma_f32 v39, v29, v34, v28
	v_div_fixup_f32 v35, v36, v35, 1.0
	s_delay_alu instid0(VALU_DEP_1) | instskip(NEXT) | instid1(VALU_DEP_1)
	v_dual_fma_f32 v36, v28, v34, -v29 :: v_dual_mul_f32 v34, v39, v35
	v_mul_f32_e32 v36, v36, v35
.LBB118_69:                             ;   in Loop: Header=BB118_4 Depth=1
	s_or_b32 exec_lo, exec_lo, s7
	v_mov_b64_e32 v[40:41], s[8:9]
	v_mov_b64_e32 v[42:43], s[22:23]
	s_mov_b32 s7, 0
	s_delay_alu instid0(VALU_DEP_2) | instskip(NEXT) | instid1(VALU_DEP_2)
	v_pk_mul_f32 v[40:41], v[36:37], v[40:41] op_sel_hi:[0,1]
	v_pk_mul_f32 v[44:45], v[34:35], v[42:43] op_sel_hi:[0,1]
	s_delay_alu instid0(VALU_DEP_2) | instskip(NEXT) | instid1(VALU_DEP_2)
	v_pk_fma_f32 v[34:35], v[34:35], v[42:43], v[40:41] op_sel_hi:[0,1,1] neg_lo:[0,0,1] neg_hi:[0,0,1]
	v_add_f32_e32 v34, v44, v40
.LBB118_70:                             ;   in Loop: Header=BB118_4 Depth=1
	s_and_b32 vcc_lo, exec_lo, s7
	s_cbranch_vccz .LBB118_80
; %bb.71:                               ;   in Loop: Header=BB118_4 Depth=1
                                        ; implicit-def: $vgpr35
	s_and_saveexec_b32 s7, s6
	s_delay_alu instid0(SALU_CYCLE_1)
	s_xor_b32 s7, exec_lo, s7
	s_cbranch_execz .LBB118_77
; %bb.72:                               ;   in Loop: Header=BB118_4 Depth=1
	v_cmp_neq_f32_e32 vcc_lo, 0, v30
	v_cmp_neq_f32_e64 s6, 0, v31
                                        ; implicit-def: $vgpr35
	s_or_b32 s6, s6, vcc_lo
	s_delay_alu instid0(SALU_CYCLE_1) | instskip(NEXT) | instid1(SALU_CYCLE_1)
	s_and_saveexec_b32 s34, s6
	s_xor_b32 s6, exec_lo, s34
	s_cbranch_execz .LBB118_74
; %bb.73:                               ;   in Loop: Header=BB118_4 Depth=1
	v_div_scale_f32 v34, null, v30, v30, v31
	v_div_scale_f32 v37, vcc_lo, v31, v30, v31
	s_delay_alu instid0(VALU_DEP_2) | instskip(SKIP_1) | instid1(TRANS32_DEP_1)
	v_rcp_f32_e32 v35, v34
	v_nop
	v_fma_f32 v36, -v34, v35, 1.0
	s_delay_alu instid0(VALU_DEP_1) | instskip(NEXT) | instid1(VALU_DEP_1)
	v_fmac_f32_e32 v35, v36, v35
	v_mul_f32_e32 v36, v37, v35
	s_delay_alu instid0(VALU_DEP_1) | instskip(NEXT) | instid1(VALU_DEP_1)
	v_fma_f32 v38, -v34, v36, v37
	v_fmac_f32_e32 v36, v38, v35
	s_delay_alu instid0(VALU_DEP_1) | instskip(NEXT) | instid1(VALU_DEP_1)
	v_fma_f32 v34, -v34, v36, v37
	v_div_fmas_f32 v34, v34, v35, v36
	s_delay_alu instid0(VALU_DEP_1) | instskip(NEXT) | instid1(VALU_DEP_1)
	v_div_fixup_f32 v34, v34, v30, v31
	v_fmac_f32_e32 v30, v31, v34
	s_delay_alu instid0(VALU_DEP_1) | instskip(SKIP_1) | instid1(VALU_DEP_2)
	v_div_scale_f32 v31, null, v30, v30, 1.0
	v_div_scale_f32 v37, vcc_lo, 1.0, v30, 1.0
	v_rcp_f32_e32 v35, v31
	v_nop
	s_delay_alu instid0(TRANS32_DEP_1) | instskip(NEXT) | instid1(VALU_DEP_1)
	v_fma_f32 v36, -v31, v35, 1.0
	v_fmac_f32_e32 v35, v36, v35
	s_delay_alu instid0(VALU_DEP_1) | instskip(NEXT) | instid1(VALU_DEP_1)
	v_mul_f32_e32 v36, v37, v35
	v_fma_f32 v38, -v31, v36, v37
	s_delay_alu instid0(VALU_DEP_1) | instskip(NEXT) | instid1(VALU_DEP_1)
	v_fmac_f32_e32 v36, v38, v35
                                        ; implicit-def: $vgpr38
	v_fma_f32 v31, -v31, v36, v37
	s_delay_alu instid0(VALU_DEP_1) | instskip(SKIP_2) | instid1(VALU_DEP_3)
	v_div_fmas_f32 v31, v31, v35, v36
	v_pk_fma_f32 v[36:37], v[28:29], v[34:35], v[28:29] op_sel:[1,0,0] op_sel_hi:[0,0,1]
	v_pk_fma_f32 v[28:29], v[28:29], v[34:35], v[28:29] op_sel:[1,0,0] op_sel_hi:[0,1,1] neg_lo:[1,0,0] neg_hi:[1,0,0]
	v_div_fixup_f32 v30, v31, v30, 1.0
	s_delay_alu instid0(VALU_DEP_3) | instskip(NEXT) | instid1(VALU_DEP_1)
	v_mov_b32_e32 v29, v37
                                        ; implicit-def: $vgpr37
	v_pk_mul_f32 v[34:35], v[28:29], v[30:31] op_sel_hi:[1,0]
                                        ; implicit-def: $vgpr28_vgpr29
.LBB118_74:                             ;   in Loop: Header=BB118_4 Depth=1
	s_and_not1_saveexec_b32 s34, s6
	s_cbranch_execz .LBB118_76
; %bb.75:                               ;   in Loop: Header=BB118_4 Depth=1
	v_div_scale_f32 v30, null, v38, v38, v28
	v_div_scale_f32 v31, null, v37, v37, v29
	v_div_scale_f32 v40, vcc_lo, v28, v38, v28
	s_delay_alu instid0(VALU_DEP_3) | instskip(NEXT) | instid1(VALU_DEP_2)
	v_rcp_f32_e32 v34, v30
	v_rcp_f32_e32 v35, v31
	s_delay_alu instid0(TRANS32_DEP_2) | instskip(NEXT) | instid1(TRANS32_DEP_1)
	v_fma_f32 v36, -v30, v34, 1.0
	v_fma_f32 v39, -v31, v35, 1.0
	s_delay_alu instid0(VALU_DEP_1) | instskip(SKIP_1) | instid1(VALU_DEP_1)
	v_dual_fmac_f32 v34, v36, v34 :: v_dual_fmac_f32 v35, v39, v35
	v_div_scale_f32 v36, s6, v29, v37, v29
	v_mul_f32_e32 v41, v36, v35
	s_delay_alu instid0(VALU_DEP_1) | instskip(NEXT) | instid1(VALU_DEP_1)
	v_dual_mul_f32 v39, v40, v34 :: v_dual_fma_f32 v43, -v31, v41, v36
	v_fma_f32 v42, -v30, v39, v40
	s_delay_alu instid0(VALU_DEP_1) | instskip(NEXT) | instid1(VALU_DEP_1)
	v_dual_fmac_f32 v39, v42, v34 :: v_dual_fmac_f32 v41, v43, v35
	v_fma_f32 v30, -v30, v39, v40
	s_delay_alu instid0(VALU_DEP_2) | instskip(NEXT) | instid1(VALU_DEP_2)
	v_fma_f32 v31, -v31, v41, v36
	v_div_fmas_f32 v30, v30, v34, v39
	s_mov_b32 vcc_lo, s6
	s_delay_alu instid0(VALU_DEP_2) | instskip(NEXT) | instid1(VALU_DEP_2)
	v_div_fmas_f32 v31, v31, v35, v41
	v_div_fixup_f32 v34, v30, v38, v28
	s_delay_alu instid0(VALU_DEP_2)
	v_div_fixup_f32 v35, v31, v37, v29
.LBB118_76:                             ;   in Loop: Header=BB118_4 Depth=1
	s_or_b32 exec_lo, exec_lo, s34
                                        ; implicit-def: $vgpr31
                                        ; implicit-def: $vgpr28_vgpr29
.LBB118_77:                             ;   in Loop: Header=BB118_4 Depth=1
	s_and_not1_saveexec_b32 s6, s7
	s_cbranch_execz .LBB118_79
; %bb.78:                               ;   in Loop: Header=BB118_4 Depth=1
	v_div_scale_f32 v34, null, v31, v31, v30
	v_div_scale_f32 v37, vcc_lo, v30, v31, v30
	s_delay_alu instid0(VALU_DEP_2) | instskip(SKIP_1) | instid1(TRANS32_DEP_1)
	v_rcp_f32_e32 v35, v34
	v_nop
	v_fma_f32 v36, -v34, v35, 1.0
	s_delay_alu instid0(VALU_DEP_1) | instskip(NEXT) | instid1(VALU_DEP_1)
	v_fmac_f32_e32 v35, v36, v35
	v_mul_f32_e32 v36, v37, v35
	s_delay_alu instid0(VALU_DEP_1) | instskip(NEXT) | instid1(VALU_DEP_1)
	v_fma_f32 v38, -v34, v36, v37
	v_fmac_f32_e32 v36, v38, v35
	s_delay_alu instid0(VALU_DEP_1) | instskip(NEXT) | instid1(VALU_DEP_1)
	v_fma_f32 v34, -v34, v36, v37
	v_div_fmas_f32 v34, v34, v35, v36
	s_delay_alu instid0(VALU_DEP_1) | instskip(NEXT) | instid1(VALU_DEP_1)
	v_div_fixup_f32 v34, v34, v31, v30
	v_fmac_f32_e32 v31, v30, v34
	s_delay_alu instid0(VALU_DEP_1) | instskip(SKIP_1) | instid1(VALU_DEP_2)
	v_div_scale_f32 v30, null, v31, v31, 1.0
	v_div_scale_f32 v37, vcc_lo, 1.0, v31, 1.0
	v_rcp_f32_e32 v35, v30
	v_nop
	s_delay_alu instid0(TRANS32_DEP_1) | instskip(NEXT) | instid1(VALU_DEP_1)
	v_fma_f32 v36, -v30, v35, 1.0
	v_fmac_f32_e32 v35, v36, v35
	s_delay_alu instid0(VALU_DEP_1) | instskip(NEXT) | instid1(VALU_DEP_1)
	v_mul_f32_e32 v36, v37, v35
	v_fma_f32 v38, -v30, v36, v37
	s_delay_alu instid0(VALU_DEP_1) | instskip(NEXT) | instid1(VALU_DEP_1)
	v_fmac_f32_e32 v36, v38, v35
	v_fma_f32 v30, -v30, v36, v37
	s_delay_alu instid0(VALU_DEP_1) | instskip(SKIP_2) | instid1(VALU_DEP_3)
	v_div_fmas_f32 v30, v30, v35, v36
	v_pk_fma_f32 v[36:37], v[28:29], v[34:35], v[28:29] op_sel:[0,0,1] op_sel_hi:[1,0,0]
	v_pk_fma_f32 v[28:29], v[28:29], v[34:35], v[28:29] op_sel:[0,0,1] op_sel_hi:[1,1,0] neg_lo:[0,0,1] neg_hi:[0,0,1]
	v_div_fixup_f32 v30, v30, v31, 1.0
	s_delay_alu instid0(VALU_DEP_3) | instskip(NEXT) | instid1(VALU_DEP_1)
	v_mov_b32_e32 v29, v37
	v_pk_mul_f32 v[34:35], v[28:29], v[30:31] op_sel_hi:[1,0]
.LBB118_79:                             ;   in Loop: Header=BB118_4 Depth=1
	s_or_b32 exec_lo, exec_lo, s6
.LBB118_80:                             ;   in Loop: Header=BB118_4 Depth=1
	v_cmp_gt_f32_e32 vcc_lo, 0, v24
	s_mov_b32 s7, -1
                                        ; implicit-def: $vgpr29
	v_cndmask_b32_e64 v31, v24, -v24, vcc_lo
	v_cmp_gt_f32_e32 vcc_lo, 0, v25
	v_cndmask_b32_e64 v36, v25, -v25, vcc_lo
	s_and_not1_b32 vcc_lo, exec_lo, s33
	s_delay_alu instid0(VALU_DEP_1)
	v_cmp_ge_f32_e64 s6, v31, v36
	s_cbranch_vccz .LBB118_86
; %bb.81:                               ;   in Loop: Header=BB118_4 Depth=1
	s_and_b32 vcc_lo, exec_lo, s7
	s_cbranch_vccnz .LBB118_95
.LBB118_82:                             ;   in Loop: Header=BB118_4 Depth=1
	s_and_saveexec_b32 s6, s2
	s_delay_alu instid0(SALU_CYCLE_1)
	s_xor_b32 s2, exec_lo, s6
	s_cbranch_execnz .LBB118_104
.LBB118_83:                             ;   in Loop: Header=BB118_4 Depth=1
	s_or_b32 exec_lo, exec_lo, s2
	s_and_saveexec_b32 s2, s3
	s_cbranch_execnz .LBB118_105
.LBB118_84:                             ;   in Loop: Header=BB118_4 Depth=1
	s_or_b32 exec_lo, exec_lo, s2
	s_and_saveexec_b32 s2, s4
	s_cbranch_execnz .LBB118_106
.LBB118_85:                             ;   in Loop: Header=BB118_4 Depth=1
	s_or_b32 exec_lo, exec_lo, s2
	s_and_saveexec_b32 s2, s5
	s_cbranch_execz .LBB118_3
	s_branch .LBB118_107
.LBB118_86:                             ;   in Loop: Header=BB118_4 Depth=1
                                        ; implicit-def: $vgpr30
                                        ; implicit-def: $vgpr28
	s_and_saveexec_b32 s7, s6
	s_delay_alu instid0(SALU_CYCLE_1)
	s_xor_b32 s34, exec_lo, s7
	s_cbranch_execz .LBB118_92
; %bb.87:                               ;   in Loop: Header=BB118_4 Depth=1
	v_cmp_neq_f32_e32 vcc_lo, 0, v24
	v_cmp_neq_f32_e64 s7, 0, v25
                                        ; implicit-def: $vgpr30
                                        ; implicit-def: $vgpr28
	s_or_b32 s7, s7, vcc_lo
	s_delay_alu instid0(SALU_CYCLE_1) | instskip(NEXT) | instid1(SALU_CYCLE_1)
	s_and_saveexec_b32 s35, s7
	s_xor_b32 s7, exec_lo, s35
	s_cbranch_execz .LBB118_89
; %bb.88:                               ;   in Loop: Header=BB118_4 Depth=1
	v_div_scale_f32 v28, null, v24, v24, v25
	v_div_scale_f32 v37, vcc_lo, v25, v24, v25
	s_delay_alu instid0(VALU_DEP_2) | instskip(SKIP_1) | instid1(TRANS32_DEP_1)
	v_rcp_f32_e32 v29, v28
	v_nop
	v_fma_f32 v30, -v28, v29, 1.0
	s_delay_alu instid0(VALU_DEP_1) | instskip(NEXT) | instid1(VALU_DEP_1)
	v_fmac_f32_e32 v29, v30, v29
	v_mul_f32_e32 v30, v37, v29
	s_delay_alu instid0(VALU_DEP_1) | instskip(NEXT) | instid1(VALU_DEP_1)
	v_fma_f32 v38, -v28, v30, v37
	v_fmac_f32_e32 v30, v38, v29
	s_delay_alu instid0(VALU_DEP_1) | instskip(NEXT) | instid1(VALU_DEP_1)
	v_fma_f32 v28, -v28, v30, v37
	v_div_fmas_f32 v28, v28, v29, v30
	s_delay_alu instid0(VALU_DEP_1) | instskip(NEXT) | instid1(VALU_DEP_1)
	v_div_fixup_f32 v28, v28, v24, v25
	v_fma_f32 v29, v25, v28, v24
	s_delay_alu instid0(VALU_DEP_1) | instskip(SKIP_1) | instid1(VALU_DEP_2)
	v_div_scale_f32 v30, null, v29, v29, 1.0
	v_div_scale_f32 v39, vcc_lo, 1.0, v29, 1.0
	v_rcp_f32_e32 v37, v30
	v_nop
	s_delay_alu instid0(TRANS32_DEP_1) | instskip(NEXT) | instid1(VALU_DEP_1)
	v_fma_f32 v38, -v30, v37, 1.0
	v_fmac_f32_e32 v37, v38, v37
	s_delay_alu instid0(VALU_DEP_1) | instskip(NEXT) | instid1(VALU_DEP_1)
	v_mul_f32_e32 v38, v39, v37
	v_fma_f32 v40, -v30, v38, v39
	s_delay_alu instid0(VALU_DEP_1) | instskip(NEXT) | instid1(VALU_DEP_1)
	v_fmac_f32_e32 v38, v40, v37
	v_fma_f32 v30, -v30, v38, v39
	s_delay_alu instid0(VALU_DEP_1) | instskip(SKIP_1) | instid1(VALU_DEP_2)
	v_div_fmas_f32 v30, v30, v37, v38
	v_fma_f32 v37, v22, v28, v23
	v_div_fixup_f32 v29, v30, v29, 1.0
	s_delay_alu instid0(VALU_DEP_1) | instskip(NEXT) | instid1(VALU_DEP_1)
	v_dual_fma_f32 v30, -v23, v28, v22 :: v_dual_mul_f32 v28, v37, v29
	v_mul_f32_e32 v30, v30, v29
.LBB118_89:                             ;   in Loop: Header=BB118_4 Depth=1
	s_and_not1_saveexec_b32 s35, s7
	s_cbranch_execz .LBB118_91
; %bb.90:                               ;   in Loop: Header=BB118_4 Depth=1
	v_div_scale_f32 v28, null, v31, v31, v23
	v_div_scale_f32 v29, null, v36, v36, v22
	v_div_scale_f32 v40, vcc_lo, v23, v31, v23
	s_delay_alu instid0(VALU_DEP_3) | instskip(NEXT) | instid1(VALU_DEP_2)
	v_rcp_f32_e32 v30, v28
	v_rcp_f32_e32 v37, v29
	s_delay_alu instid0(TRANS32_DEP_2) | instskip(NEXT) | instid1(TRANS32_DEP_1)
	v_fma_f32 v38, -v28, v30, 1.0
	v_fma_f32 v39, -v29, v37, 1.0
	s_delay_alu instid0(VALU_DEP_1) | instskip(SKIP_1) | instid1(VALU_DEP_1)
	v_dual_fmac_f32 v30, v38, v30 :: v_dual_fmac_f32 v37, v39, v37
	v_div_scale_f32 v38, s7, v22, v36, v22
	v_dual_mul_f32 v39, v40, v30 :: v_dual_mul_f32 v41, v38, v37
	s_delay_alu instid0(VALU_DEP_1) | instskip(NEXT) | instid1(VALU_DEP_1)
	v_dual_fma_f32 v42, -v28, v39, v40 :: v_dual_fma_f32 v43, -v29, v41, v38
	v_dual_fmac_f32 v39, v42, v30 :: v_dual_fmac_f32 v41, v43, v37
	s_delay_alu instid0(VALU_DEP_1) | instskip(NEXT) | instid1(VALU_DEP_1)
	v_dual_fma_f32 v28, -v28, v39, v40 :: v_dual_fma_f32 v29, -v29, v41, v38
	v_div_fmas_f32 v28, v28, v30, v39
	s_mov_b32 vcc_lo, s7
	s_delay_alu instid0(VALU_DEP_2) | instskip(NEXT) | instid1(VALU_DEP_2)
	v_div_fmas_f32 v29, v29, v37, v41
	v_div_fixup_f32 v28, v28, v31, v23
	s_delay_alu instid0(VALU_DEP_2)
	v_div_fixup_f32 v30, v29, v36, v22
.LBB118_91:                             ;   in Loop: Header=BB118_4 Depth=1
	s_or_b32 exec_lo, exec_lo, s35
.LBB118_92:                             ;   in Loop: Header=BB118_4 Depth=1
	s_and_not1_saveexec_b32 s7, s34
	s_cbranch_execz .LBB118_94
; %bb.93:                               ;   in Loop: Header=BB118_4 Depth=1
	v_div_scale_f32 v28, null, v25, v25, v24
	v_div_scale_f32 v37, vcc_lo, v24, v25, v24
	s_delay_alu instid0(VALU_DEP_2) | instskip(SKIP_1) | instid1(TRANS32_DEP_1)
	v_rcp_f32_e32 v29, v28
	v_nop
	v_fma_f32 v30, -v28, v29, 1.0
	s_delay_alu instid0(VALU_DEP_1) | instskip(NEXT) | instid1(VALU_DEP_1)
	v_fmac_f32_e32 v29, v30, v29
	v_mul_f32_e32 v30, v37, v29
	s_delay_alu instid0(VALU_DEP_1) | instskip(NEXT) | instid1(VALU_DEP_1)
	v_fma_f32 v38, -v28, v30, v37
	v_fmac_f32_e32 v30, v38, v29
	s_delay_alu instid0(VALU_DEP_1) | instskip(NEXT) | instid1(VALU_DEP_1)
	v_fma_f32 v28, -v28, v30, v37
	v_div_fmas_f32 v28, v28, v29, v30
	s_delay_alu instid0(VALU_DEP_1) | instskip(NEXT) | instid1(VALU_DEP_1)
	v_div_fixup_f32 v28, v28, v25, v24
	v_fma_f32 v29, v24, v28, v25
	s_delay_alu instid0(VALU_DEP_1) | instskip(SKIP_1) | instid1(VALU_DEP_2)
	v_div_scale_f32 v30, null, v29, v29, 1.0
	v_div_scale_f32 v39, vcc_lo, 1.0, v29, 1.0
	v_rcp_f32_e32 v37, v30
	v_nop
	s_delay_alu instid0(TRANS32_DEP_1) | instskip(NEXT) | instid1(VALU_DEP_1)
	v_fma_f32 v38, -v30, v37, 1.0
	v_fmac_f32_e32 v37, v38, v37
	s_delay_alu instid0(VALU_DEP_1) | instskip(NEXT) | instid1(VALU_DEP_1)
	v_mul_f32_e32 v38, v39, v37
	v_fma_f32 v40, -v30, v38, v39
	s_delay_alu instid0(VALU_DEP_1) | instskip(NEXT) | instid1(VALU_DEP_1)
	v_fmac_f32_e32 v38, v40, v37
	v_fma_f32 v30, -v30, v38, v39
	s_delay_alu instid0(VALU_DEP_1) | instskip(SKIP_1) | instid1(VALU_DEP_2)
	v_div_fmas_f32 v30, v30, v37, v38
	v_fma_f32 v37, v23, v28, v22
	v_div_fixup_f32 v29, v30, v29, 1.0
	s_delay_alu instid0(VALU_DEP_1) | instskip(NEXT) | instid1(VALU_DEP_1)
	v_dual_fma_f32 v30, v22, v28, -v23 :: v_dual_mul_f32 v28, v37, v29
	v_mul_f32_e32 v30, v30, v29
.LBB118_94:                             ;   in Loop: Header=BB118_4 Depth=1
	s_or_b32 exec_lo, exec_lo, s7
	v_mov_b64_e32 v[38:39], s[8:9]
	v_mov_b64_e32 v[40:41], s[22:23]
	s_delay_alu instid0(VALU_DEP_2) | instskip(NEXT) | instid1(VALU_DEP_2)
	v_pk_mul_f32 v[38:39], v[30:31], v[38:39] op_sel_hi:[0,1]
	v_pk_mul_f32 v[42:43], v[28:29], v[40:41] op_sel_hi:[0,1]
	s_delay_alu instid0(VALU_DEP_2) | instskip(NEXT) | instid1(VALU_DEP_2)
	v_pk_fma_f32 v[28:29], v[28:29], v[40:41], v[38:39] op_sel_hi:[0,1,1] neg_lo:[0,0,1] neg_hi:[0,0,1]
	v_add_f32_e32 v28, v42, v38
	s_branch .LBB118_82
.LBB118_95:                             ;   in Loop: Header=BB118_4 Depth=1
                                        ; implicit-def: $vgpr29
	s_and_saveexec_b32 s7, s6
	s_delay_alu instid0(SALU_CYCLE_1)
	s_xor_b32 s7, exec_lo, s7
	s_cbranch_execz .LBB118_101
; %bb.96:                               ;   in Loop: Header=BB118_4 Depth=1
	v_cmp_neq_f32_e32 vcc_lo, 0, v24
	v_cmp_neq_f32_e64 s6, 0, v25
                                        ; implicit-def: $vgpr29
	s_or_b32 s6, s6, vcc_lo
	s_delay_alu instid0(SALU_CYCLE_1) | instskip(NEXT) | instid1(SALU_CYCLE_1)
	s_and_saveexec_b32 s34, s6
	s_xor_b32 s6, exec_lo, s34
	s_cbranch_execz .LBB118_98
; %bb.97:                               ;   in Loop: Header=BB118_4 Depth=1
	v_div_scale_f32 v28, null, v24, v24, v25
	v_div_scale_f32 v31, vcc_lo, v25, v24, v25
	s_delay_alu instid0(VALU_DEP_2) | instskip(SKIP_1) | instid1(TRANS32_DEP_1)
	v_rcp_f32_e32 v29, v28
	v_nop
	v_fma_f32 v30, -v28, v29, 1.0
	s_delay_alu instid0(VALU_DEP_1) | instskip(NEXT) | instid1(VALU_DEP_1)
	v_fmac_f32_e32 v29, v30, v29
	v_mul_f32_e32 v30, v31, v29
	s_delay_alu instid0(VALU_DEP_1) | instskip(NEXT) | instid1(VALU_DEP_1)
	v_fma_f32 v36, -v28, v30, v31
	v_fmac_f32_e32 v30, v36, v29
	s_delay_alu instid0(VALU_DEP_1) | instskip(NEXT) | instid1(VALU_DEP_1)
	v_fma_f32 v28, -v28, v30, v31
	v_div_fmas_f32 v28, v28, v29, v30
	s_delay_alu instid0(VALU_DEP_1) | instskip(NEXT) | instid1(VALU_DEP_1)
	v_div_fixup_f32 v28, v28, v24, v25
	v_fmac_f32_e32 v24, v25, v28
	s_delay_alu instid0(VALU_DEP_1) | instskip(SKIP_1) | instid1(VALU_DEP_2)
	v_div_scale_f32 v25, null, v24, v24, 1.0
	v_div_scale_f32 v31, vcc_lo, 1.0, v24, 1.0
	v_rcp_f32_e32 v29, v25
	v_nop
	s_delay_alu instid0(TRANS32_DEP_1) | instskip(NEXT) | instid1(VALU_DEP_1)
	v_fma_f32 v30, -v25, v29, 1.0
	v_fmac_f32_e32 v29, v30, v29
	s_delay_alu instid0(VALU_DEP_1) | instskip(NEXT) | instid1(VALU_DEP_1)
	v_mul_f32_e32 v30, v31, v29
	v_fma_f32 v36, -v25, v30, v31
	s_delay_alu instid0(VALU_DEP_1) | instskip(NEXT) | instid1(VALU_DEP_1)
	v_fmac_f32_e32 v30, v36, v29
                                        ; implicit-def: $vgpr36
	v_fma_f32 v25, -v25, v30, v31
	s_delay_alu instid0(VALU_DEP_1) | instskip(SKIP_2) | instid1(VALU_DEP_3)
	v_div_fmas_f32 v25, v25, v29, v30
	v_pk_fma_f32 v[30:31], v[22:23], v[28:29], v[22:23] op_sel:[1,0,0] op_sel_hi:[0,0,1]
	v_pk_fma_f32 v[22:23], v[22:23], v[28:29], v[22:23] op_sel:[1,0,0] op_sel_hi:[0,1,1] neg_lo:[1,0,0] neg_hi:[1,0,0]
	v_div_fixup_f32 v24, v25, v24, 1.0
	s_delay_alu instid0(VALU_DEP_3) | instskip(NEXT) | instid1(VALU_DEP_1)
	v_mov_b32_e32 v23, v31
                                        ; implicit-def: $vgpr31
	v_pk_mul_f32 v[28:29], v[22:23], v[24:25] op_sel_hi:[1,0]
                                        ; implicit-def: $vgpr22_vgpr23
.LBB118_98:                             ;   in Loop: Header=BB118_4 Depth=1
	s_and_not1_saveexec_b32 s34, s6
	s_cbranch_execz .LBB118_100
; %bb.99:                               ;   in Loop: Header=BB118_4 Depth=1
	v_div_scale_f32 v24, null, v36, v36, v22
	v_div_scale_f32 v25, null, v31, v31, v23
	v_div_scale_f32 v38, vcc_lo, v22, v36, v22
	s_delay_alu instid0(VALU_DEP_3) | instskip(NEXT) | instid1(VALU_DEP_2)
	v_rcp_f32_e32 v28, v24
	v_rcp_f32_e32 v29, v25
	s_delay_alu instid0(TRANS32_DEP_2) | instskip(NEXT) | instid1(TRANS32_DEP_1)
	v_fma_f32 v30, -v24, v28, 1.0
	v_fma_f32 v37, -v25, v29, 1.0
	s_delay_alu instid0(VALU_DEP_1) | instskip(SKIP_1) | instid1(VALU_DEP_1)
	v_dual_fmac_f32 v28, v30, v28 :: v_dual_fmac_f32 v29, v37, v29
	v_div_scale_f32 v30, s6, v23, v31, v23
	v_mul_f32_e32 v39, v30, v29
	s_delay_alu instid0(VALU_DEP_1) | instskip(NEXT) | instid1(VALU_DEP_1)
	v_dual_mul_f32 v37, v38, v28 :: v_dual_fma_f32 v41, -v25, v39, v30
	v_fma_f32 v40, -v24, v37, v38
	s_delay_alu instid0(VALU_DEP_1) | instskip(NEXT) | instid1(VALU_DEP_1)
	v_dual_fmac_f32 v37, v40, v28 :: v_dual_fmac_f32 v39, v41, v29
	v_fma_f32 v24, -v24, v37, v38
	s_delay_alu instid0(VALU_DEP_2) | instskip(NEXT) | instid1(VALU_DEP_2)
	v_fma_f32 v25, -v25, v39, v30
	v_div_fmas_f32 v24, v24, v28, v37
	s_mov_b32 vcc_lo, s6
	s_delay_alu instid0(VALU_DEP_2) | instskip(NEXT) | instid1(VALU_DEP_2)
	v_div_fmas_f32 v25, v25, v29, v39
	v_div_fixup_f32 v28, v24, v36, v22
	s_delay_alu instid0(VALU_DEP_2)
	v_div_fixup_f32 v29, v25, v31, v23
.LBB118_100:                            ;   in Loop: Header=BB118_4 Depth=1
	s_or_b32 exec_lo, exec_lo, s34
                                        ; implicit-def: $vgpr25
                                        ; implicit-def: $vgpr22_vgpr23
.LBB118_101:                            ;   in Loop: Header=BB118_4 Depth=1
	s_and_not1_saveexec_b32 s6, s7
	s_cbranch_execz .LBB118_103
; %bb.102:                              ;   in Loop: Header=BB118_4 Depth=1
	v_div_scale_f32 v28, null, v25, v25, v24
	v_div_scale_f32 v31, vcc_lo, v24, v25, v24
	s_delay_alu instid0(VALU_DEP_2) | instskip(SKIP_1) | instid1(TRANS32_DEP_1)
	v_rcp_f32_e32 v29, v28
	v_nop
	v_fma_f32 v30, -v28, v29, 1.0
	s_delay_alu instid0(VALU_DEP_1) | instskip(NEXT) | instid1(VALU_DEP_1)
	v_fmac_f32_e32 v29, v30, v29
	v_mul_f32_e32 v30, v31, v29
	s_delay_alu instid0(VALU_DEP_1) | instskip(NEXT) | instid1(VALU_DEP_1)
	v_fma_f32 v36, -v28, v30, v31
	v_fmac_f32_e32 v30, v36, v29
	s_delay_alu instid0(VALU_DEP_1) | instskip(NEXT) | instid1(VALU_DEP_1)
	v_fma_f32 v28, -v28, v30, v31
	v_div_fmas_f32 v28, v28, v29, v30
	s_delay_alu instid0(VALU_DEP_1) | instskip(NEXT) | instid1(VALU_DEP_1)
	v_div_fixup_f32 v28, v28, v25, v24
	v_fmac_f32_e32 v25, v24, v28
	s_delay_alu instid0(VALU_DEP_1) | instskip(SKIP_1) | instid1(VALU_DEP_2)
	v_div_scale_f32 v24, null, v25, v25, 1.0
	v_div_scale_f32 v31, vcc_lo, 1.0, v25, 1.0
	v_rcp_f32_e32 v29, v24
	v_nop
	s_delay_alu instid0(TRANS32_DEP_1) | instskip(NEXT) | instid1(VALU_DEP_1)
	v_fma_f32 v30, -v24, v29, 1.0
	v_fmac_f32_e32 v29, v30, v29
	s_delay_alu instid0(VALU_DEP_1) | instskip(NEXT) | instid1(VALU_DEP_1)
	v_mul_f32_e32 v30, v31, v29
	v_fma_f32 v36, -v24, v30, v31
	s_delay_alu instid0(VALU_DEP_1) | instskip(NEXT) | instid1(VALU_DEP_1)
	v_fmac_f32_e32 v30, v36, v29
	v_fma_f32 v24, -v24, v30, v31
	s_delay_alu instid0(VALU_DEP_1) | instskip(SKIP_2) | instid1(VALU_DEP_3)
	v_div_fmas_f32 v24, v24, v29, v30
	v_pk_fma_f32 v[30:31], v[22:23], v[28:29], v[22:23] op_sel:[0,0,1] op_sel_hi:[1,0,0]
	v_pk_fma_f32 v[22:23], v[22:23], v[28:29], v[22:23] op_sel:[0,0,1] op_sel_hi:[1,1,0] neg_lo:[0,0,1] neg_hi:[0,0,1]
	v_div_fixup_f32 v24, v24, v25, 1.0
	s_delay_alu instid0(VALU_DEP_3) | instskip(NEXT) | instid1(VALU_DEP_1)
	v_mov_b32_e32 v23, v31
	v_pk_mul_f32 v[28:29], v[22:23], v[24:25] op_sel_hi:[1,0]
.LBB118_103:                            ;   in Loop: Header=BB118_4 Depth=1
	s_or_b32 exec_lo, exec_lo, s6
	s_and_saveexec_b32 s6, s2
	s_delay_alu instid0(SALU_CYCLE_1)
	s_xor_b32 s2, exec_lo, s6
	s_cbranch_execz .LBB118_83
.LBB118_104:                            ;   in Loop: Header=BB118_4 Depth=1
	v_dual_add_f32 v8, v8, v27 :: v_dual_add_f32 v9, v9, v26
	v_lshl_add_u64 v[6:7], v[6:7], 3, s[12:13]
	global_store_b64 v[6:7], v[8:9], off
	s_wait_xcnt 0x0
	s_or_b32 exec_lo, exec_lo, s2
	s_and_saveexec_b32 s2, s3
	s_cbranch_execz .LBB118_84
.LBB118_105:                            ;   in Loop: Header=BB118_4 Depth=1
	v_dual_add_f32 v6, v10, v33 :: v_dual_add_f32 v7, v11, v32
	v_lshl_add_u64 v[8:9], v[12:13], 3, s[12:13]
	global_store_b64 v[8:9], v[6:7], off
	s_wait_xcnt 0x0
	s_or_b32 exec_lo, exec_lo, s2
	s_and_saveexec_b32 s2, s4
	s_cbranch_execz .LBB118_85
.LBB118_106:                            ;   in Loop: Header=BB118_4 Depth=1
	v_dual_add_f32 v6, v14, v35 :: v_dual_add_f32 v7, v15, v34
	v_lshl_add_u64 v[8:9], v[16:17], 3, s[12:13]
	global_store_b64 v[8:9], v[6:7], off
	s_wait_xcnt 0x0
	s_or_b32 exec_lo, exec_lo, s2
	s_and_saveexec_b32 s2, s5
	s_cbranch_execz .LBB118_3
.LBB118_107:                            ;   in Loop: Header=BB118_4 Depth=1
	v_dual_add_f32 v6, v18, v29 :: v_dual_add_f32 v7, v19, v28
	v_lshl_add_u64 v[8:9], v[20:21], 3, s[12:13]
	global_store_b64 v[8:9], v[6:7], off
	s_branch .LBB118_3
.LBB118_108:
	s_mov_b32 s2, 0
.LBB118_109:
	s_delay_alu instid0(SALU_CYCLE_1)
	s_and_not1_b32 vcc_lo, exec_lo, s2
	s_cbranch_vccnz .LBB118_193
; %bb.110:
	v_min_i64 v[26:27], 0x10000, s[18:19]
	v_dual_mov_b32 v29, 0 :: v_dual_lshlrev_b32 v28, 2, v0
	s_mov_b32 s2, exec_lo
	s_delay_alu instid0(VALU_DEP_1)
	v_cmpx_lt_i64_e64 v[28:29], v[26:27]
	s_cbranch_execz .LBB118_193
; %bb.111:
	s_load_b32 s0, s[0:1], 0xd14
	s_cmp_neq_f32 s8, 1.0
	v_dual_mov_b32 v1, v29 :: v_dual_lshlrev_b32 v28, 5, v0
	s_mov_b32 s3, 0
	s_wait_xcnt 0x0
	s_cselect_b32 s1, -1, 0
	s_and_b32 s2, s9, 0x7fffffff
	s_mov_b32 s4, s9
	s_cmp_lg_u32 s2, 0
	s_mov_b32 s5, s8
	s_cselect_b32 s6, -1, 0
	s_mov_b32 s7, s3
	s_or_b32 s18, s1, s6
	s_mov_b32 s19, s3
	s_wait_kmcnt 0x0
	s_and_b32 s2, s0, 0xffff
	s_delay_alu instid0(SALU_CYCLE_1)
	s_lshl_b32 s6, s2, 5
	s_branch .LBB118_114
.LBB118_112:                            ;   in Loop: Header=BB118_114 Depth=1
	s_or_b32 exec_lo, exec_lo, s0
.LBB118_113:                            ;   in Loop: Header=BB118_114 Depth=1
	v_add_nc_u64_e32 v[0:1], s[2:3], v[0:1]
	s_wait_loadcnt 0x0
	v_dual_add_f32 v8, v8, v18 :: v_dual_add_f32 v9, v9, v19
	v_dual_add_f32 v6, v6, v30 :: v_dual_add_f32 v7, v7, v31
	;; [unrolled: 1-line block ×3, first 2 shown]
	s_delay_alu instid0(VALU_DEP_4) | instskip(SKIP_4) | instid1(VALU_DEP_2)
	v_lshlrev_b64_e32 v[12:13], 2, v[0:1]
	v_dual_add_f32 v4, v4, v10 :: v_dual_add_f32 v5, v5, v11
	s_add_nc_u64 s[16:17], s[16:17], s[6:7]
	s_add_nc_u64 s[10:11], s[10:11], s[6:7]
	;; [unrolled: 1-line block ×3, first 2 shown]
	v_cmp_ge_i64_e32 vcc_lo, v[12:13], v[26:27]
	v_add_nc_u64_e32 v[12:13], s[12:13], v[28:29]
	s_add_nc_u64 s[12:13], s[12:13], s[6:7]
	s_clause 0x1
	global_store_b128 v[12:13], v[6:9], off
	global_store_b128 v[12:13], v[2:5], off offset:16
	s_or_b32 s19, vcc_lo, s19
	s_wait_xcnt 0x0
	s_and_not1_b32 exec_lo, exec_lo, s19
	s_cbranch_execz .LBB118_193
.LBB118_114:                            ; =>This Inner Loop Header: Depth=1
	v_add_nc_u64_e32 v[30:31], s[10:11], v[28:29]
	v_add_nc_u64_e32 v[32:33], s[16:17], v[28:29]
	;; [unrolled: 1-line block ×3, first 2 shown]
	s_mov_b32 s1, -1
	s_clause 0x1
	global_load_b128 v[22:25], v[30:31], off
	global_load_b128 v[14:17], v[30:31], off offset:16
	s_clause 0x1
	global_load_b128 v[2:5], v[32:33], off offset:16
	global_load_b128 v[6:9], v[32:33], off
	s_clause 0x1
	global_load_b128 v[10:13], v[34:35], off offset:16
	global_load_b128 v[18:21], v[34:35], off
                                        ; implicit-def: $vgpr31
	s_wait_loadcnt 0x5
	v_cmp_gt_f32_e32 vcc_lo, 0, v23
	s_wait_xcnt 0x2
	v_cndmask_b32_e64 v33, v23, -v23, vcc_lo
	v_cmp_gt_f32_e32 vcc_lo, 0, v22
	s_wait_xcnt 0x0
	v_cndmask_b32_e64 v34, v22, -v22, vcc_lo
	s_and_b32 vcc_lo, exec_lo, s18
	s_delay_alu instid0(VALU_DEP_1)
	v_cmp_ge_f32_e64 s0, v34, v33
	s_cbranch_vccz .LBB118_124
; %bb.115:                              ;   in Loop: Header=BB118_114 Depth=1
                                        ; implicit-def: $vgpr32
                                        ; implicit-def: $vgpr30
	s_and_saveexec_b32 s1, s0
	s_delay_alu instid0(SALU_CYCLE_1)
	s_xor_b32 s20, exec_lo, s1
	s_cbranch_execz .LBB118_121
; %bb.116:                              ;   in Loop: Header=BB118_114 Depth=1
	v_cmp_neq_f32_e32 vcc_lo, 0, v22
	v_cmp_neq_f32_e64 s1, 0, v23
                                        ; implicit-def: $vgpr32
                                        ; implicit-def: $vgpr30
	s_or_b32 s1, vcc_lo, s1
	s_delay_alu instid0(SALU_CYCLE_1) | instskip(NEXT) | instid1(SALU_CYCLE_1)
	s_and_saveexec_b32 s21, s1
	s_xor_b32 s1, exec_lo, s21
	s_cbranch_execz .LBB118_118
; %bb.117:                              ;   in Loop: Header=BB118_114 Depth=1
	v_div_scale_f32 v30, null, v22, v22, v23
	v_div_scale_f32 v35, vcc_lo, v23, v22, v23
	s_delay_alu instid0(VALU_DEP_2) | instskip(SKIP_1) | instid1(TRANS32_DEP_1)
	v_rcp_f32_e32 v31, v30
	v_nop
	v_fma_f32 v32, -v30, v31, 1.0
	s_delay_alu instid0(VALU_DEP_1) | instskip(NEXT) | instid1(VALU_DEP_1)
	v_fmac_f32_e32 v31, v32, v31
	v_mul_f32_e32 v32, v35, v31
	s_delay_alu instid0(VALU_DEP_1) | instskip(NEXT) | instid1(VALU_DEP_1)
	v_fma_f32 v36, -v30, v32, v35
	v_fmac_f32_e32 v32, v36, v31
	s_delay_alu instid0(VALU_DEP_1) | instskip(NEXT) | instid1(VALU_DEP_1)
	v_fma_f32 v30, -v30, v32, v35
	v_div_fmas_f32 v30, v30, v31, v32
	s_delay_alu instid0(VALU_DEP_1) | instskip(NEXT) | instid1(VALU_DEP_1)
	v_div_fixup_f32 v30, v30, v22, v23
	v_fma_f32 v31, v23, v30, v22
	s_delay_alu instid0(VALU_DEP_1) | instskip(SKIP_1) | instid1(VALU_DEP_2)
	v_div_scale_f32 v32, null, v31, v31, 1.0
	v_div_scale_f32 v37, vcc_lo, 1.0, v31, 1.0
	v_rcp_f32_e32 v35, v32
	v_nop
	s_delay_alu instid0(TRANS32_DEP_1) | instskip(NEXT) | instid1(VALU_DEP_1)
	v_fma_f32 v36, -v32, v35, 1.0
	v_fmac_f32_e32 v35, v36, v35
	s_delay_alu instid0(VALU_DEP_1) | instskip(NEXT) | instid1(VALU_DEP_1)
	v_mul_f32_e32 v36, v37, v35
	v_fma_f32 v38, -v32, v36, v37
	s_delay_alu instid0(VALU_DEP_1) | instskip(NEXT) | instid1(VALU_DEP_1)
	v_fmac_f32_e32 v36, v38, v35
	v_fma_f32 v32, -v32, v36, v37
	s_delay_alu instid0(VALU_DEP_1) | instskip(SKIP_2) | instid1(VALU_DEP_2)
	v_div_fmas_f32 v32, v32, v35, v36
	s_wait_loadcnt 0x0
	v_fma_f32 v35, v19, v30, v18
	v_div_fixup_f32 v31, v32, v31, 1.0
	s_delay_alu instid0(VALU_DEP_1) | instskip(NEXT) | instid1(VALU_DEP_1)
	v_dual_fma_f32 v32, -v18, v30, v19 :: v_dual_mul_f32 v30, v35, v31
	v_mul_f32_e32 v32, v32, v31
.LBB118_118:                            ;   in Loop: Header=BB118_114 Depth=1
	s_and_not1_saveexec_b32 s21, s1
	s_cbranch_execz .LBB118_120
; %bb.119:                              ;   in Loop: Header=BB118_114 Depth=1
	s_wait_loadcnt 0x0
	v_div_scale_f32 v30, null, v34, v34, v18
	v_div_scale_f32 v31, null, v33, v33, v19
	v_div_scale_f32 v38, vcc_lo, v18, v34, v18
	s_delay_alu instid0(VALU_DEP_3) | instskip(NEXT) | instid1(VALU_DEP_2)
	v_rcp_f32_e32 v32, v30
	v_rcp_f32_e32 v35, v31
	s_delay_alu instid0(TRANS32_DEP_2) | instskip(NEXT) | instid1(TRANS32_DEP_1)
	v_fma_f32 v36, -v30, v32, 1.0
	v_fma_f32 v37, -v31, v35, 1.0
	s_delay_alu instid0(VALU_DEP_1) | instskip(SKIP_1) | instid1(VALU_DEP_1)
	v_dual_fmac_f32 v32, v36, v32 :: v_dual_fmac_f32 v35, v37, v35
	v_div_scale_f32 v36, s1, v19, v33, v19
	v_dual_mul_f32 v37, v38, v32 :: v_dual_mul_f32 v39, v36, v35
	s_delay_alu instid0(VALU_DEP_1) | instskip(NEXT) | instid1(VALU_DEP_1)
	v_dual_fma_f32 v40, -v30, v37, v38 :: v_dual_fma_f32 v41, -v31, v39, v36
	v_dual_fmac_f32 v37, v40, v32 :: v_dual_fmac_f32 v39, v41, v35
	s_delay_alu instid0(VALU_DEP_1) | instskip(NEXT) | instid1(VALU_DEP_1)
	v_dual_fma_f32 v30, -v30, v37, v38 :: v_dual_fma_f32 v31, -v31, v39, v36
	v_div_fmas_f32 v30, v30, v32, v37
	s_mov_b32 vcc_lo, s1
	s_delay_alu instid0(VALU_DEP_2) | instskip(NEXT) | instid1(VALU_DEP_2)
	v_div_fmas_f32 v31, v31, v35, v39
	v_div_fixup_f32 v30, v30, v34, v18
	s_delay_alu instid0(VALU_DEP_2)
	v_div_fixup_f32 v32, v31, v33, v19
.LBB118_120:                            ;   in Loop: Header=BB118_114 Depth=1
	s_or_b32 exec_lo, exec_lo, s21
.LBB118_121:                            ;   in Loop: Header=BB118_114 Depth=1
	s_and_not1_saveexec_b32 s1, s20
	s_cbranch_execz .LBB118_123
; %bb.122:                              ;   in Loop: Header=BB118_114 Depth=1
	v_div_scale_f32 v30, null, v23, v23, v22
	v_div_scale_f32 v35, vcc_lo, v22, v23, v22
	s_delay_alu instid0(VALU_DEP_2) | instskip(SKIP_1) | instid1(TRANS32_DEP_1)
	v_rcp_f32_e32 v31, v30
	v_nop
	v_fma_f32 v32, -v30, v31, 1.0
	s_delay_alu instid0(VALU_DEP_1) | instskip(NEXT) | instid1(VALU_DEP_1)
	v_fmac_f32_e32 v31, v32, v31
	v_mul_f32_e32 v32, v35, v31
	s_delay_alu instid0(VALU_DEP_1) | instskip(NEXT) | instid1(VALU_DEP_1)
	v_fma_f32 v36, -v30, v32, v35
	v_fmac_f32_e32 v32, v36, v31
	s_delay_alu instid0(VALU_DEP_1) | instskip(NEXT) | instid1(VALU_DEP_1)
	v_fma_f32 v30, -v30, v32, v35
	v_div_fmas_f32 v30, v30, v31, v32
	s_delay_alu instid0(VALU_DEP_1) | instskip(NEXT) | instid1(VALU_DEP_1)
	v_div_fixup_f32 v30, v30, v23, v22
	v_fma_f32 v31, v22, v30, v23
	s_delay_alu instid0(VALU_DEP_1) | instskip(SKIP_1) | instid1(VALU_DEP_2)
	v_div_scale_f32 v32, null, v31, v31, 1.0
	v_div_scale_f32 v37, vcc_lo, 1.0, v31, 1.0
	v_rcp_f32_e32 v35, v32
	v_nop
	s_delay_alu instid0(TRANS32_DEP_1) | instskip(NEXT) | instid1(VALU_DEP_1)
	v_fma_f32 v36, -v32, v35, 1.0
	v_fmac_f32_e32 v35, v36, v35
	s_delay_alu instid0(VALU_DEP_1) | instskip(NEXT) | instid1(VALU_DEP_1)
	v_mul_f32_e32 v36, v37, v35
	v_fma_f32 v38, -v32, v36, v37
	s_delay_alu instid0(VALU_DEP_1) | instskip(NEXT) | instid1(VALU_DEP_1)
	v_fmac_f32_e32 v36, v38, v35
	v_fma_f32 v32, -v32, v36, v37
	s_delay_alu instid0(VALU_DEP_1) | instskip(SKIP_2) | instid1(VALU_DEP_2)
	v_div_fmas_f32 v32, v32, v35, v36
	s_wait_loadcnt 0x0
	v_fma_f32 v35, v18, v30, v19
	v_div_fixup_f32 v31, v32, v31, 1.0
	v_fma_f32 v32, v19, v30, -v18
	s_delay_alu instid0(VALU_DEP_1)
	v_dual_mul_f32 v30, v35, v31 :: v_dual_mul_f32 v32, v32, v31
.LBB118_123:                            ;   in Loop: Header=BB118_114 Depth=1
	s_or_b32 exec_lo, exec_lo, s1
	v_mov_b64_e32 v[36:37], s[4:5]
	v_mov_b64_e32 v[38:39], s[8:9]
	s_mov_b32 s1, 0
	s_delay_alu instid0(VALU_DEP_2) | instskip(NEXT) | instid1(VALU_DEP_2)
	v_pk_mul_f32 v[36:37], v[32:33], v[36:37] op_sel_hi:[0,1]
	v_pk_mul_f32 v[40:41], v[30:31], v[38:39] op_sel_hi:[0,1]
	s_delay_alu instid0(VALU_DEP_2) | instskip(NEXT) | instid1(VALU_DEP_2)
	v_pk_fma_f32 v[30:31], v[30:31], v[38:39], v[36:37] op_sel_hi:[0,1,1]
	v_sub_f32_e32 v30, v40, v36
.LBB118_124:                            ;   in Loop: Header=BB118_114 Depth=1
	s_and_b32 vcc_lo, exec_lo, s1
	s_cbranch_vccz .LBB118_134
; %bb.125:                              ;   in Loop: Header=BB118_114 Depth=1
                                        ; implicit-def: $vgpr31
	s_and_saveexec_b32 s1, s0
	s_delay_alu instid0(SALU_CYCLE_1)
	s_xor_b32 s1, exec_lo, s1
	s_cbranch_execz .LBB118_131
; %bb.126:                              ;   in Loop: Header=BB118_114 Depth=1
	v_cmp_neq_f32_e32 vcc_lo, 0, v22
	v_cmp_neq_f32_e64 s0, 0, v23
                                        ; implicit-def: $vgpr31
	s_or_b32 s0, vcc_lo, s0
	s_delay_alu instid0(SALU_CYCLE_1) | instskip(NEXT) | instid1(SALU_CYCLE_1)
	s_and_saveexec_b32 s20, s0
	s_xor_b32 s0, exec_lo, s20
	s_cbranch_execz .LBB118_128
; %bb.127:                              ;   in Loop: Header=BB118_114 Depth=1
	v_div_scale_f32 v30, null, v22, v22, v23
	v_div_scale_f32 v33, vcc_lo, v23, v22, v23
	s_delay_alu instid0(VALU_DEP_2) | instskip(SKIP_1) | instid1(TRANS32_DEP_1)
	v_rcp_f32_e32 v31, v30
	v_nop
	v_fma_f32 v32, -v30, v31, 1.0
	s_delay_alu instid0(VALU_DEP_1) | instskip(NEXT) | instid1(VALU_DEP_1)
	v_fmac_f32_e32 v31, v32, v31
	v_mul_f32_e32 v32, v33, v31
	s_delay_alu instid0(VALU_DEP_1) | instskip(NEXT) | instid1(VALU_DEP_1)
	v_fma_f32 v34, -v30, v32, v33
	v_fmac_f32_e32 v32, v34, v31
	s_delay_alu instid0(VALU_DEP_1) | instskip(NEXT) | instid1(VALU_DEP_1)
	v_fma_f32 v30, -v30, v32, v33
	v_div_fmas_f32 v30, v30, v31, v32
	s_delay_alu instid0(VALU_DEP_1) | instskip(NEXT) | instid1(VALU_DEP_1)
	v_div_fixup_f32 v30, v30, v22, v23
	v_fma_f32 v34, v23, v30, v22
	s_delay_alu instid0(VALU_DEP_1) | instskip(SKIP_1) | instid1(VALU_DEP_2)
	v_div_scale_f32 v31, null, v34, v34, 1.0
	v_div_scale_f32 v35, vcc_lo, 1.0, v34, 1.0
	v_rcp_f32_e32 v32, v31
	v_nop
	s_delay_alu instid0(TRANS32_DEP_1) | instskip(NEXT) | instid1(VALU_DEP_1)
	v_fma_f32 v33, -v31, v32, 1.0
	v_fmac_f32_e32 v32, v33, v32
	s_delay_alu instid0(VALU_DEP_1) | instskip(NEXT) | instid1(VALU_DEP_1)
	v_mul_f32_e32 v33, v35, v32
	v_fma_f32 v36, -v31, v33, v35
	s_delay_alu instid0(VALU_DEP_1) | instskip(NEXT) | instid1(VALU_DEP_1)
	v_fmac_f32_e32 v33, v36, v32
	v_fma_f32 v31, -v31, v33, v35
	s_delay_alu instid0(VALU_DEP_1) | instskip(SKIP_3) | instid1(VALU_DEP_3)
	v_div_fmas_f32 v35, v31, v32, v33
	s_wait_loadcnt 0x0
	v_pk_fma_f32 v[32:33], v[18:19], v[30:31], v[18:19] op_sel:[1,0,0] op_sel_hi:[0,0,1] neg_lo:[1,0,0] neg_hi:[1,0,0]
	v_pk_fma_f32 v[30:31], v[18:19], v[30:31], v[18:19] op_sel:[1,0,0] op_sel_hi:[0,0,1]
	v_div_fixup_f32 v32, v35, v34, 1.0
	s_delay_alu instid0(VALU_DEP_3) | instskip(NEXT) | instid1(VALU_DEP_1)
	v_mov_b32_e32 v31, v33
                                        ; implicit-def: $vgpr34
	v_pk_mul_f32 v[30:31], v[30:31], v[32:33] op_sel_hi:[1,0]
                                        ; implicit-def: $vgpr33
.LBB118_128:                            ;   in Loop: Header=BB118_114 Depth=1
	s_and_not1_saveexec_b32 s20, s0
	s_cbranch_execz .LBB118_130
; %bb.129:                              ;   in Loop: Header=BB118_114 Depth=1
	s_wait_loadcnt 0x0
	v_div_scale_f32 v30, null, v34, v34, v18
	v_div_scale_f32 v31, null, v33, v33, v19
	v_div_scale_f32 v38, vcc_lo, v18, v34, v18
	s_delay_alu instid0(VALU_DEP_3) | instskip(NEXT) | instid1(VALU_DEP_2)
	v_rcp_f32_e32 v32, v30
	v_rcp_f32_e32 v35, v31
	s_delay_alu instid0(TRANS32_DEP_2) | instskip(NEXT) | instid1(TRANS32_DEP_1)
	v_fma_f32 v36, -v30, v32, 1.0
	v_fma_f32 v37, -v31, v35, 1.0
	s_delay_alu instid0(VALU_DEP_1) | instskip(SKIP_1) | instid1(VALU_DEP_1)
	v_dual_fmac_f32 v32, v36, v32 :: v_dual_fmac_f32 v35, v37, v35
	v_div_scale_f32 v36, s0, v19, v33, v19
	v_dual_mul_f32 v37, v38, v32 :: v_dual_mul_f32 v39, v36, v35
	s_delay_alu instid0(VALU_DEP_1) | instskip(NEXT) | instid1(VALU_DEP_1)
	v_dual_fma_f32 v40, -v30, v37, v38 :: v_dual_fma_f32 v41, -v31, v39, v36
	v_dual_fmac_f32 v37, v40, v32 :: v_dual_fmac_f32 v39, v41, v35
	s_delay_alu instid0(VALU_DEP_1) | instskip(NEXT) | instid1(VALU_DEP_1)
	v_dual_fma_f32 v30, -v30, v37, v38 :: v_dual_fma_f32 v31, -v31, v39, v36
	v_div_fmas_f32 v30, v30, v32, v37
	s_mov_b32 vcc_lo, s0
	s_delay_alu instid0(VALU_DEP_2) | instskip(NEXT) | instid1(VALU_DEP_2)
	v_div_fmas_f32 v31, v31, v35, v39
	v_div_fixup_f32 v30, v30, v34, v18
	s_delay_alu instid0(VALU_DEP_2)
	v_div_fixup_f32 v31, v31, v33, v19
.LBB118_130:                            ;   in Loop: Header=BB118_114 Depth=1
	s_or_b32 exec_lo, exec_lo, s20
.LBB118_131:                            ;   in Loop: Header=BB118_114 Depth=1
	s_and_not1_saveexec_b32 s0, s1
	s_cbranch_execz .LBB118_133
; %bb.132:                              ;   in Loop: Header=BB118_114 Depth=1
	v_div_scale_f32 v30, null, v23, v23, v22
	v_div_scale_f32 v33, vcc_lo, v22, v23, v22
	s_delay_alu instid0(VALU_DEP_2) | instskip(SKIP_1) | instid1(TRANS32_DEP_1)
	v_rcp_f32_e32 v31, v30
	v_nop
	v_fma_f32 v32, -v30, v31, 1.0
	s_delay_alu instid0(VALU_DEP_1) | instskip(NEXT) | instid1(VALU_DEP_1)
	v_fmac_f32_e32 v31, v32, v31
	v_mul_f32_e32 v32, v33, v31
	s_delay_alu instid0(VALU_DEP_1) | instskip(NEXT) | instid1(VALU_DEP_1)
	v_fma_f32 v34, -v30, v32, v33
	v_fmac_f32_e32 v32, v34, v31
	s_delay_alu instid0(VALU_DEP_1) | instskip(NEXT) | instid1(VALU_DEP_1)
	v_fma_f32 v30, -v30, v32, v33
	v_div_fmas_f32 v30, v30, v31, v32
	s_delay_alu instid0(VALU_DEP_1) | instskip(NEXT) | instid1(VALU_DEP_1)
	v_div_fixup_f32 v30, v30, v23, v22
	v_fma_f32 v31, v22, v30, v23
	s_delay_alu instid0(VALU_DEP_1) | instskip(SKIP_1) | instid1(VALU_DEP_2)
	v_div_scale_f32 v22, null, v31, v31, 1.0
	v_div_scale_f32 v33, vcc_lo, 1.0, v31, 1.0
	v_rcp_f32_e32 v23, v22
	v_nop
	s_delay_alu instid0(TRANS32_DEP_1) | instskip(NEXT) | instid1(VALU_DEP_1)
	v_fma_f32 v32, -v22, v23, 1.0
	v_fmac_f32_e32 v23, v32, v23
	s_delay_alu instid0(VALU_DEP_1) | instskip(NEXT) | instid1(VALU_DEP_1)
	v_mul_f32_e32 v32, v33, v23
	v_fma_f32 v34, -v22, v32, v33
	s_delay_alu instid0(VALU_DEP_1) | instskip(NEXT) | instid1(VALU_DEP_1)
	v_fmac_f32_e32 v32, v34, v23
	v_fma_f32 v22, -v22, v32, v33
	s_delay_alu instid0(VALU_DEP_1) | instskip(SKIP_3) | instid1(VALU_DEP_3)
	v_div_fmas_f32 v32, v22, v23, v32
	s_wait_loadcnt 0x0
	v_pk_fma_f32 v[22:23], v[18:19], v[30:31], v[18:19] op_sel:[0,0,1] op_sel_hi:[1,0,0] neg_lo:[0,0,1] neg_hi:[0,0,1]
	v_pk_fma_f32 v[18:19], v[18:19], v[30:31], v[18:19] op_sel:[0,0,1] op_sel_hi:[1,0,0]
	v_div_fixup_f32 v22, v32, v31, 1.0
	s_delay_alu instid0(VALU_DEP_3) | instskip(NEXT) | instid1(VALU_DEP_1)
	v_mov_b32_e32 v19, v23
	v_pk_mul_f32 v[30:31], v[18:19], v[22:23] op_sel_hi:[1,0]
.LBB118_133:                            ;   in Loop: Header=BB118_114 Depth=1
	s_or_b32 exec_lo, exec_lo, s0
.LBB118_134:                            ;   in Loop: Header=BB118_114 Depth=1
	v_cmp_gt_f32_e32 vcc_lo, 0, v25
	s_mov_b32 s1, -1
                                        ; implicit-def: $vgpr19
	v_cndmask_b32_e64 v23, v25, -v25, vcc_lo
	v_cmp_gt_f32_e32 vcc_lo, 0, v24
	v_cndmask_b32_e64 v32, v24, -v24, vcc_lo
	s_and_not1_b32 vcc_lo, exec_lo, s18
	s_delay_alu instid0(VALU_DEP_1)
	v_cmp_ge_f32_e64 s0, v32, v23
	s_cbranch_vccnz .LBB118_144
; %bb.135:                              ;   in Loop: Header=BB118_114 Depth=1
                                        ; implicit-def: $vgpr22
                                        ; implicit-def: $vgpr18
	s_and_saveexec_b32 s1, s0
	s_delay_alu instid0(SALU_CYCLE_1)
	s_xor_b32 s20, exec_lo, s1
	s_cbranch_execz .LBB118_141
; %bb.136:                              ;   in Loop: Header=BB118_114 Depth=1
	v_cmp_neq_f32_e32 vcc_lo, 0, v24
	v_cmp_neq_f32_e64 s1, 0, v25
                                        ; implicit-def: $vgpr22
                                        ; implicit-def: $vgpr18
	s_or_b32 s1, vcc_lo, s1
	s_delay_alu instid0(SALU_CYCLE_1) | instskip(NEXT) | instid1(SALU_CYCLE_1)
	s_and_saveexec_b32 s21, s1
	s_xor_b32 s1, exec_lo, s21
	s_cbranch_execz .LBB118_138
; %bb.137:                              ;   in Loop: Header=BB118_114 Depth=1
	s_wait_loadcnt 0x0
	v_div_scale_f32 v18, null, v24, v24, v25
	v_div_scale_f32 v33, vcc_lo, v25, v24, v25
	s_delay_alu instid0(VALU_DEP_2) | instskip(SKIP_1) | instid1(TRANS32_DEP_1)
	v_rcp_f32_e32 v19, v18
	v_nop
	v_fma_f32 v22, -v18, v19, 1.0
	s_delay_alu instid0(VALU_DEP_1) | instskip(NEXT) | instid1(VALU_DEP_1)
	v_fmac_f32_e32 v19, v22, v19
	v_mul_f32_e32 v22, v33, v19
	s_delay_alu instid0(VALU_DEP_1) | instskip(NEXT) | instid1(VALU_DEP_1)
	v_fma_f32 v34, -v18, v22, v33
	v_fmac_f32_e32 v22, v34, v19
	s_delay_alu instid0(VALU_DEP_1) | instskip(NEXT) | instid1(VALU_DEP_1)
	v_fma_f32 v18, -v18, v22, v33
	v_div_fmas_f32 v18, v18, v19, v22
	s_delay_alu instid0(VALU_DEP_1) | instskip(NEXT) | instid1(VALU_DEP_1)
	v_div_fixup_f32 v18, v18, v24, v25
	v_fma_f32 v19, v25, v18, v24
	s_delay_alu instid0(VALU_DEP_1) | instskip(SKIP_1) | instid1(VALU_DEP_2)
	v_div_scale_f32 v22, null, v19, v19, 1.0
	v_div_scale_f32 v35, vcc_lo, 1.0, v19, 1.0
	v_rcp_f32_e32 v33, v22
	v_nop
	s_delay_alu instid0(TRANS32_DEP_1) | instskip(NEXT) | instid1(VALU_DEP_1)
	v_fma_f32 v34, -v22, v33, 1.0
	v_fmac_f32_e32 v33, v34, v33
	s_delay_alu instid0(VALU_DEP_1) | instskip(NEXT) | instid1(VALU_DEP_1)
	v_mul_f32_e32 v34, v35, v33
	v_fma_f32 v36, -v22, v34, v35
	s_delay_alu instid0(VALU_DEP_1) | instskip(NEXT) | instid1(VALU_DEP_1)
	v_fmac_f32_e32 v34, v36, v33
	v_fma_f32 v22, -v22, v34, v35
	s_delay_alu instid0(VALU_DEP_1) | instskip(SKIP_1) | instid1(VALU_DEP_2)
	v_div_fmas_f32 v22, v22, v33, v34
	v_fma_f32 v33, v21, v18, v20
	v_div_fixup_f32 v19, v22, v19, 1.0
	s_delay_alu instid0(VALU_DEP_1) | instskip(NEXT) | instid1(VALU_DEP_1)
	v_dual_fma_f32 v22, -v20, v18, v21 :: v_dual_mul_f32 v18, v33, v19
	v_mul_f32_e32 v22, v22, v19
.LBB118_138:                            ;   in Loop: Header=BB118_114 Depth=1
	s_and_not1_saveexec_b32 s21, s1
	s_cbranch_execz .LBB118_140
; %bb.139:                              ;   in Loop: Header=BB118_114 Depth=1
	s_wait_loadcnt 0x0
	v_div_scale_f32 v18, null, v32, v32, v20
	v_div_scale_f32 v19, null, v23, v23, v21
	v_div_scale_f32 v36, vcc_lo, v20, v32, v20
	s_delay_alu instid0(VALU_DEP_3) | instskip(NEXT) | instid1(VALU_DEP_2)
	v_rcp_f32_e32 v22, v18
	v_rcp_f32_e32 v33, v19
	s_delay_alu instid0(TRANS32_DEP_2) | instskip(NEXT) | instid1(TRANS32_DEP_1)
	v_fma_f32 v34, -v18, v22, 1.0
	v_fma_f32 v35, -v19, v33, 1.0
	s_delay_alu instid0(VALU_DEP_1) | instskip(SKIP_1) | instid1(VALU_DEP_1)
	v_dual_fmac_f32 v22, v34, v22 :: v_dual_fmac_f32 v33, v35, v33
	v_div_scale_f32 v34, s1, v21, v23, v21
	v_dual_mul_f32 v35, v36, v22 :: v_dual_mul_f32 v37, v34, v33
	s_delay_alu instid0(VALU_DEP_1) | instskip(NEXT) | instid1(VALU_DEP_1)
	v_dual_fma_f32 v38, -v18, v35, v36 :: v_dual_fma_f32 v39, -v19, v37, v34
	v_dual_fmac_f32 v35, v38, v22 :: v_dual_fmac_f32 v37, v39, v33
	s_delay_alu instid0(VALU_DEP_1) | instskip(NEXT) | instid1(VALU_DEP_1)
	v_dual_fma_f32 v18, -v18, v35, v36 :: v_dual_fma_f32 v19, -v19, v37, v34
	v_div_fmas_f32 v18, v18, v22, v35
	s_mov_b32 vcc_lo, s1
	s_delay_alu instid0(VALU_DEP_2) | instskip(NEXT) | instid1(VALU_DEP_2)
	v_div_fmas_f32 v19, v19, v33, v37
	v_div_fixup_f32 v18, v18, v32, v20
	s_delay_alu instid0(VALU_DEP_2)
	v_div_fixup_f32 v22, v19, v23, v21
.LBB118_140:                            ;   in Loop: Header=BB118_114 Depth=1
	s_or_b32 exec_lo, exec_lo, s21
.LBB118_141:                            ;   in Loop: Header=BB118_114 Depth=1
	s_and_not1_saveexec_b32 s1, s20
	s_cbranch_execz .LBB118_143
; %bb.142:                              ;   in Loop: Header=BB118_114 Depth=1
	s_wait_loadcnt 0x0
	v_div_scale_f32 v18, null, v25, v25, v24
	v_div_scale_f32 v33, vcc_lo, v24, v25, v24
	s_delay_alu instid0(VALU_DEP_2) | instskip(SKIP_1) | instid1(TRANS32_DEP_1)
	v_rcp_f32_e32 v19, v18
	v_nop
	v_fma_f32 v22, -v18, v19, 1.0
	s_delay_alu instid0(VALU_DEP_1) | instskip(NEXT) | instid1(VALU_DEP_1)
	v_fmac_f32_e32 v19, v22, v19
	v_mul_f32_e32 v22, v33, v19
	s_delay_alu instid0(VALU_DEP_1) | instskip(NEXT) | instid1(VALU_DEP_1)
	v_fma_f32 v34, -v18, v22, v33
	v_fmac_f32_e32 v22, v34, v19
	s_delay_alu instid0(VALU_DEP_1) | instskip(NEXT) | instid1(VALU_DEP_1)
	v_fma_f32 v18, -v18, v22, v33
	v_div_fmas_f32 v18, v18, v19, v22
	s_delay_alu instid0(VALU_DEP_1) | instskip(NEXT) | instid1(VALU_DEP_1)
	v_div_fixup_f32 v18, v18, v25, v24
	v_fma_f32 v19, v24, v18, v25
	s_delay_alu instid0(VALU_DEP_1) | instskip(SKIP_1) | instid1(VALU_DEP_2)
	v_div_scale_f32 v22, null, v19, v19, 1.0
	v_div_scale_f32 v35, vcc_lo, 1.0, v19, 1.0
	v_rcp_f32_e32 v33, v22
	v_nop
	s_delay_alu instid0(TRANS32_DEP_1) | instskip(NEXT) | instid1(VALU_DEP_1)
	v_fma_f32 v34, -v22, v33, 1.0
	v_fmac_f32_e32 v33, v34, v33
	s_delay_alu instid0(VALU_DEP_1) | instskip(NEXT) | instid1(VALU_DEP_1)
	v_mul_f32_e32 v34, v35, v33
	v_fma_f32 v36, -v22, v34, v35
	s_delay_alu instid0(VALU_DEP_1) | instskip(NEXT) | instid1(VALU_DEP_1)
	v_fmac_f32_e32 v34, v36, v33
	v_fma_f32 v22, -v22, v34, v35
	s_delay_alu instid0(VALU_DEP_1) | instskip(NEXT) | instid1(VALU_DEP_1)
	v_div_fmas_f32 v22, v22, v33, v34
	v_div_fixup_f32 v19, v22, v19, 1.0
	v_dual_fma_f32 v22, v21, v18, -v20 :: v_dual_fma_f32 v33, v20, v18, v21
	s_delay_alu instid0(VALU_DEP_1)
	v_dual_mul_f32 v22, v22, v19 :: v_dual_mul_f32 v18, v33, v19
.LBB118_143:                            ;   in Loop: Header=BB118_114 Depth=1
	s_or_b32 exec_lo, exec_lo, s1
	v_mov_b64_e32 v[34:35], s[4:5]
	v_mov_b64_e32 v[36:37], s[8:9]
	s_mov_b32 s1, 0
	s_delay_alu instid0(VALU_DEP_2) | instskip(SKIP_1) | instid1(VALU_DEP_2)
	v_pk_mul_f32 v[34:35], v[22:23], v[34:35] op_sel_hi:[0,1]
	s_wait_loadcnt 0x0
	v_pk_mul_f32 v[38:39], v[18:19], v[36:37] op_sel_hi:[0,1]
	s_delay_alu instid0(VALU_DEP_2) | instskip(NEXT) | instid1(VALU_DEP_2)
	v_pk_fma_f32 v[18:19], v[18:19], v[36:37], v[34:35] op_sel_hi:[0,1,1]
	v_sub_f32_e32 v18, v38, v34
.LBB118_144:                            ;   in Loop: Header=BB118_114 Depth=1
	s_and_b32 vcc_lo, exec_lo, s1
	s_cbranch_vccz .LBB118_154
; %bb.145:                              ;   in Loop: Header=BB118_114 Depth=1
                                        ; implicit-def: $vgpr19
	s_and_saveexec_b32 s1, s0
	s_delay_alu instid0(SALU_CYCLE_1)
	s_xor_b32 s1, exec_lo, s1
	s_cbranch_execz .LBB118_151
; %bb.146:                              ;   in Loop: Header=BB118_114 Depth=1
	v_cmp_neq_f32_e32 vcc_lo, 0, v24
	v_cmp_neq_f32_e64 s0, 0, v25
                                        ; implicit-def: $vgpr19
	s_or_b32 s0, vcc_lo, s0
	s_delay_alu instid0(SALU_CYCLE_1) | instskip(NEXT) | instid1(SALU_CYCLE_1)
	s_and_saveexec_b32 s20, s0
	s_xor_b32 s0, exec_lo, s20
	s_cbranch_execz .LBB118_148
; %bb.147:                              ;   in Loop: Header=BB118_114 Depth=1
	s_wait_loadcnt 0x0
	v_div_scale_f32 v18, null, v24, v24, v25
	v_div_scale_f32 v23, vcc_lo, v25, v24, v25
	s_delay_alu instid0(VALU_DEP_2) | instskip(SKIP_1) | instid1(TRANS32_DEP_1)
	v_rcp_f32_e32 v19, v18
	v_nop
	v_fma_f32 v22, -v18, v19, 1.0
	s_delay_alu instid0(VALU_DEP_1) | instskip(NEXT) | instid1(VALU_DEP_1)
	v_fmac_f32_e32 v19, v22, v19
	v_mul_f32_e32 v22, v23, v19
	s_delay_alu instid0(VALU_DEP_1) | instskip(NEXT) | instid1(VALU_DEP_1)
	v_fma_f32 v32, -v18, v22, v23
	v_fmac_f32_e32 v22, v32, v19
	s_delay_alu instid0(VALU_DEP_1) | instskip(NEXT) | instid1(VALU_DEP_1)
	v_fma_f32 v18, -v18, v22, v23
	v_div_fmas_f32 v18, v18, v19, v22
	s_delay_alu instid0(VALU_DEP_1) | instskip(NEXT) | instid1(VALU_DEP_1)
	v_div_fixup_f32 v18, v18, v24, v25
	v_fmac_f32_e32 v24, v25, v18
	s_delay_alu instid0(VALU_DEP_1) | instskip(SKIP_1) | instid1(VALU_DEP_2)
	v_div_scale_f32 v19, null, v24, v24, 1.0
	v_div_scale_f32 v25, vcc_lo, 1.0, v24, 1.0
	v_rcp_f32_e32 v22, v19
	v_nop
	s_delay_alu instid0(TRANS32_DEP_1) | instskip(NEXT) | instid1(VALU_DEP_1)
	v_fma_f32 v23, -v19, v22, 1.0
	v_fmac_f32_e32 v22, v23, v22
	s_delay_alu instid0(VALU_DEP_1) | instskip(NEXT) | instid1(VALU_DEP_1)
	v_mul_f32_e32 v23, v25, v22
	v_fma_f32 v32, -v19, v23, v25
	s_delay_alu instid0(VALU_DEP_1) | instskip(NEXT) | instid1(VALU_DEP_1)
	v_fmac_f32_e32 v23, v32, v22
                                        ; implicit-def: $vgpr32
	v_fma_f32 v19, -v19, v23, v25
	s_delay_alu instid0(VALU_DEP_1) | instskip(SKIP_2) | instid1(VALU_DEP_3)
	v_div_fmas_f32 v25, v19, v22, v23
	v_pk_fma_f32 v[22:23], v[20:21], v[18:19], v[20:21] op_sel:[1,0,0] op_sel_hi:[0,0,1] neg_lo:[1,0,0] neg_hi:[1,0,0]
	v_pk_fma_f32 v[18:19], v[20:21], v[18:19], v[20:21] op_sel:[1,0,0] op_sel_hi:[0,0,1]
	v_div_fixup_f32 v20, v25, v24, 1.0
	s_delay_alu instid0(VALU_DEP_3) | instskip(NEXT) | instid1(VALU_DEP_1)
	v_mov_b32_e32 v19, v23
                                        ; implicit-def: $vgpr23
	v_pk_mul_f32 v[18:19], v[18:19], v[20:21] op_sel_hi:[1,0]
                                        ; implicit-def: $vgpr20_vgpr21
.LBB118_148:                            ;   in Loop: Header=BB118_114 Depth=1
	s_and_not1_saveexec_b32 s20, s0
	s_cbranch_execz .LBB118_150
; %bb.149:                              ;   in Loop: Header=BB118_114 Depth=1
	s_wait_loadcnt 0x0
	v_div_scale_f32 v18, null, v32, v32, v20
	v_div_scale_f32 v19, null, v23, v23, v21
	v_div_scale_f32 v34, vcc_lo, v20, v32, v20
	s_delay_alu instid0(VALU_DEP_3) | instskip(NEXT) | instid1(VALU_DEP_2)
	v_rcp_f32_e32 v22, v18
	v_rcp_f32_e32 v24, v19
	s_delay_alu instid0(TRANS32_DEP_2) | instskip(NEXT) | instid1(TRANS32_DEP_1)
	v_fma_f32 v25, -v18, v22, 1.0
	v_fma_f32 v33, -v19, v24, 1.0
	s_delay_alu instid0(VALU_DEP_1) | instskip(NEXT) | instid1(VALU_DEP_3)
	v_fmac_f32_e32 v24, v33, v24
	v_fmac_f32_e32 v22, v25, v22
	v_div_scale_f32 v25, s0, v21, v23, v21
	s_delay_alu instid0(VALU_DEP_1) | instskip(NEXT) | instid1(VALU_DEP_1)
	v_dual_mul_f32 v35, v25, v24 :: v_dual_mul_f32 v33, v34, v22
	v_dual_fma_f32 v37, -v19, v35, v25 :: v_dual_fma_f32 v36, -v18, v33, v34
	s_delay_alu instid0(VALU_DEP_1) | instskip(NEXT) | instid1(VALU_DEP_1)
	v_dual_fmac_f32 v35, v37, v24 :: v_dual_fmac_f32 v33, v36, v22
	v_dual_fma_f32 v19, -v19, v35, v25 :: v_dual_fma_f32 v18, -v18, v33, v34
	s_delay_alu instid0(VALU_DEP_1) | instskip(SKIP_1) | instid1(VALU_DEP_2)
	v_div_fmas_f32 v18, v18, v22, v33
	s_mov_b32 vcc_lo, s0
	v_div_fmas_f32 v19, v19, v24, v35
	s_delay_alu instid0(VALU_DEP_2) | instskip(NEXT) | instid1(VALU_DEP_2)
	v_div_fixup_f32 v18, v18, v32, v20
	v_div_fixup_f32 v19, v19, v23, v21
.LBB118_150:                            ;   in Loop: Header=BB118_114 Depth=1
	s_or_b32 exec_lo, exec_lo, s20
                                        ; implicit-def: $vgpr22_vgpr23_vgpr24_vgpr25
                                        ; implicit-def: $vgpr20_vgpr21
.LBB118_151:                            ;   in Loop: Header=BB118_114 Depth=1
	s_and_not1_saveexec_b32 s0, s1
	s_cbranch_execz .LBB118_153
; %bb.152:                              ;   in Loop: Header=BB118_114 Depth=1
	s_wait_loadcnt 0x0
	v_div_scale_f32 v18, null, v25, v25, v24
	v_div_scale_f32 v23, vcc_lo, v24, v25, v24
	s_delay_alu instid0(VALU_DEP_2) | instskip(SKIP_1) | instid1(TRANS32_DEP_1)
	v_rcp_f32_e32 v19, v18
	v_nop
	v_fma_f32 v22, -v18, v19, 1.0
	s_delay_alu instid0(VALU_DEP_1) | instskip(NEXT) | instid1(VALU_DEP_1)
	v_fmac_f32_e32 v19, v22, v19
	v_mul_f32_e32 v22, v23, v19
	s_delay_alu instid0(VALU_DEP_1) | instskip(NEXT) | instid1(VALU_DEP_1)
	v_fma_f32 v32, -v18, v22, v23
	v_fmac_f32_e32 v22, v32, v19
	s_delay_alu instid0(VALU_DEP_1) | instskip(NEXT) | instid1(VALU_DEP_1)
	v_fma_f32 v18, -v18, v22, v23
	v_div_fmas_f32 v18, v18, v19, v22
	s_delay_alu instid0(VALU_DEP_1) | instskip(NEXT) | instid1(VALU_DEP_1)
	v_div_fixup_f32 v18, v18, v25, v24
	v_fmac_f32_e32 v25, v24, v18
	s_delay_alu instid0(VALU_DEP_1) | instskip(SKIP_1) | instid1(VALU_DEP_2)
	v_div_scale_f32 v19, null, v25, v25, 1.0
	v_div_scale_f32 v24, vcc_lo, 1.0, v25, 1.0
	v_rcp_f32_e32 v22, v19
	v_nop
	s_delay_alu instid0(TRANS32_DEP_1) | instskip(NEXT) | instid1(VALU_DEP_1)
	v_fma_f32 v23, -v19, v22, 1.0
	v_fmac_f32_e32 v22, v23, v22
	s_delay_alu instid0(VALU_DEP_1) | instskip(NEXT) | instid1(VALU_DEP_1)
	v_mul_f32_e32 v23, v24, v22
	v_fma_f32 v32, -v19, v23, v24
	s_delay_alu instid0(VALU_DEP_1) | instskip(NEXT) | instid1(VALU_DEP_1)
	v_fmac_f32_e32 v23, v32, v22
	v_fma_f32 v19, -v19, v23, v24
	s_delay_alu instid0(VALU_DEP_1) | instskip(SKIP_2) | instid1(VALU_DEP_3)
	v_div_fmas_f32 v24, v19, v22, v23
	v_pk_fma_f32 v[22:23], v[20:21], v[18:19], v[20:21] op_sel:[0,0,1] op_sel_hi:[1,0,0] neg_lo:[0,0,1] neg_hi:[0,0,1]
	v_pk_fma_f32 v[18:19], v[20:21], v[18:19], v[20:21] op_sel:[0,0,1] op_sel_hi:[1,0,0]
	v_div_fixup_f32 v20, v24, v25, 1.0
	s_delay_alu instid0(VALU_DEP_3) | instskip(NEXT) | instid1(VALU_DEP_1)
	v_mov_b32_e32 v19, v23
	v_pk_mul_f32 v[18:19], v[18:19], v[20:21] op_sel_hi:[1,0]
.LBB118_153:                            ;   in Loop: Header=BB118_114 Depth=1
	s_or_b32 exec_lo, exec_lo, s0
.LBB118_154:                            ;   in Loop: Header=BB118_114 Depth=1
	s_wait_loadcnt 0x4
	v_cmp_gt_f32_e32 vcc_lo, 0, v15
	s_mov_b32 s1, -1
                                        ; implicit-def: $vgpr21
	v_cndmask_b32_e64 v23, v15, -v15, vcc_lo
	v_cmp_gt_f32_e32 vcc_lo, 0, v14
	v_cndmask_b32_e64 v24, v14, -v14, vcc_lo
	s_and_not1_b32 vcc_lo, exec_lo, s18
	s_delay_alu instid0(VALU_DEP_1)
	v_cmp_ge_f32_e64 s0, v24, v23
	s_cbranch_vccnz .LBB118_164
; %bb.155:                              ;   in Loop: Header=BB118_114 Depth=1
                                        ; implicit-def: $vgpr22
                                        ; implicit-def: $vgpr20
	s_and_saveexec_b32 s1, s0
	s_delay_alu instid0(SALU_CYCLE_1)
	s_xor_b32 s20, exec_lo, s1
	s_cbranch_execz .LBB118_161
; %bb.156:                              ;   in Loop: Header=BB118_114 Depth=1
	v_cmp_neq_f32_e32 vcc_lo, 0, v14
	v_cmp_neq_f32_e64 s1, 0, v15
                                        ; implicit-def: $vgpr22
                                        ; implicit-def: $vgpr20
	s_or_b32 s1, vcc_lo, s1
	s_delay_alu instid0(SALU_CYCLE_1) | instskip(NEXT) | instid1(SALU_CYCLE_1)
	s_and_saveexec_b32 s21, s1
	s_xor_b32 s1, exec_lo, s21
	s_cbranch_execz .LBB118_158
; %bb.157:                              ;   in Loop: Header=BB118_114 Depth=1
	s_wait_loadcnt 0x0
	v_div_scale_f32 v20, null, v14, v14, v15
	v_div_scale_f32 v25, vcc_lo, v15, v14, v15
	s_delay_alu instid0(VALU_DEP_2) | instskip(SKIP_1) | instid1(TRANS32_DEP_1)
	v_rcp_f32_e32 v21, v20
	v_nop
	v_fma_f32 v22, -v20, v21, 1.0
	s_delay_alu instid0(VALU_DEP_1) | instskip(NEXT) | instid1(VALU_DEP_1)
	v_fmac_f32_e32 v21, v22, v21
	v_mul_f32_e32 v22, v25, v21
	s_delay_alu instid0(VALU_DEP_1) | instskip(NEXT) | instid1(VALU_DEP_1)
	v_fma_f32 v32, -v20, v22, v25
	v_fmac_f32_e32 v22, v32, v21
	s_delay_alu instid0(VALU_DEP_1) | instskip(NEXT) | instid1(VALU_DEP_1)
	v_fma_f32 v20, -v20, v22, v25
	v_div_fmas_f32 v20, v20, v21, v22
	s_delay_alu instid0(VALU_DEP_1) | instskip(NEXT) | instid1(VALU_DEP_1)
	v_div_fixup_f32 v20, v20, v14, v15
	v_fma_f32 v21, v15, v20, v14
	s_delay_alu instid0(VALU_DEP_1) | instskip(SKIP_1) | instid1(VALU_DEP_2)
	v_div_scale_f32 v22, null, v21, v21, 1.0
	v_div_scale_f32 v33, vcc_lo, 1.0, v21, 1.0
	v_rcp_f32_e32 v25, v22
	v_nop
	s_delay_alu instid0(TRANS32_DEP_1) | instskip(NEXT) | instid1(VALU_DEP_1)
	v_fma_f32 v32, -v22, v25, 1.0
	v_fmac_f32_e32 v25, v32, v25
	s_delay_alu instid0(VALU_DEP_1) | instskip(NEXT) | instid1(VALU_DEP_1)
	v_mul_f32_e32 v32, v33, v25
	v_fma_f32 v34, -v22, v32, v33
	s_delay_alu instid0(VALU_DEP_1) | instskip(NEXT) | instid1(VALU_DEP_1)
	v_fmac_f32_e32 v32, v34, v25
	v_fma_f32 v22, -v22, v32, v33
	s_delay_alu instid0(VALU_DEP_1) | instskip(SKIP_1) | instid1(VALU_DEP_2)
	v_div_fmas_f32 v22, v22, v25, v32
	v_fma_f32 v25, v11, v20, v10
	v_div_fixup_f32 v21, v22, v21, 1.0
	s_delay_alu instid0(VALU_DEP_1) | instskip(NEXT) | instid1(VALU_DEP_1)
	v_dual_fma_f32 v22, -v10, v20, v11 :: v_dual_mul_f32 v20, v25, v21
	v_mul_f32_e32 v22, v22, v21
.LBB118_158:                            ;   in Loop: Header=BB118_114 Depth=1
	s_and_not1_saveexec_b32 s21, s1
	s_cbranch_execz .LBB118_160
; %bb.159:                              ;   in Loop: Header=BB118_114 Depth=1
	s_wait_loadcnt 0x0
	v_div_scale_f32 v20, null, v24, v24, v10
	v_div_scale_f32 v21, null, v23, v23, v11
	v_div_scale_f32 v34, vcc_lo, v10, v24, v10
	s_delay_alu instid0(VALU_DEP_3) | instskip(NEXT) | instid1(VALU_DEP_2)
	v_rcp_f32_e32 v22, v20
	v_rcp_f32_e32 v25, v21
	s_delay_alu instid0(TRANS32_DEP_2) | instskip(NEXT) | instid1(TRANS32_DEP_1)
	v_fma_f32 v32, -v20, v22, 1.0
	v_fma_f32 v33, -v21, v25, 1.0
	s_delay_alu instid0(VALU_DEP_1) | instskip(SKIP_1) | instid1(VALU_DEP_1)
	v_dual_fmac_f32 v22, v32, v22 :: v_dual_fmac_f32 v25, v33, v25
	v_div_scale_f32 v32, s1, v11, v23, v11
	v_dual_mul_f32 v33, v34, v22 :: v_dual_mul_f32 v35, v32, v25
	s_delay_alu instid0(VALU_DEP_1) | instskip(NEXT) | instid1(VALU_DEP_1)
	v_dual_fma_f32 v36, -v20, v33, v34 :: v_dual_fma_f32 v37, -v21, v35, v32
	v_dual_fmac_f32 v33, v36, v22 :: v_dual_fmac_f32 v35, v37, v25
	s_delay_alu instid0(VALU_DEP_1) | instskip(NEXT) | instid1(VALU_DEP_1)
	v_dual_fma_f32 v20, -v20, v33, v34 :: v_dual_fma_f32 v21, -v21, v35, v32
	v_div_fmas_f32 v20, v20, v22, v33
	s_mov_b32 vcc_lo, s1
	s_delay_alu instid0(VALU_DEP_2) | instskip(NEXT) | instid1(VALU_DEP_2)
	v_div_fmas_f32 v21, v21, v25, v35
	v_div_fixup_f32 v20, v20, v24, v10
	s_delay_alu instid0(VALU_DEP_2)
	v_div_fixup_f32 v22, v21, v23, v11
.LBB118_160:                            ;   in Loop: Header=BB118_114 Depth=1
	s_or_b32 exec_lo, exec_lo, s21
.LBB118_161:                            ;   in Loop: Header=BB118_114 Depth=1
	s_and_not1_saveexec_b32 s1, s20
	s_cbranch_execz .LBB118_163
; %bb.162:                              ;   in Loop: Header=BB118_114 Depth=1
	s_wait_loadcnt 0x0
	v_div_scale_f32 v20, null, v15, v15, v14
	v_div_scale_f32 v25, vcc_lo, v14, v15, v14
	s_delay_alu instid0(VALU_DEP_2) | instskip(SKIP_1) | instid1(TRANS32_DEP_1)
	v_rcp_f32_e32 v21, v20
	v_nop
	v_fma_f32 v22, -v20, v21, 1.0
	s_delay_alu instid0(VALU_DEP_1) | instskip(NEXT) | instid1(VALU_DEP_1)
	v_fmac_f32_e32 v21, v22, v21
	v_mul_f32_e32 v22, v25, v21
	s_delay_alu instid0(VALU_DEP_1) | instskip(NEXT) | instid1(VALU_DEP_1)
	v_fma_f32 v32, -v20, v22, v25
	v_fmac_f32_e32 v22, v32, v21
	s_delay_alu instid0(VALU_DEP_1) | instskip(NEXT) | instid1(VALU_DEP_1)
	v_fma_f32 v20, -v20, v22, v25
	v_div_fmas_f32 v20, v20, v21, v22
	s_delay_alu instid0(VALU_DEP_1) | instskip(NEXT) | instid1(VALU_DEP_1)
	v_div_fixup_f32 v20, v20, v15, v14
	v_fma_f32 v21, v14, v20, v15
	s_delay_alu instid0(VALU_DEP_1) | instskip(SKIP_1) | instid1(VALU_DEP_2)
	v_div_scale_f32 v22, null, v21, v21, 1.0
	v_div_scale_f32 v33, vcc_lo, 1.0, v21, 1.0
	v_rcp_f32_e32 v25, v22
	v_nop
	s_delay_alu instid0(TRANS32_DEP_1) | instskip(NEXT) | instid1(VALU_DEP_1)
	v_fma_f32 v32, -v22, v25, 1.0
	v_fmac_f32_e32 v25, v32, v25
	s_delay_alu instid0(VALU_DEP_1) | instskip(NEXT) | instid1(VALU_DEP_1)
	v_mul_f32_e32 v32, v33, v25
	v_fma_f32 v34, -v22, v32, v33
	s_delay_alu instid0(VALU_DEP_1) | instskip(NEXT) | instid1(VALU_DEP_1)
	v_fmac_f32_e32 v32, v34, v25
	v_fma_f32 v22, -v22, v32, v33
	s_delay_alu instid0(VALU_DEP_1) | instskip(SKIP_1) | instid1(VALU_DEP_2)
	v_div_fmas_f32 v22, v22, v25, v32
	v_fma_f32 v25, v10, v20, v11
	v_div_fixup_f32 v21, v22, v21, 1.0
	s_delay_alu instid0(VALU_DEP_1) | instskip(NEXT) | instid1(VALU_DEP_1)
	v_dual_fma_f32 v22, v11, v20, -v10 :: v_dual_mul_f32 v20, v25, v21
	v_mul_f32_e32 v22, v22, v21
.LBB118_163:                            ;   in Loop: Header=BB118_114 Depth=1
	s_or_b32 exec_lo, exec_lo, s1
	v_mov_b64_e32 v[32:33], s[4:5]
	v_mov_b64_e32 v[34:35], s[8:9]
	s_mov_b32 s1, 0
	s_delay_alu instid0(VALU_DEP_2) | instskip(SKIP_1) | instid1(VALU_DEP_2)
	v_pk_mul_f32 v[32:33], v[22:23], v[32:33] op_sel_hi:[0,1]
	s_wait_loadcnt 0x0
	v_pk_mul_f32 v[36:37], v[20:21], v[34:35] op_sel_hi:[0,1]
	s_delay_alu instid0(VALU_DEP_2) | instskip(NEXT) | instid1(VALU_DEP_2)
	v_pk_fma_f32 v[20:21], v[20:21], v[34:35], v[32:33] op_sel_hi:[0,1,1]
	v_sub_f32_e32 v20, v36, v32
.LBB118_164:                            ;   in Loop: Header=BB118_114 Depth=1
	s_and_b32 vcc_lo, exec_lo, s1
	s_cbranch_vccz .LBB118_174
; %bb.165:                              ;   in Loop: Header=BB118_114 Depth=1
                                        ; implicit-def: $vgpr21
	s_and_saveexec_b32 s1, s0
	s_delay_alu instid0(SALU_CYCLE_1)
	s_xor_b32 s1, exec_lo, s1
	s_cbranch_execz .LBB118_171
; %bb.166:                              ;   in Loop: Header=BB118_114 Depth=1
	v_cmp_neq_f32_e32 vcc_lo, 0, v14
	v_cmp_neq_f32_e64 s0, 0, v15
                                        ; implicit-def: $vgpr21
	s_or_b32 s0, vcc_lo, s0
	s_delay_alu instid0(SALU_CYCLE_1) | instskip(NEXT) | instid1(SALU_CYCLE_1)
	s_and_saveexec_b32 s20, s0
	s_xor_b32 s0, exec_lo, s20
	s_cbranch_execz .LBB118_168
; %bb.167:                              ;   in Loop: Header=BB118_114 Depth=1
	s_wait_loadcnt 0x0
	v_div_scale_f32 v20, null, v14, v14, v15
	v_div_scale_f32 v23, vcc_lo, v15, v14, v15
	s_delay_alu instid0(VALU_DEP_2) | instskip(SKIP_1) | instid1(TRANS32_DEP_1)
	v_rcp_f32_e32 v21, v20
	v_nop
	v_fma_f32 v22, -v20, v21, 1.0
	s_delay_alu instid0(VALU_DEP_1) | instskip(NEXT) | instid1(VALU_DEP_1)
	v_fmac_f32_e32 v21, v22, v21
	v_mul_f32_e32 v22, v23, v21
	s_delay_alu instid0(VALU_DEP_1) | instskip(NEXT) | instid1(VALU_DEP_1)
	v_fma_f32 v24, -v20, v22, v23
	v_fmac_f32_e32 v22, v24, v21
	s_delay_alu instid0(VALU_DEP_1) | instskip(NEXT) | instid1(VALU_DEP_1)
	v_fma_f32 v20, -v20, v22, v23
	v_div_fmas_f32 v20, v20, v21, v22
	s_delay_alu instid0(VALU_DEP_1) | instskip(NEXT) | instid1(VALU_DEP_1)
	v_div_fixup_f32 v20, v20, v14, v15
	v_fma_f32 v24, v15, v20, v14
	s_delay_alu instid0(VALU_DEP_1) | instskip(SKIP_1) | instid1(VALU_DEP_2)
	v_div_scale_f32 v21, null, v24, v24, 1.0
	v_div_scale_f32 v25, vcc_lo, 1.0, v24, 1.0
	v_rcp_f32_e32 v22, v21
	v_nop
	s_delay_alu instid0(TRANS32_DEP_1) | instskip(NEXT) | instid1(VALU_DEP_1)
	v_fma_f32 v23, -v21, v22, 1.0
	v_fmac_f32_e32 v22, v23, v22
	s_delay_alu instid0(VALU_DEP_1) | instskip(NEXT) | instid1(VALU_DEP_1)
	v_mul_f32_e32 v23, v25, v22
	v_fma_f32 v32, -v21, v23, v25
	s_delay_alu instid0(VALU_DEP_1) | instskip(NEXT) | instid1(VALU_DEP_1)
	v_fmac_f32_e32 v23, v32, v22
	v_fma_f32 v21, -v21, v23, v25
	s_delay_alu instid0(VALU_DEP_1) | instskip(SKIP_2) | instid1(VALU_DEP_3)
	v_div_fmas_f32 v25, v21, v22, v23
	v_pk_fma_f32 v[22:23], v[10:11], v[20:21], v[10:11] op_sel:[1,0,0] op_sel_hi:[0,0,1] neg_lo:[1,0,0] neg_hi:[1,0,0]
	v_pk_fma_f32 v[20:21], v[10:11], v[20:21], v[10:11] op_sel:[1,0,0] op_sel_hi:[0,0,1]
	v_div_fixup_f32 v22, v25, v24, 1.0
	s_delay_alu instid0(VALU_DEP_3) | instskip(NEXT) | instid1(VALU_DEP_1)
	v_mov_b32_e32 v21, v23
                                        ; implicit-def: $vgpr24
	v_pk_mul_f32 v[20:21], v[20:21], v[22:23] op_sel_hi:[1,0]
                                        ; implicit-def: $vgpr23
.LBB118_168:                            ;   in Loop: Header=BB118_114 Depth=1
	s_and_not1_saveexec_b32 s20, s0
	s_cbranch_execz .LBB118_170
; %bb.169:                              ;   in Loop: Header=BB118_114 Depth=1
	s_wait_loadcnt 0x0
	v_div_scale_f32 v20, null, v24, v24, v10
	v_div_scale_f32 v21, null, v23, v23, v11
	v_div_scale_f32 v34, vcc_lo, v10, v24, v10
	s_delay_alu instid0(VALU_DEP_3) | instskip(NEXT) | instid1(VALU_DEP_2)
	v_rcp_f32_e32 v22, v20
	v_rcp_f32_e32 v25, v21
	s_delay_alu instid0(TRANS32_DEP_2) | instskip(NEXT) | instid1(TRANS32_DEP_1)
	v_fma_f32 v32, -v20, v22, 1.0
	v_fma_f32 v33, -v21, v25, 1.0
	s_delay_alu instid0(VALU_DEP_1) | instskip(SKIP_1) | instid1(VALU_DEP_1)
	v_dual_fmac_f32 v22, v32, v22 :: v_dual_fmac_f32 v25, v33, v25
	v_div_scale_f32 v32, s0, v11, v23, v11
	v_dual_mul_f32 v33, v34, v22 :: v_dual_mul_f32 v35, v32, v25
	s_delay_alu instid0(VALU_DEP_1) | instskip(NEXT) | instid1(VALU_DEP_1)
	v_dual_fma_f32 v36, -v20, v33, v34 :: v_dual_fma_f32 v37, -v21, v35, v32
	v_dual_fmac_f32 v33, v36, v22 :: v_dual_fmac_f32 v35, v37, v25
	s_delay_alu instid0(VALU_DEP_1) | instskip(NEXT) | instid1(VALU_DEP_1)
	v_dual_fma_f32 v20, -v20, v33, v34 :: v_dual_fma_f32 v21, -v21, v35, v32
	v_div_fmas_f32 v20, v20, v22, v33
	s_mov_b32 vcc_lo, s0
	s_delay_alu instid0(VALU_DEP_2) | instskip(NEXT) | instid1(VALU_DEP_2)
	v_div_fmas_f32 v21, v21, v25, v35
	v_div_fixup_f32 v20, v20, v24, v10
	s_delay_alu instid0(VALU_DEP_2)
	v_div_fixup_f32 v21, v21, v23, v11
.LBB118_170:                            ;   in Loop: Header=BB118_114 Depth=1
	s_or_b32 exec_lo, exec_lo, s20
.LBB118_171:                            ;   in Loop: Header=BB118_114 Depth=1
	s_and_not1_saveexec_b32 s0, s1
	s_cbranch_execz .LBB118_173
; %bb.172:                              ;   in Loop: Header=BB118_114 Depth=1
	s_wait_loadcnt 0x0
	v_div_scale_f32 v20, null, v15, v15, v14
	v_div_scale_f32 v23, vcc_lo, v14, v15, v14
	s_delay_alu instid0(VALU_DEP_2) | instskip(SKIP_1) | instid1(TRANS32_DEP_1)
	v_rcp_f32_e32 v21, v20
	v_nop
	v_fma_f32 v22, -v20, v21, 1.0
	s_delay_alu instid0(VALU_DEP_1) | instskip(NEXT) | instid1(VALU_DEP_1)
	v_fmac_f32_e32 v21, v22, v21
	v_mul_f32_e32 v22, v23, v21
	s_delay_alu instid0(VALU_DEP_1) | instskip(NEXT) | instid1(VALU_DEP_1)
	v_fma_f32 v24, -v20, v22, v23
	v_fmac_f32_e32 v22, v24, v21
	s_delay_alu instid0(VALU_DEP_1) | instskip(NEXT) | instid1(VALU_DEP_1)
	v_fma_f32 v20, -v20, v22, v23
	v_div_fmas_f32 v20, v20, v21, v22
	s_delay_alu instid0(VALU_DEP_1) | instskip(NEXT) | instid1(VALU_DEP_1)
	v_div_fixup_f32 v20, v20, v15, v14
	v_fma_f32 v21, v14, v20, v15
	s_delay_alu instid0(VALU_DEP_1) | instskip(SKIP_1) | instid1(VALU_DEP_2)
	v_div_scale_f32 v14, null, v21, v21, 1.0
	v_div_scale_f32 v23, vcc_lo, 1.0, v21, 1.0
	v_rcp_f32_e32 v15, v14
	v_nop
	s_delay_alu instid0(TRANS32_DEP_1) | instskip(NEXT) | instid1(VALU_DEP_1)
	v_fma_f32 v22, -v14, v15, 1.0
	v_fmac_f32_e32 v15, v22, v15
	s_delay_alu instid0(VALU_DEP_1) | instskip(NEXT) | instid1(VALU_DEP_1)
	v_mul_f32_e32 v22, v23, v15
	v_fma_f32 v24, -v14, v22, v23
	s_delay_alu instid0(VALU_DEP_1) | instskip(NEXT) | instid1(VALU_DEP_1)
	v_fmac_f32_e32 v22, v24, v15
	v_fma_f32 v14, -v14, v22, v23
	s_delay_alu instid0(VALU_DEP_1) | instskip(SKIP_2) | instid1(VALU_DEP_3)
	v_div_fmas_f32 v22, v14, v15, v22
	v_pk_fma_f32 v[14:15], v[10:11], v[20:21], v[10:11] op_sel:[0,0,1] op_sel_hi:[1,0,0] neg_lo:[0,0,1] neg_hi:[0,0,1]
	v_pk_fma_f32 v[10:11], v[10:11], v[20:21], v[10:11] op_sel:[0,0,1] op_sel_hi:[1,0,0]
	v_div_fixup_f32 v14, v22, v21, 1.0
	s_delay_alu instid0(VALU_DEP_3) | instskip(NEXT) | instid1(VALU_DEP_1)
	v_mov_b32_e32 v11, v15
	v_pk_mul_f32 v[20:21], v[10:11], v[14:15] op_sel_hi:[1,0]
.LBB118_173:                            ;   in Loop: Header=BB118_114 Depth=1
	s_or_b32 exec_lo, exec_lo, s0
.LBB118_174:                            ;   in Loop: Header=BB118_114 Depth=1
	v_cmp_gt_f32_e32 vcc_lo, 0, v17
	s_mov_b32 s1, -1
                                        ; implicit-def: $vgpr11
	v_cndmask_b32_e64 v15, v17, -v17, vcc_lo
	v_cmp_gt_f32_e32 vcc_lo, 0, v16
	v_cndmask_b32_e64 v22, v16, -v16, vcc_lo
	s_and_not1_b32 vcc_lo, exec_lo, s18
	s_delay_alu instid0(VALU_DEP_1)
	v_cmp_ge_f32_e64 s0, v22, v15
	s_cbranch_vccnz .LBB118_184
; %bb.175:                              ;   in Loop: Header=BB118_114 Depth=1
                                        ; implicit-def: $vgpr14
                                        ; implicit-def: $vgpr10
	s_and_saveexec_b32 s1, s0
	s_delay_alu instid0(SALU_CYCLE_1)
	s_xor_b32 s20, exec_lo, s1
	s_cbranch_execz .LBB118_181
; %bb.176:                              ;   in Loop: Header=BB118_114 Depth=1
	v_cmp_neq_f32_e32 vcc_lo, 0, v16
	v_cmp_neq_f32_e64 s1, 0, v17
                                        ; implicit-def: $vgpr14
                                        ; implicit-def: $vgpr10
	s_or_b32 s1, vcc_lo, s1
	s_delay_alu instid0(SALU_CYCLE_1) | instskip(NEXT) | instid1(SALU_CYCLE_1)
	s_and_saveexec_b32 s21, s1
	s_xor_b32 s1, exec_lo, s21
	s_cbranch_execz .LBB118_178
; %bb.177:                              ;   in Loop: Header=BB118_114 Depth=1
	s_wait_loadcnt 0x1
	v_div_scale_f32 v10, null, v16, v16, v17
	v_div_scale_f32 v23, vcc_lo, v17, v16, v17
	s_delay_alu instid0(VALU_DEP_2) | instskip(SKIP_1) | instid1(TRANS32_DEP_1)
	v_rcp_f32_e32 v11, v10
	v_nop
	v_fma_f32 v14, -v10, v11, 1.0
	s_delay_alu instid0(VALU_DEP_1) | instskip(NEXT) | instid1(VALU_DEP_1)
	v_fmac_f32_e32 v11, v14, v11
	v_mul_f32_e32 v14, v23, v11
	s_delay_alu instid0(VALU_DEP_1) | instskip(NEXT) | instid1(VALU_DEP_1)
	v_fma_f32 v24, -v10, v14, v23
	v_fmac_f32_e32 v14, v24, v11
	s_delay_alu instid0(VALU_DEP_1) | instskip(NEXT) | instid1(VALU_DEP_1)
	v_fma_f32 v10, -v10, v14, v23
	v_div_fmas_f32 v10, v10, v11, v14
	s_delay_alu instid0(VALU_DEP_1) | instskip(NEXT) | instid1(VALU_DEP_1)
	v_div_fixup_f32 v10, v10, v16, v17
	v_fma_f32 v11, v17, v10, v16
	s_delay_alu instid0(VALU_DEP_1) | instskip(SKIP_1) | instid1(VALU_DEP_2)
	v_div_scale_f32 v14, null, v11, v11, 1.0
	v_div_scale_f32 v25, vcc_lo, 1.0, v11, 1.0
	v_rcp_f32_e32 v23, v14
	v_nop
	s_delay_alu instid0(TRANS32_DEP_1) | instskip(NEXT) | instid1(VALU_DEP_1)
	v_fma_f32 v24, -v14, v23, 1.0
	v_fmac_f32_e32 v23, v24, v23
	s_delay_alu instid0(VALU_DEP_1) | instskip(NEXT) | instid1(VALU_DEP_1)
	v_mul_f32_e32 v24, v25, v23
	v_fma_f32 v32, -v14, v24, v25
	s_delay_alu instid0(VALU_DEP_1) | instskip(NEXT) | instid1(VALU_DEP_1)
	v_fmac_f32_e32 v24, v32, v23
	v_fma_f32 v14, -v14, v24, v25
	s_delay_alu instid0(VALU_DEP_1) | instskip(SKIP_1) | instid1(VALU_DEP_2)
	v_div_fmas_f32 v14, v14, v23, v24
	v_fma_f32 v23, v13, v10, v12
	v_div_fixup_f32 v11, v14, v11, 1.0
	s_delay_alu instid0(VALU_DEP_1) | instskip(NEXT) | instid1(VALU_DEP_1)
	v_dual_fma_f32 v14, -v12, v10, v13 :: v_dual_mul_f32 v10, v23, v11
	v_mul_f32_e32 v14, v14, v11
.LBB118_178:                            ;   in Loop: Header=BB118_114 Depth=1
	s_and_not1_saveexec_b32 s21, s1
	s_cbranch_execz .LBB118_180
; %bb.179:                              ;   in Loop: Header=BB118_114 Depth=1
	s_wait_loadcnt 0x1
	v_div_scale_f32 v10, null, v22, v22, v12
	v_div_scale_f32 v11, null, v15, v15, v13
	v_div_scale_f32 v32, vcc_lo, v12, v22, v12
	s_delay_alu instid0(VALU_DEP_3) | instskip(NEXT) | instid1(VALU_DEP_2)
	v_rcp_f32_e32 v14, v10
	v_rcp_f32_e32 v23, v11
	s_delay_alu instid0(TRANS32_DEP_2) | instskip(NEXT) | instid1(TRANS32_DEP_1)
	v_fma_f32 v24, -v10, v14, 1.0
	v_fma_f32 v25, -v11, v23, 1.0
	s_delay_alu instid0(VALU_DEP_1) | instskip(SKIP_1) | instid1(VALU_DEP_1)
	v_dual_fmac_f32 v14, v24, v14 :: v_dual_fmac_f32 v23, v25, v23
	v_div_scale_f32 v24, s1, v13, v15, v13
	v_mul_f32_e32 v33, v24, v23
	s_delay_alu instid0(VALU_DEP_1) | instskip(NEXT) | instid1(VALU_DEP_1)
	v_dual_mul_f32 v25, v32, v14 :: v_dual_fma_f32 v35, -v11, v33, v24
	v_dual_fma_f32 v34, -v10, v25, v32 :: v_dual_fmac_f32 v33, v35, v23
	s_delay_alu instid0(VALU_DEP_1) | instskip(NEXT) | instid1(VALU_DEP_1)
	v_dual_fmac_f32 v25, v34, v14 :: v_dual_fma_f32 v11, -v11, v33, v24
	v_fma_f32 v10, -v10, v25, v32
	s_delay_alu instid0(VALU_DEP_1) | instskip(SKIP_1) | instid1(VALU_DEP_3)
	v_div_fmas_f32 v10, v10, v14, v25
	s_mov_b32 vcc_lo, s1
	v_div_fmas_f32 v11, v11, v23, v33
	s_delay_alu instid0(VALU_DEP_2) | instskip(NEXT) | instid1(VALU_DEP_2)
	v_div_fixup_f32 v10, v10, v22, v12
	v_div_fixup_f32 v14, v11, v15, v13
.LBB118_180:                            ;   in Loop: Header=BB118_114 Depth=1
	s_or_b32 exec_lo, exec_lo, s21
.LBB118_181:                            ;   in Loop: Header=BB118_114 Depth=1
	s_and_not1_saveexec_b32 s1, s20
	s_cbranch_execz .LBB118_183
; %bb.182:                              ;   in Loop: Header=BB118_114 Depth=1
	s_wait_loadcnt 0x1
	v_div_scale_f32 v10, null, v17, v17, v16
	v_div_scale_f32 v23, vcc_lo, v16, v17, v16
	s_delay_alu instid0(VALU_DEP_2) | instskip(SKIP_1) | instid1(TRANS32_DEP_1)
	v_rcp_f32_e32 v11, v10
	v_nop
	v_fma_f32 v14, -v10, v11, 1.0
	s_delay_alu instid0(VALU_DEP_1) | instskip(NEXT) | instid1(VALU_DEP_1)
	v_fmac_f32_e32 v11, v14, v11
	v_mul_f32_e32 v14, v23, v11
	s_delay_alu instid0(VALU_DEP_1) | instskip(NEXT) | instid1(VALU_DEP_1)
	v_fma_f32 v24, -v10, v14, v23
	v_fmac_f32_e32 v14, v24, v11
	s_delay_alu instid0(VALU_DEP_1) | instskip(NEXT) | instid1(VALU_DEP_1)
	v_fma_f32 v10, -v10, v14, v23
	v_div_fmas_f32 v10, v10, v11, v14
	s_delay_alu instid0(VALU_DEP_1) | instskip(NEXT) | instid1(VALU_DEP_1)
	v_div_fixup_f32 v10, v10, v17, v16
	v_fma_f32 v11, v16, v10, v17
	s_delay_alu instid0(VALU_DEP_1) | instskip(SKIP_1) | instid1(VALU_DEP_2)
	v_div_scale_f32 v14, null, v11, v11, 1.0
	v_div_scale_f32 v25, vcc_lo, 1.0, v11, 1.0
	v_rcp_f32_e32 v23, v14
	v_nop
	s_delay_alu instid0(TRANS32_DEP_1) | instskip(NEXT) | instid1(VALU_DEP_1)
	v_fma_f32 v24, -v14, v23, 1.0
	v_fmac_f32_e32 v23, v24, v23
	s_delay_alu instid0(VALU_DEP_1) | instskip(NEXT) | instid1(VALU_DEP_1)
	v_mul_f32_e32 v24, v25, v23
	v_fma_f32 v32, -v14, v24, v25
	s_delay_alu instid0(VALU_DEP_1) | instskip(NEXT) | instid1(VALU_DEP_1)
	v_fmac_f32_e32 v24, v32, v23
	v_fma_f32 v14, -v14, v24, v25
	s_delay_alu instid0(VALU_DEP_1) | instskip(SKIP_1) | instid1(VALU_DEP_2)
	v_div_fmas_f32 v14, v14, v23, v24
	v_fma_f32 v23, v12, v10, v13
	v_div_fixup_f32 v11, v14, v11, 1.0
	s_delay_alu instid0(VALU_DEP_1) | instskip(NEXT) | instid1(VALU_DEP_1)
	v_dual_fma_f32 v14, v13, v10, -v12 :: v_dual_mul_f32 v10, v23, v11
	v_mul_f32_e32 v14, v14, v11
.LBB118_183:                            ;   in Loop: Header=BB118_114 Depth=1
	s_or_b32 exec_lo, exec_lo, s1
	v_mov_b64_e32 v[24:25], s[4:5]
	v_mov_b64_e32 v[32:33], s[8:9]
	s_mov_b32 s1, 0
	s_delay_alu instid0(VALU_DEP_2) | instskip(SKIP_1) | instid1(VALU_DEP_2)
	v_pk_mul_f32 v[24:25], v[14:15], v[24:25] op_sel_hi:[0,1]
	s_wait_loadcnt 0x1
	v_pk_mul_f32 v[34:35], v[10:11], v[32:33] op_sel_hi:[0,1]
	s_delay_alu instid0(VALU_DEP_2) | instskip(NEXT) | instid1(VALU_DEP_2)
	v_pk_fma_f32 v[10:11], v[10:11], v[32:33], v[24:25] op_sel_hi:[0,1,1]
	v_sub_f32_e32 v10, v34, v24
.LBB118_184:                            ;   in Loop: Header=BB118_114 Depth=1
	s_and_b32 vcc_lo, exec_lo, s1
	s_cbranch_vccz .LBB118_113
; %bb.185:                              ;   in Loop: Header=BB118_114 Depth=1
                                        ; implicit-def: $vgpr11
	s_and_saveexec_b32 s1, s0
	s_delay_alu instid0(SALU_CYCLE_1)
	s_xor_b32 s1, exec_lo, s1
	s_cbranch_execz .LBB118_191
; %bb.186:                              ;   in Loop: Header=BB118_114 Depth=1
	v_cmp_neq_f32_e32 vcc_lo, 0, v16
	v_cmp_neq_f32_e64 s0, 0, v17
                                        ; implicit-def: $vgpr11
	s_or_b32 s0, vcc_lo, s0
	s_delay_alu instid0(SALU_CYCLE_1) | instskip(NEXT) | instid1(SALU_CYCLE_1)
	s_and_saveexec_b32 s20, s0
	s_xor_b32 s0, exec_lo, s20
	s_cbranch_execz .LBB118_188
; %bb.187:                              ;   in Loop: Header=BB118_114 Depth=1
	s_wait_loadcnt 0x1
	v_div_scale_f32 v10, null, v16, v16, v17
	v_div_scale_f32 v15, vcc_lo, v17, v16, v17
	s_delay_alu instid0(VALU_DEP_2) | instskip(SKIP_1) | instid1(TRANS32_DEP_1)
	v_rcp_f32_e32 v11, v10
	v_nop
	v_fma_f32 v14, -v10, v11, 1.0
	s_delay_alu instid0(VALU_DEP_1) | instskip(NEXT) | instid1(VALU_DEP_1)
	v_fmac_f32_e32 v11, v14, v11
	v_mul_f32_e32 v14, v15, v11
	s_delay_alu instid0(VALU_DEP_1) | instskip(NEXT) | instid1(VALU_DEP_1)
	v_fma_f32 v22, -v10, v14, v15
	v_fmac_f32_e32 v14, v22, v11
	s_delay_alu instid0(VALU_DEP_1) | instskip(NEXT) | instid1(VALU_DEP_1)
	v_fma_f32 v10, -v10, v14, v15
	v_div_fmas_f32 v10, v10, v11, v14
	s_delay_alu instid0(VALU_DEP_1) | instskip(NEXT) | instid1(VALU_DEP_1)
	v_div_fixup_f32 v10, v10, v16, v17
	v_fmac_f32_e32 v16, v17, v10
	s_delay_alu instid0(VALU_DEP_1) | instskip(SKIP_1) | instid1(VALU_DEP_2)
	v_div_scale_f32 v11, null, v16, v16, 1.0
	v_div_scale_f32 v17, vcc_lo, 1.0, v16, 1.0
	v_rcp_f32_e32 v14, v11
	v_nop
	s_delay_alu instid0(TRANS32_DEP_1) | instskip(NEXT) | instid1(VALU_DEP_1)
	v_fma_f32 v15, -v11, v14, 1.0
	v_fmac_f32_e32 v14, v15, v14
	s_delay_alu instid0(VALU_DEP_1) | instskip(NEXT) | instid1(VALU_DEP_1)
	v_mul_f32_e32 v15, v17, v14
	v_fma_f32 v22, -v11, v15, v17
	s_delay_alu instid0(VALU_DEP_1) | instskip(NEXT) | instid1(VALU_DEP_1)
	v_fmac_f32_e32 v15, v22, v14
                                        ; implicit-def: $vgpr22
	v_fma_f32 v11, -v11, v15, v17
	s_delay_alu instid0(VALU_DEP_1) | instskip(SKIP_2) | instid1(VALU_DEP_3)
	v_div_fmas_f32 v17, v11, v14, v15
	v_pk_fma_f32 v[14:15], v[12:13], v[10:11], v[12:13] op_sel:[1,0,0] op_sel_hi:[0,0,1] neg_lo:[1,0,0] neg_hi:[1,0,0]
	v_pk_fma_f32 v[10:11], v[12:13], v[10:11], v[12:13] op_sel:[1,0,0] op_sel_hi:[0,0,1]
	v_div_fixup_f32 v12, v17, v16, 1.0
	s_delay_alu instid0(VALU_DEP_3) | instskip(NEXT) | instid1(VALU_DEP_1)
	v_mov_b32_e32 v11, v15
                                        ; implicit-def: $vgpr15
	v_pk_mul_f32 v[10:11], v[10:11], v[12:13] op_sel_hi:[1,0]
                                        ; implicit-def: $vgpr12_vgpr13
.LBB118_188:                            ;   in Loop: Header=BB118_114 Depth=1
	s_and_not1_saveexec_b32 s20, s0
	s_cbranch_execz .LBB118_190
; %bb.189:                              ;   in Loop: Header=BB118_114 Depth=1
	s_wait_loadcnt 0x1
	v_div_scale_f32 v10, null, v22, v22, v12
	v_div_scale_f32 v11, null, v15, v15, v13
	v_div_scale_f32 v24, vcc_lo, v12, v22, v12
	s_delay_alu instid0(VALU_DEP_3) | instskip(NEXT) | instid1(VALU_DEP_2)
	v_rcp_f32_e32 v14, v10
	v_rcp_f32_e32 v16, v11
	s_delay_alu instid0(TRANS32_DEP_2) | instskip(NEXT) | instid1(TRANS32_DEP_1)
	v_fma_f32 v17, -v10, v14, 1.0
	v_fma_f32 v23, -v11, v16, 1.0
	s_delay_alu instid0(VALU_DEP_1) | instskip(SKIP_1) | instid1(VALU_DEP_1)
	v_dual_fmac_f32 v14, v17, v14 :: v_dual_fmac_f32 v16, v23, v16
	v_div_scale_f32 v17, s0, v13, v15, v13
	v_dual_mul_f32 v23, v24, v14 :: v_dual_mul_f32 v25, v17, v16
	s_delay_alu instid0(VALU_DEP_1) | instskip(NEXT) | instid1(VALU_DEP_1)
	v_dual_fma_f32 v32, -v10, v23, v24 :: v_dual_fma_f32 v33, -v11, v25, v17
	v_dual_fmac_f32 v23, v32, v14 :: v_dual_fmac_f32 v25, v33, v16
	s_delay_alu instid0(VALU_DEP_1) | instskip(NEXT) | instid1(VALU_DEP_1)
	v_dual_fma_f32 v10, -v10, v23, v24 :: v_dual_fma_f32 v11, -v11, v25, v17
	v_div_fmas_f32 v10, v10, v14, v23
	s_mov_b32 vcc_lo, s0
	s_delay_alu instid0(VALU_DEP_2) | instskip(NEXT) | instid1(VALU_DEP_2)
	v_div_fmas_f32 v11, v11, v16, v25
	v_div_fixup_f32 v10, v10, v22, v12
	s_delay_alu instid0(VALU_DEP_2)
	v_div_fixup_f32 v11, v11, v15, v13
.LBB118_190:                            ;   in Loop: Header=BB118_114 Depth=1
	s_or_b32 exec_lo, exec_lo, s20
                                        ; implicit-def: $vgpr14_vgpr15_vgpr16_vgpr17
                                        ; implicit-def: $vgpr12_vgpr13
.LBB118_191:                            ;   in Loop: Header=BB118_114 Depth=1
	s_and_not1_saveexec_b32 s0, s1
	s_cbranch_execz .LBB118_112
; %bb.192:                              ;   in Loop: Header=BB118_114 Depth=1
	s_wait_loadcnt 0x1
	v_div_scale_f32 v10, null, v17, v17, v16
	v_div_scale_f32 v15, vcc_lo, v16, v17, v16
	s_delay_alu instid0(VALU_DEP_2) | instskip(SKIP_1) | instid1(TRANS32_DEP_1)
	v_rcp_f32_e32 v11, v10
	v_nop
	v_fma_f32 v14, -v10, v11, 1.0
	s_delay_alu instid0(VALU_DEP_1) | instskip(NEXT) | instid1(VALU_DEP_1)
	v_fmac_f32_e32 v11, v14, v11
	v_mul_f32_e32 v14, v15, v11
	s_delay_alu instid0(VALU_DEP_1) | instskip(NEXT) | instid1(VALU_DEP_1)
	v_fma_f32 v22, -v10, v14, v15
	v_fmac_f32_e32 v14, v22, v11
	s_delay_alu instid0(VALU_DEP_1) | instskip(NEXT) | instid1(VALU_DEP_1)
	v_fma_f32 v10, -v10, v14, v15
	v_div_fmas_f32 v10, v10, v11, v14
	s_delay_alu instid0(VALU_DEP_1) | instskip(NEXT) | instid1(VALU_DEP_1)
	v_div_fixup_f32 v10, v10, v17, v16
	v_fmac_f32_e32 v17, v16, v10
	s_delay_alu instid0(VALU_DEP_1) | instskip(SKIP_1) | instid1(VALU_DEP_2)
	v_div_scale_f32 v11, null, v17, v17, 1.0
	v_div_scale_f32 v16, vcc_lo, 1.0, v17, 1.0
	v_rcp_f32_e32 v14, v11
	v_nop
	s_delay_alu instid0(TRANS32_DEP_1) | instskip(NEXT) | instid1(VALU_DEP_1)
	v_fma_f32 v15, -v11, v14, 1.0
	v_fmac_f32_e32 v14, v15, v14
	s_delay_alu instid0(VALU_DEP_1) | instskip(NEXT) | instid1(VALU_DEP_1)
	v_mul_f32_e32 v15, v16, v14
	v_fma_f32 v22, -v11, v15, v16
	s_delay_alu instid0(VALU_DEP_1) | instskip(NEXT) | instid1(VALU_DEP_1)
	v_fmac_f32_e32 v15, v22, v14
	v_fma_f32 v11, -v11, v15, v16
	s_delay_alu instid0(VALU_DEP_1) | instskip(SKIP_2) | instid1(VALU_DEP_3)
	v_div_fmas_f32 v16, v11, v14, v15
	v_pk_fma_f32 v[14:15], v[12:13], v[10:11], v[12:13] op_sel:[0,0,1] op_sel_hi:[1,0,0] neg_lo:[0,0,1] neg_hi:[0,0,1]
	v_pk_fma_f32 v[10:11], v[12:13], v[10:11], v[12:13] op_sel:[0,0,1] op_sel_hi:[1,0,0]
	v_div_fixup_f32 v12, v16, v17, 1.0
	s_delay_alu instid0(VALU_DEP_3) | instskip(NEXT) | instid1(VALU_DEP_1)
	v_mov_b32_e32 v11, v15
	v_pk_mul_f32 v[10:11], v[10:11], v[12:13] op_sel_hi:[1,0]
	s_branch .LBB118_112
.LBB118_193:
	s_endpgm
	.section	.rodata,"a",@progbits
	.p2align	6, 0x0
	.amdhsa_kernel _ZN2at6native12_GLOBAL__N_125multi_tensor_apply_kernelINS1_28TensorListScalarListMetadataIN3c107complexIfEELi4EEENS1_28PointwiseOpScalarListFunctorIS6_Li4ELi3ELi3EEEJSt7dividesIS6_EEEEvT_T0_DpT1_
		.amdhsa_group_segment_fixed_size 0
		.amdhsa_private_segment_fixed_size 0
		.amdhsa_kernarg_size 3592
		.amdhsa_user_sgpr_count 2
		.amdhsa_user_sgpr_dispatch_ptr 0
		.amdhsa_user_sgpr_queue_ptr 0
		.amdhsa_user_sgpr_kernarg_segment_ptr 1
		.amdhsa_user_sgpr_dispatch_id 0
		.amdhsa_user_sgpr_kernarg_preload_length 0
		.amdhsa_user_sgpr_kernarg_preload_offset 0
		.amdhsa_user_sgpr_private_segment_size 0
		.amdhsa_wavefront_size32 1
		.amdhsa_uses_dynamic_stack 0
		.amdhsa_enable_private_segment 0
		.amdhsa_system_sgpr_workgroup_id_x 1
		.amdhsa_system_sgpr_workgroup_id_y 0
		.amdhsa_system_sgpr_workgroup_id_z 0
		.amdhsa_system_sgpr_workgroup_info 0
		.amdhsa_system_vgpr_workitem_id 0
		.amdhsa_next_free_vgpr 50
		.amdhsa_next_free_sgpr 36
		.amdhsa_named_barrier_count 0
		.amdhsa_reserve_vcc 1
		.amdhsa_float_round_mode_32 0
		.amdhsa_float_round_mode_16_64 0
		.amdhsa_float_denorm_mode_32 3
		.amdhsa_float_denorm_mode_16_64 3
		.amdhsa_fp16_overflow 0
		.amdhsa_memory_ordered 1
		.amdhsa_forward_progress 1
		.amdhsa_inst_pref_size 109
		.amdhsa_round_robin_scheduling 0
		.amdhsa_exception_fp_ieee_invalid_op 0
		.amdhsa_exception_fp_denorm_src 0
		.amdhsa_exception_fp_ieee_div_zero 0
		.amdhsa_exception_fp_ieee_overflow 0
		.amdhsa_exception_fp_ieee_underflow 0
		.amdhsa_exception_fp_ieee_inexact 0
		.amdhsa_exception_int_div_zero 0
	.end_amdhsa_kernel
	.section	.text._ZN2at6native12_GLOBAL__N_125multi_tensor_apply_kernelINS1_28TensorListScalarListMetadataIN3c107complexIfEELi4EEENS1_28PointwiseOpScalarListFunctorIS6_Li4ELi3ELi3EEEJSt7dividesIS6_EEEEvT_T0_DpT1_,"axG",@progbits,_ZN2at6native12_GLOBAL__N_125multi_tensor_apply_kernelINS1_28TensorListScalarListMetadataIN3c107complexIfEELi4EEENS1_28PointwiseOpScalarListFunctorIS6_Li4ELi3ELi3EEEJSt7dividesIS6_EEEEvT_T0_DpT1_,comdat
.Lfunc_end118:
	.size	_ZN2at6native12_GLOBAL__N_125multi_tensor_apply_kernelINS1_28TensorListScalarListMetadataIN3c107complexIfEELi4EEENS1_28PointwiseOpScalarListFunctorIS6_Li4ELi3ELi3EEEJSt7dividesIS6_EEEEvT_T0_DpT1_, .Lfunc_end118-_ZN2at6native12_GLOBAL__N_125multi_tensor_apply_kernelINS1_28TensorListScalarListMetadataIN3c107complexIfEELi4EEENS1_28PointwiseOpScalarListFunctorIS6_Li4ELi3ELi3EEEJSt7dividesIS6_EEEEvT_T0_DpT1_
                                        ; -- End function
	.set _ZN2at6native12_GLOBAL__N_125multi_tensor_apply_kernelINS1_28TensorListScalarListMetadataIN3c107complexIfEELi4EEENS1_28PointwiseOpScalarListFunctorIS6_Li4ELi3ELi3EEEJSt7dividesIS6_EEEEvT_T0_DpT1_.num_vgpr, 50
	.set _ZN2at6native12_GLOBAL__N_125multi_tensor_apply_kernelINS1_28TensorListScalarListMetadataIN3c107complexIfEELi4EEENS1_28PointwiseOpScalarListFunctorIS6_Li4ELi3ELi3EEEJSt7dividesIS6_EEEEvT_T0_DpT1_.num_agpr, 0
	.set _ZN2at6native12_GLOBAL__N_125multi_tensor_apply_kernelINS1_28TensorListScalarListMetadataIN3c107complexIfEELi4EEENS1_28PointwiseOpScalarListFunctorIS6_Li4ELi3ELi3EEEJSt7dividesIS6_EEEEvT_T0_DpT1_.numbered_sgpr, 36
	.set _ZN2at6native12_GLOBAL__N_125multi_tensor_apply_kernelINS1_28TensorListScalarListMetadataIN3c107complexIfEELi4EEENS1_28PointwiseOpScalarListFunctorIS6_Li4ELi3ELi3EEEJSt7dividesIS6_EEEEvT_T0_DpT1_.num_named_barrier, 0
	.set _ZN2at6native12_GLOBAL__N_125multi_tensor_apply_kernelINS1_28TensorListScalarListMetadataIN3c107complexIfEELi4EEENS1_28PointwiseOpScalarListFunctorIS6_Li4ELi3ELi3EEEJSt7dividesIS6_EEEEvT_T0_DpT1_.private_seg_size, 0
	.set _ZN2at6native12_GLOBAL__N_125multi_tensor_apply_kernelINS1_28TensorListScalarListMetadataIN3c107complexIfEELi4EEENS1_28PointwiseOpScalarListFunctorIS6_Li4ELi3ELi3EEEJSt7dividesIS6_EEEEvT_T0_DpT1_.uses_vcc, 1
	.set _ZN2at6native12_GLOBAL__N_125multi_tensor_apply_kernelINS1_28TensorListScalarListMetadataIN3c107complexIfEELi4EEENS1_28PointwiseOpScalarListFunctorIS6_Li4ELi3ELi3EEEJSt7dividesIS6_EEEEvT_T0_DpT1_.uses_flat_scratch, 0
	.set _ZN2at6native12_GLOBAL__N_125multi_tensor_apply_kernelINS1_28TensorListScalarListMetadataIN3c107complexIfEELi4EEENS1_28PointwiseOpScalarListFunctorIS6_Li4ELi3ELi3EEEJSt7dividesIS6_EEEEvT_T0_DpT1_.has_dyn_sized_stack, 0
	.set _ZN2at6native12_GLOBAL__N_125multi_tensor_apply_kernelINS1_28TensorListScalarListMetadataIN3c107complexIfEELi4EEENS1_28PointwiseOpScalarListFunctorIS6_Li4ELi3ELi3EEEJSt7dividesIS6_EEEEvT_T0_DpT1_.has_recursion, 0
	.set _ZN2at6native12_GLOBAL__N_125multi_tensor_apply_kernelINS1_28TensorListScalarListMetadataIN3c107complexIfEELi4EEENS1_28PointwiseOpScalarListFunctorIS6_Li4ELi3ELi3EEEJSt7dividesIS6_EEEEvT_T0_DpT1_.has_indirect_call, 0
	.section	.AMDGPU.csdata,"",@progbits
; Kernel info:
; codeLenInByte = 13896
; TotalNumSgprs: 38
; NumVgprs: 50
; ScratchSize: 0
; MemoryBound: 1
; FloatMode: 240
; IeeeMode: 1
; LDSByteSize: 0 bytes/workgroup (compile time only)
; SGPRBlocks: 0
; VGPRBlocks: 3
; NumSGPRsForWavesPerEU: 38
; NumVGPRsForWavesPerEU: 50
; NamedBarCnt: 0
; Occupancy: 16
; WaveLimiterHint : 1
; COMPUTE_PGM_RSRC2:SCRATCH_EN: 0
; COMPUTE_PGM_RSRC2:USER_SGPR: 2
; COMPUTE_PGM_RSRC2:TRAP_HANDLER: 0
; COMPUTE_PGM_RSRC2:TGID_X_EN: 1
; COMPUTE_PGM_RSRC2:TGID_Y_EN: 0
; COMPUTE_PGM_RSRC2:TGID_Z_EN: 0
; COMPUTE_PGM_RSRC2:TIDIG_COMP_CNT: 0
	.section	.text._ZN2at6native12_GLOBAL__N_125multi_tensor_apply_kernelINS1_28TensorListScalarListMetadataIfLi4EEENS1_28PointwiseOpScalarListFunctorIN3c104HalfELi4ELi3ELi3EEEJSt7dividesIfEEEEvT_T0_DpT1_,"axG",@progbits,_ZN2at6native12_GLOBAL__N_125multi_tensor_apply_kernelINS1_28TensorListScalarListMetadataIfLi4EEENS1_28PointwiseOpScalarListFunctorIN3c104HalfELi4ELi3ELi3EEEJSt7dividesIfEEEEvT_T0_DpT1_,comdat
	.globl	_ZN2at6native12_GLOBAL__N_125multi_tensor_apply_kernelINS1_28TensorListScalarListMetadataIfLi4EEENS1_28PointwiseOpScalarListFunctorIN3c104HalfELi4ELi3ELi3EEEJSt7dividesIfEEEEvT_T0_DpT1_ ; -- Begin function _ZN2at6native12_GLOBAL__N_125multi_tensor_apply_kernelINS1_28TensorListScalarListMetadataIfLi4EEENS1_28PointwiseOpScalarListFunctorIN3c104HalfELi4ELi3ELi3EEEJSt7dividesIfEEEEvT_T0_DpT1_
	.p2align	8
	.type	_ZN2at6native12_GLOBAL__N_125multi_tensor_apply_kernelINS1_28TensorListScalarListMetadataIfLi4EEENS1_28PointwiseOpScalarListFunctorIN3c104HalfELi4ELi3ELi3EEEJSt7dividesIfEEEEvT_T0_DpT1_,@function
_ZN2at6native12_GLOBAL__N_125multi_tensor_apply_kernelINS1_28TensorListScalarListMetadataIfLi4EEENS1_28PointwiseOpScalarListFunctorIN3c104HalfELi4ELi3ELi3EEEJSt7dividesIfEEEEvT_T0_DpT1_: ; @_ZN2at6native12_GLOBAL__N_125multi_tensor_apply_kernelINS1_28TensorListScalarListMetadataIfLi4EEENS1_28PointwiseOpScalarListFunctorIN3c104HalfELi4ELi3ELi3EEEJSt7dividesIfEEEEvT_T0_DpT1_
; %bb.0:
	s_bfe_u32 s2, ttmp6, 0x4000c
	s_and_b32 s3, ttmp6, 15
	s_add_co_i32 s2, s2, 1
	s_getreg_b32 s4, hwreg(HW_REG_IB_STS2, 6, 4)
	s_mul_i32 s2, ttmp9, s2
	s_delay_alu instid0(SALU_CYCLE_1)
	s_add_co_i32 s3, s3, s2
	s_cmp_eq_u32 s4, 0
	s_cselect_b32 s2, ttmp9, s3
	s_mov_b32 s3, 0
	s_load_u8 s24, s[0:1], s2 offset:0x630
	s_add_nc_u64 s[4:5], s[0:1], s[2:3]
	s_mul_u64 s[6:7], s[2:3], 3
	s_delay_alu instid0(SALU_CYCLE_1)
	s_add_nc_u64 s[4:5], s[4:5], s[6:7]
	s_load_b32 s18, s[4:5], 0x770
	s_wait_kmcnt 0x0
	s_clause 0x4
	s_load_b64 s[6:7], s[0:1], s24 offset:0x120 scale_offset
	s_load_b64 s[8:9], s[0:1], s24 offset:0x0 scale_offset
	;; [unrolled: 1-line block ×5, first 2 shown]
	s_lshl_b32 s2, s24, 3
	s_delay_alu instid0(SALU_CYCLE_1) | instskip(SKIP_1) | instid1(SALU_CYCLE_1)
	s_add_nc_u64 s[16:17], s[0:1], s[2:3]
	s_ashr_i32 s19, s18, 31
	s_lshl_b64 s[14:15], s[18:19], 17
	s_wait_kmcnt 0x0
	s_add_nc_u64 s[4:5], s[6:7], s[14:15]
	s_add_nc_u64 s[22:23], s[10:11], s[14:15]
	s_and_b32 s2, s4, 7
	s_and_b64 s[4:5], s[8:9], 7
	s_cmp_eq_u64 s[2:3], 0
	s_cselect_b32 s25, -1, 0
	s_or_b32 s2, s12, s22
	s_delay_alu instid0(SALU_CYCLE_1) | instskip(NEXT) | instid1(SALU_CYCLE_1)
	s_and_b32 s2, s2, 7
	s_cmp_eq_u32 s2, 0
	s_cselect_b32 s26, -1, 0
	s_lshl_b32 s2, s24, 2
	s_delay_alu instid0(SALU_CYCLE_1)
	s_sub_nc_u64 s[22:23], 0, s[2:3]
	s_and_b32 s2, s20, 3
	s_add_nc_u64 s[16:17], s[16:17], s[22:23]
	s_or_b64 s[2:3], s[4:5], s[2:3]
	s_load_b32 s16, s[16:17], 0x5a0
	s_wait_xcnt 0x0
	s_and_b32 s17, s26, s25
	s_lshl_b64 s[4:5], s[18:19], 16
	s_cmp_eq_u64 s[2:3], 0
	s_sub_nc_u64 s[18:19], s[20:21], s[4:5]
	s_cselect_b32 s2, -1, 0
	s_delay_alu instid0(SALU_CYCLE_1) | instskip(NEXT) | instid1(SALU_CYCLE_1)
	s_and_b32 s2, s17, s2
	s_and_b32 vcc_lo, exec_lo, s2
	s_mov_b32 s2, -1
	s_cbranch_vccnz .LBB119_29
; %bb.1:
	v_cmp_lt_i64_e64 s2, s[18:19], 1
	s_and_b32 vcc_lo, exec_lo, s2
	s_cbranch_vccnz .LBB119_28
; %bb.2:
	s_load_b32 s2, s[0:1], 0xc84
	v_min_i64 v[2:3], 0x10000, s[18:19]
	v_min_u64 v[4:5], 0x10000, s[18:19]
	v_dual_mov_b32 v1, 0 :: v_dual_lshlrev_b32 v20, 1, v0
	s_mov_b32 s23, 0
	s_mov_b64 s[24:25], 0
	s_mov_b32 s3, s23
	s_delay_alu instid0(VALU_DEP_1) | instskip(SKIP_2) | instid1(VALU_DEP_1)
	v_dual_mov_b32 v21, v1 :: v_dual_mov_b32 v43, v1
	s_mov_b32 s21, s23
	s_mov_b32 s5, s23
	v_add_nc_u64_e32 v[6:7], s[8:9], v[20:21]
	v_add_nc_u64_e32 v[8:9], s[6:7], v[20:21]
	;; [unrolled: 1-line block ×4, first 2 shown]
	s_wait_kmcnt 0x0
	s_and_b32 s22, s2, 0xffff
	s_delay_alu instid0(SALU_CYCLE_1)
	s_lshl_b32 s4, s22, 1
	s_cmp_eq_f32 s16, 1.0
	v_add_nc_u64_e32 v[12:13], s[22:23], v[0:1]
	v_mad_nc_u64_u32 v[26:27], s22, 6, v[20:21]
	s_mul_i32 s2, s22, 3
	v_add_nc_u64_e32 v[18:19], s[4:5], v[0:1]
	v_add_nc_u64_e32 v[16:17], s[2:3], v[0:1]
	s_cselect_b32 s2, -1, 0
	s_lshl_b32 s20, s22, 2
	v_lshlrev_b32_e32 v42, 1, v12
	v_add_nc_u64_e32 v[38:39], s[20:21], v[20:21]
	s_lshl_b32 s22, s22, 3
	v_add_nc_u64_e32 v[20:21], s[8:9], v[26:27]
	v_add_nc_u64_e32 v[22:23], s[6:7], v[26:27]
	;; [unrolled: 1-line block ×12, first 2 shown]
	s_branch .LBB119_4
.LBB119_3:                              ;   in Loop: Header=BB119_4 Depth=1
	s_wait_xcnt 0x0
	s_or_b32 exec_lo, exec_lo, s3
	s_add_nc_u64 s[24:25], s[24:25], s[20:21]
	v_add_nc_u64_e32 v[6:7], s[22:23], v[6:7]
	v_cmp_lt_i64_e32 vcc_lo, s[24:25], v[2:3]
	v_add_nc_u64_e32 v[8:9], s[22:23], v[8:9]
	v_add_nc_u64_e32 v[10:11], s[22:23], v[10:11]
	;; [unrolled: 1-line block ×15, first 2 shown]
	s_cbranch_vccz .LBB119_28
.LBB119_4:                              ; =>This Inner Loop Header: Depth=1
	v_add_nc_u64_e32 v[44:45], s[24:25], v[0:1]
	v_mov_b32_e32 v46, 0
	s_delay_alu instid0(VALU_DEP_2)
	v_cmp_lt_u64_e32 vcc_lo, v[44:45], v[4:5]
	v_mov_b32_e32 v45, 0
	s_and_saveexec_b32 s3, vcc_lo
	s_cbranch_execz .LBB119_6
; %bb.5:                                ;   in Loop: Header=BB119_4 Depth=1
	v_add_nc_u64_e32 v[44:45], s[14:15], v[6:7]
	v_add_nc_u64_e32 v[46:47], s[14:15], v[8:9]
	global_load_u16 v48, v[44:45], off
	global_load_u16 v49, v[46:47], off
	s_wait_loadcnt 0x1
	s_wait_xcnt 0x1
	v_cvt_f32_f16_e32 v45, v48
	s_wait_loadcnt 0x0
	s_wait_xcnt 0x0
	v_cvt_f32_f16_e32 v46, v49
.LBB119_6:                              ;   in Loop: Header=BB119_4 Depth=1
	s_or_b32 exec_lo, exec_lo, s3
	v_dual_mov_b32 v44, 0 :: v_dual_mov_b32 v51, 0
	s_and_saveexec_b32 s3, vcc_lo
	s_cbranch_execz .LBB119_8
; %bb.7:                                ;   in Loop: Header=BB119_4 Depth=1
	v_add_nc_u64_e32 v[48:49], s[14:15], v[10:11]
	global_load_u16 v47, v[48:49], off
	s_wait_loadcnt 0x0
	v_cvt_f32_f16_e32 v51, v47
.LBB119_8:                              ;   in Loop: Header=BB119_4 Depth=1
	s_wait_xcnt 0x0
	s_or_b32 exec_lo, exec_lo, s3
	v_add_nc_u64_e32 v[48:49], s[24:25], v[12:13]
	s_delay_alu instid0(VALU_DEP_1)
	v_cmp_lt_u64_e64 s3, v[48:49], v[4:5]
	v_mov_b32_e32 v48, 0
	s_and_saveexec_b32 s4, s3
	s_cbranch_execz .LBB119_10
; %bb.9:                                ;   in Loop: Header=BB119_4 Depth=1
	v_add_nc_u64_e32 v[48:49], s[14:15], v[28:29]
	v_add_nc_u64_e32 v[52:53], s[14:15], v[30:31]
	global_load_u16 v44, v[48:49], off
	global_load_u16 v47, v[52:53], off
	s_wait_loadcnt 0x1
	s_wait_xcnt 0x1
	v_cvt_f32_f16_e32 v48, v44
	s_wait_loadcnt 0x0
	v_cvt_f32_f16_e32 v44, v47
.LBB119_10:                             ;   in Loop: Header=BB119_4 Depth=1
	s_wait_xcnt 0x0
	s_or_b32 exec_lo, exec_lo, s4
	v_dual_mov_b32 v47, 0 :: v_dual_mov_b32 v53, 0
	s_and_saveexec_b32 s4, s3
	s_cbranch_execz .LBB119_12
; %bb.11:                               ;   in Loop: Header=BB119_4 Depth=1
	v_add_nc_u64_e32 v[52:53], s[14:15], v[40:41]
	global_load_u16 v49, v[52:53], off
	s_wait_loadcnt 0x0
	s_wait_xcnt 0x0
	v_cvt_f32_f16_e32 v53, v49
.LBB119_12:                             ;   in Loop: Header=BB119_4 Depth=1
	s_or_b32 exec_lo, exec_lo, s4
	v_add_nc_u64_e32 v[54:55], s[24:25], v[18:19]
	v_mov_b32_e32 v50, 0
	s_delay_alu instid0(VALU_DEP_2)
	v_cmp_lt_u64_e64 s4, v[54:55], v[4:5]
	s_and_saveexec_b32 s5, s4
	s_cbranch_execz .LBB119_14
; %bb.13:                               ;   in Loop: Header=BB119_4 Depth=1
	v_add_nc_u64_e32 v[54:55], s[14:15], v[32:33]
	v_add_nc_u64_e32 v[56:57], s[14:15], v[34:35]
	global_load_u16 v47, v[54:55], off
	global_load_u16 v49, v[56:57], off
	s_wait_loadcnt 0x1
	v_cvt_f32_f16_e32 v50, v47
	s_wait_loadcnt 0x0
	v_cvt_f32_f16_e32 v47, v49
.LBB119_14:                             ;   in Loop: Header=BB119_4 Depth=1
	s_wait_xcnt 0x0
	s_or_b32 exec_lo, exec_lo, s5
	v_dual_mov_b32 v49, 0 :: v_dual_mov_b32 v54, 0
	s_and_saveexec_b32 s5, s4
	s_cbranch_execz .LBB119_16
; %bb.15:                               ;   in Loop: Header=BB119_4 Depth=1
	v_add_nc_u64_e32 v[54:55], s[14:15], v[36:37]
	global_load_u16 v52, v[54:55], off
	s_wait_loadcnt 0x0
	s_wait_xcnt 0x0
	v_cvt_f32_f16_e32 v54, v52
.LBB119_16:                             ;   in Loop: Header=BB119_4 Depth=1
	s_or_b32 exec_lo, exec_lo, s5
	v_add_nc_u64_e32 v[56:57], s[24:25], v[16:17]
	v_mov_b32_e32 v52, 0
	s_delay_alu instid0(VALU_DEP_2)
	v_cmp_lt_u64_e64 s5, v[56:57], v[4:5]
	s_and_saveexec_b32 s17, s5
	s_cbranch_execnz .LBB119_22
; %bb.17:                               ;   in Loop: Header=BB119_4 Depth=1
	s_or_b32 exec_lo, exec_lo, s17
	v_mov_b32_e32 v55, 0
	s_and_saveexec_b32 s17, s5
	s_cbranch_execnz .LBB119_23
.LBB119_18:                             ;   in Loop: Header=BB119_4 Depth=1
	s_or_b32 exec_lo, exec_lo, s17
	s_and_saveexec_b32 s17, vcc_lo
	s_cbranch_execnz .LBB119_24
.LBB119_19:                             ;   in Loop: Header=BB119_4 Depth=1
	s_or_b32 exec_lo, exec_lo, s17
	s_and_saveexec_b32 s17, s3
	s_cbranch_execnz .LBB119_25
.LBB119_20:                             ;   in Loop: Header=BB119_4 Depth=1
	s_or_b32 exec_lo, exec_lo, s17
	s_and_saveexec_b32 s3, s4
	s_cbranch_execnz .LBB119_26
.LBB119_21:                             ;   in Loop: Header=BB119_4 Depth=1
	s_or_b32 exec_lo, exec_lo, s3
	s_and_saveexec_b32 s3, s5
	s_cbranch_execz .LBB119_3
	s_branch .LBB119_27
.LBB119_22:                             ;   in Loop: Header=BB119_4 Depth=1
	v_add_nc_u64_e32 v[56:57], s[14:15], v[20:21]
	v_add_nc_u64_e32 v[58:59], s[14:15], v[22:23]
	global_load_u16 v49, v[56:57], off
	global_load_u16 v55, v[58:59], off
	s_wait_loadcnt 0x1
	v_cvt_f32_f16_e32 v52, v49
	s_wait_loadcnt 0x0
	v_cvt_f32_f16_e32 v49, v55
	s_wait_xcnt 0x0
	s_or_b32 exec_lo, exec_lo, s17
	v_mov_b32_e32 v55, 0
	s_and_saveexec_b32 s17, s5
	s_cbranch_execz .LBB119_18
.LBB119_23:                             ;   in Loop: Header=BB119_4 Depth=1
	v_add_nc_u64_e32 v[56:57], s[14:15], v[24:25]
	global_load_u16 v55, v[56:57], off
	s_wait_loadcnt 0x0
	v_cvt_f32_f16_e32 v55, v55
	s_wait_xcnt 0x0
	s_or_b32 exec_lo, exec_lo, s17
	s_and_saveexec_b32 s17, vcc_lo
	s_cbranch_execz .LBB119_19
.LBB119_24:                             ;   in Loop: Header=BB119_4 Depth=1
	v_div_scale_f32 v56, null, v51, v51, v46
	v_div_scale_f32 v59, vcc_lo, v46, v51, v46
	s_delay_alu instid0(VALU_DEP_2) | instskip(SKIP_1) | instid1(TRANS32_DEP_1)
	v_rcp_f32_e32 v57, v56
	v_nop
	v_fma_f32 v58, -v56, v57, 1.0
	s_delay_alu instid0(VALU_DEP_1) | instskip(NEXT) | instid1(VALU_DEP_1)
	v_fmac_f32_e32 v57, v58, v57
	v_mul_f32_e32 v58, v59, v57
	s_delay_alu instid0(VALU_DEP_1) | instskip(NEXT) | instid1(VALU_DEP_1)
	v_fma_f32 v60, -v56, v58, v59
	v_fmac_f32_e32 v58, v60, v57
	s_delay_alu instid0(VALU_DEP_1) | instskip(NEXT) | instid1(VALU_DEP_1)
	v_fma_f32 v56, -v56, v58, v59
	v_div_fmas_f32 v56, v56, v57, v58
	s_delay_alu instid0(VALU_DEP_1) | instskip(SKIP_1) | instid1(VALU_DEP_2)
	v_div_fixup_f32 v46, v56, v51, v46
	v_add_nc_u64_e32 v[56:57], s[14:15], v[14:15]
	v_dual_add_f32 v51, v45, v46 :: v_dual_fmac_f32 v45, s16, v46
	s_delay_alu instid0(VALU_DEP_1) | instskip(NEXT) | instid1(VALU_DEP_1)
	v_cndmask_b32_e64 v45, v45, v51, s2
	v_cvt_f16_f32_e32 v45, v45
	global_store_b16 v[56:57], v45, off
	s_wait_xcnt 0x0
	s_or_b32 exec_lo, exec_lo, s17
	s_and_saveexec_b32 s17, s3
	s_cbranch_execz .LBB119_20
.LBB119_25:                             ;   in Loop: Header=BB119_4 Depth=1
	v_div_scale_f32 v45, null, v53, v53, v44
	v_div_scale_f32 v56, vcc_lo, v44, v53, v44
	s_delay_alu instid0(VALU_DEP_2) | instskip(SKIP_1) | instid1(TRANS32_DEP_1)
	v_rcp_f32_e32 v46, v45
	v_nop
	v_fma_f32 v51, -v45, v46, 1.0
	s_delay_alu instid0(VALU_DEP_1) | instskip(NEXT) | instid1(VALU_DEP_1)
	v_fmac_f32_e32 v46, v51, v46
	v_mul_f32_e32 v51, v56, v46
	s_delay_alu instid0(VALU_DEP_1) | instskip(NEXT) | instid1(VALU_DEP_1)
	v_fma_f32 v57, -v45, v51, v56
	v_fmac_f32_e32 v51, v57, v46
	s_delay_alu instid0(VALU_DEP_1) | instskip(NEXT) | instid1(VALU_DEP_1)
	v_fma_f32 v45, -v45, v51, v56
	v_div_fmas_f32 v45, v45, v46, v51
	s_delay_alu instid0(VALU_DEP_1) | instskip(NEXT) | instid1(VALU_DEP_1)
	v_div_fixup_f32 v44, v45, v53, v44
	v_dual_add_f32 v45, v48, v44 :: v_dual_fmac_f32 v48, s16, v44
	s_delay_alu instid0(VALU_DEP_1) | instskip(SKIP_1) | instid1(VALU_DEP_2)
	v_cndmask_b32_e64 v46, v48, v45, s2
	v_add_nc_u64_e32 v[44:45], s[14:15], v[42:43]
	v_cvt_f16_f32_e32 v46, v46
	global_store_b16 v[44:45], v46, off
	s_wait_xcnt 0x0
	s_or_b32 exec_lo, exec_lo, s17
	s_and_saveexec_b32 s3, s4
	s_cbranch_execz .LBB119_21
.LBB119_26:                             ;   in Loop: Header=BB119_4 Depth=1
	v_div_scale_f32 v44, null, v54, v54, v47
	v_div_scale_f32 v48, vcc_lo, v47, v54, v47
	s_delay_alu instid0(VALU_DEP_2) | instskip(SKIP_1) | instid1(TRANS32_DEP_1)
	v_rcp_f32_e32 v45, v44
	v_nop
	v_fma_f32 v46, -v44, v45, 1.0
	s_delay_alu instid0(VALU_DEP_1) | instskip(NEXT) | instid1(VALU_DEP_1)
	v_fmac_f32_e32 v45, v46, v45
	v_mul_f32_e32 v46, v48, v45
	s_delay_alu instid0(VALU_DEP_1) | instskip(NEXT) | instid1(VALU_DEP_1)
	v_fma_f32 v51, -v44, v46, v48
	v_fmac_f32_e32 v46, v51, v45
	s_delay_alu instid0(VALU_DEP_1) | instskip(NEXT) | instid1(VALU_DEP_1)
	v_fma_f32 v44, -v44, v46, v48
	v_div_fmas_f32 v44, v44, v45, v46
	s_delay_alu instid0(VALU_DEP_1) | instskip(NEXT) | instid1(VALU_DEP_1)
	v_div_fixup_f32 v44, v44, v54, v47
	v_dual_add_f32 v45, v50, v44 :: v_dual_fmac_f32 v50, s16, v44
	s_delay_alu instid0(VALU_DEP_1) | instskip(SKIP_1) | instid1(VALU_DEP_2)
	v_cndmask_b32_e64 v46, v50, v45, s2
	v_add_nc_u64_e32 v[44:45], s[14:15], v[38:39]
	v_cvt_f16_f32_e32 v46, v46
	global_store_b16 v[44:45], v46, off
	s_wait_xcnt 0x0
	s_or_b32 exec_lo, exec_lo, s3
	s_and_saveexec_b32 s3, s5
	s_cbranch_execz .LBB119_3
.LBB119_27:                             ;   in Loop: Header=BB119_4 Depth=1
	v_div_scale_f32 v44, null, v55, v55, v49
	v_div_scale_f32 v47, vcc_lo, v49, v55, v49
	s_delay_alu instid0(VALU_DEP_2) | instskip(SKIP_1) | instid1(TRANS32_DEP_1)
	v_rcp_f32_e32 v45, v44
	v_nop
	v_fma_f32 v46, -v44, v45, 1.0
	s_delay_alu instid0(VALU_DEP_1) | instskip(NEXT) | instid1(VALU_DEP_1)
	v_fmac_f32_e32 v45, v46, v45
	v_mul_f32_e32 v46, v47, v45
	s_delay_alu instid0(VALU_DEP_1) | instskip(NEXT) | instid1(VALU_DEP_1)
	v_fma_f32 v48, -v44, v46, v47
	v_fmac_f32_e32 v46, v48, v45
	s_delay_alu instid0(VALU_DEP_1) | instskip(NEXT) | instid1(VALU_DEP_1)
	v_fma_f32 v44, -v44, v46, v47
	v_div_fmas_f32 v44, v44, v45, v46
	s_delay_alu instid0(VALU_DEP_1) | instskip(NEXT) | instid1(VALU_DEP_1)
	v_div_fixup_f32 v44, v44, v55, v49
	v_dual_add_f32 v45, v52, v44 :: v_dual_fmac_f32 v52, s16, v44
	s_delay_alu instid0(VALU_DEP_1) | instskip(SKIP_1) | instid1(VALU_DEP_2)
	v_cndmask_b32_e64 v46, v52, v45, s2
	v_add_nc_u64_e32 v[44:45], s[14:15], v[26:27]
	v_cvt_f16_f32_e32 v46, v46
	global_store_b16 v[44:45], v46, off
	s_branch .LBB119_3
.LBB119_28:
	s_mov_b32 s2, 0
.LBB119_29:
	s_delay_alu instid0(SALU_CYCLE_1)
	s_and_not1_b32 vcc_lo, exec_lo, s2
	s_cbranch_vccnz .LBB119_33
; %bb.30:
	v_min_i64 v[2:3], 0x10000, s[18:19]
	v_dual_mov_b32 v9, 0 :: v_dual_lshlrev_b32 v8, 2, v0
	s_mov_b32 s2, exec_lo
	s_delay_alu instid0(VALU_DEP_1)
	v_cmpx_lt_i64_e64 v[8:9], v[2:3]
	s_cbranch_execz .LBB119_33
; %bb.31:
	s_load_b32 s1, s[0:1], 0xc84
	v_dual_mov_b32 v1, v9 :: v_dual_lshlrev_b32 v8, 3, v0
	s_wait_kmcnt 0x0
	s_mov_b32 s17, s16
	s_cmp_eq_f32 s16, 1.0
	v_mov_b64_e32 v[6:7], s[16:17]
	v_dual_mov_b32 v4, s16 :: v_dual_mov_b32 v5, s16
	v_add_nc_u64_e32 v[8:9], s[14:15], v[8:9]
	s_mov_b32 s5, 0
	s_cselect_b32 s0, -1, 0
	s_mov_b32 s15, s5
	s_mov_b32 s16, s5
	s_and_b32 s4, s1, 0xffff
	s_delay_alu instid0(SALU_CYCLE_1)
	s_lshl_b32 s14, s4, 3
.LBB119_32:                             ; =>This Inner Loop Header: Depth=1
	v_add_nc_u64_e32 v[10:11], s[6:7], v[8:9]
	v_add_nc_u64_e32 v[12:13], s[10:11], v[8:9]
	;; [unrolled: 1-line block ×4, first 2 shown]
	global_load_b64 v[16:17], v[10:11], off
	global_load_b64 v[18:19], v[12:13], off
	;; [unrolled: 1-line block ×3, first 2 shown]
	s_wait_xcnt 0x2
	v_lshlrev_b64_e32 v[10:11], 2, v[0:1]
	s_wait_loadcnt 0x1
	v_dual_lshrrev_b32 v22, 16, v19 :: v_dual_lshrrev_b32 v23, 16, v18
	s_wait_loadcnt 0x0
	s_wait_xcnt 0x1
	v_cvt_f32_f16_e32 v12, v20
	s_wait_xcnt 0x0
	v_dual_lshrrev_b32 v13, 16, v20 :: v_dual_lshrrev_b32 v15, 16, v21
	v_cvt_f32_f16_e32 v14, v21
	v_lshrrev_b32_e32 v20, 16, v17
	v_cvt_f32_f16_e32 v21, v17
	v_lshrrev_b32_e32 v17, 16, v16
	v_cvt_f32_f16_e32 v16, v16
	v_cvt_f32_f16_e32 v18, v18
	;; [unrolled: 1-line block ×6, first 2 shown]
	v_div_scale_f32 v24, null, v18, v18, v16
	v_cvt_f32_f16_e32 v22, v22
	v_div_scale_f32 v26, null, v19, v19, v21
	s_delay_alu instid0(VALU_DEP_3) | instskip(SKIP_1) | instid1(VALU_DEP_3)
	v_rcp_f32_e32 v28, v24
	v_div_scale_f32 v29, null, v23, v23, v17
	v_div_scale_f32 v31, null, v22, v22, v20
	s_delay_alu instid0(VALU_DEP_3) | instskip(NEXT) | instid1(VALU_DEP_2)
	v_rcp_f32_e32 v32, v26
	v_rcp_f32_e32 v34, v29
	s_delay_alu instid0(TRANS32_DEP_3) | instskip(NEXT) | instid1(VALU_DEP_2)
	v_fma_f32 v36, -v24, v28, 1.0
	v_rcp_f32_e32 v35, v31
	v_div_scale_f32 v25, vcc_lo, v16, v18, v16
	v_div_scale_f32 v27, s1, v21, v19, v21
	s_delay_alu instid0(TRANS32_DEP_3) | instskip(SKIP_3) | instid1(VALU_DEP_4)
	v_fma_f32 v37, -v26, v32, 1.0
	v_fmac_f32_e32 v28, v36, v28
	v_fma_f32 v36, -v29, v34, 1.0
	v_div_scale_f32 v30, s2, v17, v23, v17
	v_fmac_f32_e32 v32, v37, v32
	v_fma_f32 v37, -v31, v35, 1.0
	s_delay_alu instid0(VALU_DEP_4) | instskip(SKIP_1) | instid1(VALU_DEP_2)
	v_dual_fmac_f32 v34, v36, v34 :: v_dual_mul_f32 v38, v25, v28
	v_div_scale_f32 v33, s3, v20, v22, v20
	v_dual_fmac_f32 v35, v37, v35 :: v_dual_mul_f32 v39, v30, v34
	s_delay_alu instid0(VALU_DEP_3) | instskip(SKIP_1) | instid1(VALU_DEP_3)
	v_dual_mul_f32 v36, v27, v32 :: v_dual_fma_f32 v37, -v24, v38, v25
	v_cvt_f32_f16_e32 v13, v13
	v_mul_f32_e32 v41, v33, v35
	v_cvt_f32_f16_e32 v15, v15
	s_delay_alu instid0(VALU_DEP_4) | instskip(SKIP_1) | instid1(VALU_DEP_2)
	v_fma_f32 v40, -v26, v36, v27
	v_fmac_f32_e32 v38, v37, v28
	v_dual_fma_f32 v37, -v29, v39, v30 :: v_dual_fmac_f32 v36, v40, v32
	v_fma_f32 v40, -v31, v41, v33
	s_delay_alu instid0(VALU_DEP_3) | instskip(NEXT) | instid1(VALU_DEP_3)
	v_fma_f32 v24, -v24, v38, v25
	v_fmac_f32_e32 v39, v37, v34
	s_delay_alu instid0(VALU_DEP_3) | instskip(NEXT) | instid1(VALU_DEP_3)
	v_dual_fma_f32 v25, -v26, v36, v27 :: v_dual_fmac_f32 v41, v40, v35
	v_div_fmas_f32 v24, v24, v28, v38
	s_delay_alu instid0(VALU_DEP_3) | instskip(SKIP_1) | instid1(VALU_DEP_3)
	v_fma_f32 v26, -v29, v39, v30
	s_mov_b32 vcc_lo, s2
	v_fma_f32 v27, -v31, v41, v33
	s_delay_alu instid0(VALU_DEP_3) | instskip(NEXT) | instid1(VALU_DEP_3)
	v_div_fixup_f32 v16, v24, v18, v16
	v_div_fmas_f32 v18, v26, v34, v39
	s_mov_b32 vcc_lo, s1
	v_div_fmas_f32 v24, v25, v32, v36
	s_mov_b32 vcc_lo, s3
	s_delay_alu instid0(VALU_DEP_2)
	v_div_fixup_f32 v17, v18, v23, v17
	v_div_fmas_f32 v25, v27, v35, v41
	v_cmp_ge_i64_e32 vcc_lo, v[10:11], v[2:3]
	v_div_fixup_f32 v18, v24, v19, v21
	v_add_nc_u64_e32 v[10:11], s[12:13], v[8:9]
	v_add_nc_u64_e32 v[8:9], s[14:15], v[8:9]
	v_div_fixup_f32 v19, v25, v22, v20
	v_pk_add_f32 v[20:21], v[16:17], v[12:13]
	v_pk_fma_f32 v[12:13], v[6:7], v[16:17], v[12:13]
	s_or_b32 s16, vcc_lo, s16
	s_delay_alu instid0(VALU_DEP_3) | instskip(SKIP_1) | instid1(VALU_DEP_3)
	v_pk_add_f32 v[16:17], v[18:19], v[14:15]
	v_pk_fma_f32 v[14:15], v[4:5], v[18:19], v[14:15]
	v_dual_cndmask_b32 v13, v13, v21, s0 :: v_dual_cndmask_b32 v12, v12, v20, s0
	s_delay_alu instid0(VALU_DEP_2) | instskip(NEXT) | instid1(VALU_DEP_2)
	v_dual_cndmask_b32 v15, v15, v17, s0 :: v_dual_cndmask_b32 v14, v14, v16, s0
	v_cvt_pk_f16_f32 v12, v12, v13
	s_delay_alu instid0(VALU_DEP_2)
	v_cvt_pk_f16_f32 v13, v14, v15
	global_store_b64 v[10:11], v[12:13], off
	s_wait_xcnt 0x0
	s_and_not1_b32 exec_lo, exec_lo, s16
	s_cbranch_execnz .LBB119_32
.LBB119_33:
	s_endpgm
	.section	.rodata,"a",@progbits
	.p2align	6, 0x0
	.amdhsa_kernel _ZN2at6native12_GLOBAL__N_125multi_tensor_apply_kernelINS1_28TensorListScalarListMetadataIfLi4EEENS1_28PointwiseOpScalarListFunctorIN3c104HalfELi4ELi3ELi3EEEJSt7dividesIfEEEEvT_T0_DpT1_
		.amdhsa_group_segment_fixed_size 0
		.amdhsa_private_segment_fixed_size 0
		.amdhsa_kernarg_size 3448
		.amdhsa_user_sgpr_count 2
		.amdhsa_user_sgpr_dispatch_ptr 0
		.amdhsa_user_sgpr_queue_ptr 0
		.amdhsa_user_sgpr_kernarg_segment_ptr 1
		.amdhsa_user_sgpr_dispatch_id 0
		.amdhsa_user_sgpr_kernarg_preload_length 0
		.amdhsa_user_sgpr_kernarg_preload_offset 0
		.amdhsa_user_sgpr_private_segment_size 0
		.amdhsa_wavefront_size32 1
		.amdhsa_uses_dynamic_stack 0
		.amdhsa_enable_private_segment 0
		.amdhsa_system_sgpr_workgroup_id_x 1
		.amdhsa_system_sgpr_workgroup_id_y 0
		.amdhsa_system_sgpr_workgroup_id_z 0
		.amdhsa_system_sgpr_workgroup_info 0
		.amdhsa_system_vgpr_workitem_id 0
		.amdhsa_next_free_vgpr 61
		.amdhsa_next_free_sgpr 27
		.amdhsa_named_barrier_count 0
		.amdhsa_reserve_vcc 1
		.amdhsa_float_round_mode_32 0
		.amdhsa_float_round_mode_16_64 0
		.amdhsa_float_denorm_mode_32 3
		.amdhsa_float_denorm_mode_16_64 3
		.amdhsa_fp16_overflow 0
		.amdhsa_memory_ordered 1
		.amdhsa_forward_progress 1
		.amdhsa_inst_pref_size 21
		.amdhsa_round_robin_scheduling 0
		.amdhsa_exception_fp_ieee_invalid_op 0
		.amdhsa_exception_fp_denorm_src 0
		.amdhsa_exception_fp_ieee_div_zero 0
		.amdhsa_exception_fp_ieee_overflow 0
		.amdhsa_exception_fp_ieee_underflow 0
		.amdhsa_exception_fp_ieee_inexact 0
		.amdhsa_exception_int_div_zero 0
	.end_amdhsa_kernel
	.section	.text._ZN2at6native12_GLOBAL__N_125multi_tensor_apply_kernelINS1_28TensorListScalarListMetadataIfLi4EEENS1_28PointwiseOpScalarListFunctorIN3c104HalfELi4ELi3ELi3EEEJSt7dividesIfEEEEvT_T0_DpT1_,"axG",@progbits,_ZN2at6native12_GLOBAL__N_125multi_tensor_apply_kernelINS1_28TensorListScalarListMetadataIfLi4EEENS1_28PointwiseOpScalarListFunctorIN3c104HalfELi4ELi3ELi3EEEJSt7dividesIfEEEEvT_T0_DpT1_,comdat
.Lfunc_end119:
	.size	_ZN2at6native12_GLOBAL__N_125multi_tensor_apply_kernelINS1_28TensorListScalarListMetadataIfLi4EEENS1_28PointwiseOpScalarListFunctorIN3c104HalfELi4ELi3ELi3EEEJSt7dividesIfEEEEvT_T0_DpT1_, .Lfunc_end119-_ZN2at6native12_GLOBAL__N_125multi_tensor_apply_kernelINS1_28TensorListScalarListMetadataIfLi4EEENS1_28PointwiseOpScalarListFunctorIN3c104HalfELi4ELi3ELi3EEEJSt7dividesIfEEEEvT_T0_DpT1_
                                        ; -- End function
	.set _ZN2at6native12_GLOBAL__N_125multi_tensor_apply_kernelINS1_28TensorListScalarListMetadataIfLi4EEENS1_28PointwiseOpScalarListFunctorIN3c104HalfELi4ELi3ELi3EEEJSt7dividesIfEEEEvT_T0_DpT1_.num_vgpr, 61
	.set _ZN2at6native12_GLOBAL__N_125multi_tensor_apply_kernelINS1_28TensorListScalarListMetadataIfLi4EEENS1_28PointwiseOpScalarListFunctorIN3c104HalfELi4ELi3ELi3EEEJSt7dividesIfEEEEvT_T0_DpT1_.num_agpr, 0
	.set _ZN2at6native12_GLOBAL__N_125multi_tensor_apply_kernelINS1_28TensorListScalarListMetadataIfLi4EEENS1_28PointwiseOpScalarListFunctorIN3c104HalfELi4ELi3ELi3EEEJSt7dividesIfEEEEvT_T0_DpT1_.numbered_sgpr, 27
	.set _ZN2at6native12_GLOBAL__N_125multi_tensor_apply_kernelINS1_28TensorListScalarListMetadataIfLi4EEENS1_28PointwiseOpScalarListFunctorIN3c104HalfELi4ELi3ELi3EEEJSt7dividesIfEEEEvT_T0_DpT1_.num_named_barrier, 0
	.set _ZN2at6native12_GLOBAL__N_125multi_tensor_apply_kernelINS1_28TensorListScalarListMetadataIfLi4EEENS1_28PointwiseOpScalarListFunctorIN3c104HalfELi4ELi3ELi3EEEJSt7dividesIfEEEEvT_T0_DpT1_.private_seg_size, 0
	.set _ZN2at6native12_GLOBAL__N_125multi_tensor_apply_kernelINS1_28TensorListScalarListMetadataIfLi4EEENS1_28PointwiseOpScalarListFunctorIN3c104HalfELi4ELi3ELi3EEEJSt7dividesIfEEEEvT_T0_DpT1_.uses_vcc, 1
	.set _ZN2at6native12_GLOBAL__N_125multi_tensor_apply_kernelINS1_28TensorListScalarListMetadataIfLi4EEENS1_28PointwiseOpScalarListFunctorIN3c104HalfELi4ELi3ELi3EEEJSt7dividesIfEEEEvT_T0_DpT1_.uses_flat_scratch, 0
	.set _ZN2at6native12_GLOBAL__N_125multi_tensor_apply_kernelINS1_28TensorListScalarListMetadataIfLi4EEENS1_28PointwiseOpScalarListFunctorIN3c104HalfELi4ELi3ELi3EEEJSt7dividesIfEEEEvT_T0_DpT1_.has_dyn_sized_stack, 0
	.set _ZN2at6native12_GLOBAL__N_125multi_tensor_apply_kernelINS1_28TensorListScalarListMetadataIfLi4EEENS1_28PointwiseOpScalarListFunctorIN3c104HalfELi4ELi3ELi3EEEJSt7dividesIfEEEEvT_T0_DpT1_.has_recursion, 0
	.set _ZN2at6native12_GLOBAL__N_125multi_tensor_apply_kernelINS1_28TensorListScalarListMetadataIfLi4EEENS1_28PointwiseOpScalarListFunctorIN3c104HalfELi4ELi3ELi3EEEJSt7dividesIfEEEEvT_T0_DpT1_.has_indirect_call, 0
	.section	.AMDGPU.csdata,"",@progbits
; Kernel info:
; codeLenInByte = 2564
; TotalNumSgprs: 29
; NumVgprs: 61
; ScratchSize: 0
; MemoryBound: 0
; FloatMode: 240
; IeeeMode: 1
; LDSByteSize: 0 bytes/workgroup (compile time only)
; SGPRBlocks: 0
; VGPRBlocks: 3
; NumSGPRsForWavesPerEU: 29
; NumVGPRsForWavesPerEU: 61
; NamedBarCnt: 0
; Occupancy: 16
; WaveLimiterHint : 0
; COMPUTE_PGM_RSRC2:SCRATCH_EN: 0
; COMPUTE_PGM_RSRC2:USER_SGPR: 2
; COMPUTE_PGM_RSRC2:TRAP_HANDLER: 0
; COMPUTE_PGM_RSRC2:TGID_X_EN: 1
; COMPUTE_PGM_RSRC2:TGID_Y_EN: 0
; COMPUTE_PGM_RSRC2:TGID_Z_EN: 0
; COMPUTE_PGM_RSRC2:TIDIG_COMP_CNT: 0
	.section	.text._ZN2at6native12_GLOBAL__N_125multi_tensor_apply_kernelINS1_28TensorListScalarListMetadataIfLi4EEENS1_28PointwiseOpScalarListFunctorIN3c108BFloat16ELi4ELi3ELi3EEEJSt7dividesIfEEEEvT_T0_DpT1_,"axG",@progbits,_ZN2at6native12_GLOBAL__N_125multi_tensor_apply_kernelINS1_28TensorListScalarListMetadataIfLi4EEENS1_28PointwiseOpScalarListFunctorIN3c108BFloat16ELi4ELi3ELi3EEEJSt7dividesIfEEEEvT_T0_DpT1_,comdat
	.globl	_ZN2at6native12_GLOBAL__N_125multi_tensor_apply_kernelINS1_28TensorListScalarListMetadataIfLi4EEENS1_28PointwiseOpScalarListFunctorIN3c108BFloat16ELi4ELi3ELi3EEEJSt7dividesIfEEEEvT_T0_DpT1_ ; -- Begin function _ZN2at6native12_GLOBAL__N_125multi_tensor_apply_kernelINS1_28TensorListScalarListMetadataIfLi4EEENS1_28PointwiseOpScalarListFunctorIN3c108BFloat16ELi4ELi3ELi3EEEJSt7dividesIfEEEEvT_T0_DpT1_
	.p2align	8
	.type	_ZN2at6native12_GLOBAL__N_125multi_tensor_apply_kernelINS1_28TensorListScalarListMetadataIfLi4EEENS1_28PointwiseOpScalarListFunctorIN3c108BFloat16ELi4ELi3ELi3EEEJSt7dividesIfEEEEvT_T0_DpT1_,@function
_ZN2at6native12_GLOBAL__N_125multi_tensor_apply_kernelINS1_28TensorListScalarListMetadataIfLi4EEENS1_28PointwiseOpScalarListFunctorIN3c108BFloat16ELi4ELi3ELi3EEEJSt7dividesIfEEEEvT_T0_DpT1_: ; @_ZN2at6native12_GLOBAL__N_125multi_tensor_apply_kernelINS1_28TensorListScalarListMetadataIfLi4EEENS1_28PointwiseOpScalarListFunctorIN3c108BFloat16ELi4ELi3ELi3EEEJSt7dividesIfEEEEvT_T0_DpT1_
; %bb.0:
	s_bfe_u32 s2, ttmp6, 0x4000c
	s_and_b32 s3, ttmp6, 15
	s_add_co_i32 s2, s2, 1
	s_getreg_b32 s4, hwreg(HW_REG_IB_STS2, 6, 4)
	s_mul_i32 s2, ttmp9, s2
	s_delay_alu instid0(SALU_CYCLE_1)
	s_add_co_i32 s3, s3, s2
	s_cmp_eq_u32 s4, 0
	s_cselect_b32 s2, ttmp9, s3
	s_mov_b32 s3, 0
	s_load_u8 s24, s[0:1], s2 offset:0x630
	s_add_nc_u64 s[4:5], s[0:1], s[2:3]
	s_mul_u64 s[6:7], s[2:3], 3
	s_delay_alu instid0(SALU_CYCLE_1)
	s_add_nc_u64 s[4:5], s[4:5], s[6:7]
	s_load_b32 s18, s[4:5], 0x770
	s_wait_kmcnt 0x0
	s_clause 0x4
	s_load_b64 s[6:7], s[0:1], s24 offset:0x120 scale_offset
	s_load_b64 s[8:9], s[0:1], s24 offset:0x0 scale_offset
	;; [unrolled: 1-line block ×5, first 2 shown]
	s_lshl_b32 s2, s24, 3
	s_delay_alu instid0(SALU_CYCLE_1) | instskip(SKIP_1) | instid1(SALU_CYCLE_1)
	s_add_nc_u64 s[16:17], s[0:1], s[2:3]
	s_ashr_i32 s19, s18, 31
	s_lshl_b64 s[14:15], s[18:19], 17
	s_wait_kmcnt 0x0
	s_add_nc_u64 s[4:5], s[6:7], s[14:15]
	s_add_nc_u64 s[22:23], s[10:11], s[14:15]
	s_and_b32 s2, s4, 7
	s_and_b64 s[4:5], s[8:9], 7
	s_cmp_eq_u64 s[2:3], 0
	s_cselect_b32 s25, -1, 0
	s_or_b32 s2, s12, s22
	s_delay_alu instid0(SALU_CYCLE_1) | instskip(NEXT) | instid1(SALU_CYCLE_1)
	s_and_b32 s2, s2, 7
	s_cmp_eq_u32 s2, 0
	s_cselect_b32 s26, -1, 0
	s_lshl_b32 s2, s24, 2
	s_delay_alu instid0(SALU_CYCLE_1)
	s_sub_nc_u64 s[22:23], 0, s[2:3]
	s_and_b32 s2, s20, 3
	s_add_nc_u64 s[16:17], s[16:17], s[22:23]
	s_or_b64 s[2:3], s[4:5], s[2:3]
	s_load_b32 s16, s[16:17], 0x5a0
	s_wait_xcnt 0x0
	s_and_b32 s17, s26, s25
	s_lshl_b64 s[4:5], s[18:19], 16
	s_cmp_eq_u64 s[2:3], 0
	s_sub_nc_u64 s[18:19], s[20:21], s[4:5]
	s_cselect_b32 s2, -1, 0
	s_delay_alu instid0(SALU_CYCLE_1) | instskip(NEXT) | instid1(SALU_CYCLE_1)
	s_and_b32 s2, s17, s2
	s_and_b32 vcc_lo, exec_lo, s2
	s_mov_b32 s2, -1
	s_cbranch_vccnz .LBB120_29
; %bb.1:
	v_cmp_lt_i64_e64 s2, s[18:19], 1
	s_and_b32 vcc_lo, exec_lo, s2
	s_cbranch_vccnz .LBB120_28
; %bb.2:
	s_load_b32 s2, s[0:1], 0xc84
	v_min_i64 v[2:3], 0x10000, s[18:19]
	v_min_u64 v[4:5], 0x10000, s[18:19]
	v_dual_mov_b32 v1, 0 :: v_dual_lshlrev_b32 v20, 1, v0
	s_mov_b32 s23, 0
	s_mov_b64 s[24:25], 0
	s_mov_b32 s3, s23
	s_delay_alu instid0(VALU_DEP_1) | instskip(SKIP_2) | instid1(VALU_DEP_1)
	v_dual_mov_b32 v21, v1 :: v_dual_mov_b32 v43, v1
	s_mov_b32 s21, s23
	s_mov_b32 s5, s23
	v_add_nc_u64_e32 v[6:7], s[8:9], v[20:21]
	v_add_nc_u64_e32 v[8:9], s[6:7], v[20:21]
	;; [unrolled: 1-line block ×4, first 2 shown]
	s_wait_kmcnt 0x0
	s_and_b32 s22, s2, 0xffff
	s_delay_alu instid0(SALU_CYCLE_1)
	s_lshl_b32 s4, s22, 1
	s_cmp_eq_f32 s16, 1.0
	v_add_nc_u64_e32 v[12:13], s[22:23], v[0:1]
	v_mad_nc_u64_u32 v[26:27], s22, 6, v[20:21]
	s_mul_i32 s2, s22, 3
	v_add_nc_u64_e32 v[18:19], s[4:5], v[0:1]
	v_add_nc_u64_e32 v[16:17], s[2:3], v[0:1]
	s_cselect_b32 s2, -1, 0
	s_lshl_b32 s20, s22, 2
	v_lshlrev_b32_e32 v42, 1, v12
	v_add_nc_u64_e32 v[38:39], s[20:21], v[20:21]
	s_lshl_b32 s22, s22, 3
	v_add_nc_u64_e32 v[20:21], s[8:9], v[26:27]
	v_add_nc_u64_e32 v[22:23], s[6:7], v[26:27]
	;; [unrolled: 1-line block ×12, first 2 shown]
	s_branch .LBB120_4
.LBB120_3:                              ;   in Loop: Header=BB120_4 Depth=1
	s_wait_xcnt 0x0
	s_or_b32 exec_lo, exec_lo, s3
	s_add_nc_u64 s[24:25], s[24:25], s[20:21]
	v_add_nc_u64_e32 v[6:7], s[22:23], v[6:7]
	v_cmp_lt_i64_e32 vcc_lo, s[24:25], v[2:3]
	v_add_nc_u64_e32 v[8:9], s[22:23], v[8:9]
	v_add_nc_u64_e32 v[10:11], s[22:23], v[10:11]
	;; [unrolled: 1-line block ×15, first 2 shown]
	s_cbranch_vccz .LBB120_28
.LBB120_4:                              ; =>This Inner Loop Header: Depth=1
	v_add_nc_u64_e32 v[44:45], s[24:25], v[0:1]
	v_dual_mov_b32 v47, 0 :: v_dual_mov_b32 v46, 0
	s_delay_alu instid0(VALU_DEP_2)
	v_cmp_lt_u64_e32 vcc_lo, v[44:45], v[4:5]
	s_and_saveexec_b32 s3, vcc_lo
	s_cbranch_execz .LBB120_6
; %bb.5:                                ;   in Loop: Header=BB120_4 Depth=1
	v_add_nc_u64_e32 v[44:45], s[14:15], v[8:9]
	v_add_nc_u64_e32 v[46:47], s[14:15], v[6:7]
	global_load_u16 v48, v[44:45], off
	global_load_u16 v49, v[46:47], off
	s_wait_loadcnt 0x0
	s_wait_xcnt 0x0
	v_dual_lshlrev_b32 v47, 16, v48 :: v_dual_lshlrev_b32 v46, 16, v49
.LBB120_6:                              ;   in Loop: Header=BB120_4 Depth=1
	s_or_b32 exec_lo, exec_lo, s3
	v_dual_mov_b32 v44, 0 :: v_dual_mov_b32 v52, 0
	s_and_saveexec_b32 s3, vcc_lo
	s_cbranch_execz .LBB120_8
; %bb.7:                                ;   in Loop: Header=BB120_4 Depth=1
	v_add_nc_u64_e32 v[48:49], s[14:15], v[10:11]
	global_load_u16 v45, v[48:49], off
	s_wait_loadcnt 0x0
	v_lshlrev_b32_e32 v52, 16, v45
.LBB120_8:                              ;   in Loop: Header=BB120_4 Depth=1
	s_wait_xcnt 0x0
	s_or_b32 exec_lo, exec_lo, s3
	v_add_nc_u64_e32 v[48:49], s[24:25], v[12:13]
	s_delay_alu instid0(VALU_DEP_1)
	v_cmp_lt_u64_e64 s3, v[48:49], v[4:5]
	v_mov_b32_e32 v49, 0
	s_and_saveexec_b32 s4, s3
	s_cbranch_execz .LBB120_10
; %bb.9:                                ;   in Loop: Header=BB120_4 Depth=1
	v_add_nc_u64_e32 v[44:45], s[14:15], v[30:31]
	v_add_nc_u64_e32 v[48:49], s[14:15], v[28:29]
	global_load_u16 v50, v[44:45], off
	global_load_u16 v51, v[48:49], off
	s_wait_loadcnt 0x0
	s_wait_xcnt 0x0
	v_dual_lshlrev_b32 v44, 16, v50 :: v_dual_lshlrev_b32 v49, 16, v51
.LBB120_10:                             ;   in Loop: Header=BB120_4 Depth=1
	s_or_b32 exec_lo, exec_lo, s4
	v_dual_mov_b32 v45, 0 :: v_dual_mov_b32 v53, 0
	s_and_saveexec_b32 s4, s3
	s_cbranch_execz .LBB120_12
; %bb.11:                               ;   in Loop: Header=BB120_4 Depth=1
	v_add_nc_u64_e32 v[50:51], s[14:15], v[40:41]
	global_load_u16 v48, v[50:51], off
	s_wait_loadcnt 0x0
	v_lshlrev_b32_e32 v53, 16, v48
.LBB120_12:                             ;   in Loop: Header=BB120_4 Depth=1
	s_wait_xcnt 0x0
	s_or_b32 exec_lo, exec_lo, s4
	v_add_nc_u64_e32 v[50:51], s[24:25], v[18:19]
	s_delay_alu instid0(VALU_DEP_1)
	v_cmp_lt_u64_e64 s4, v[50:51], v[4:5]
	v_mov_b32_e32 v50, 0
	s_and_saveexec_b32 s5, s4
	s_cbranch_execz .LBB120_14
; %bb.13:                               ;   in Loop: Header=BB120_4 Depth=1
	v_add_nc_u64_e32 v[50:51], s[14:15], v[34:35]
	v_add_nc_u64_e32 v[54:55], s[14:15], v[32:33]
	global_load_u16 v45, v[50:51], off
	global_load_u16 v48, v[54:55], off
	s_wait_loadcnt 0x0
	s_wait_xcnt 0x1
	v_dual_lshlrev_b32 v45, 16, v45 :: v_dual_lshlrev_b32 v50, 16, v48
.LBB120_14:                             ;   in Loop: Header=BB120_4 Depth=1
	s_wait_xcnt 0x0
	s_or_b32 exec_lo, exec_lo, s5
	v_dual_mov_b32 v48, 0 :: v_dual_mov_b32 v54, 0
	s_and_saveexec_b32 s5, s4
	s_cbranch_execz .LBB120_16
; %bb.15:                               ;   in Loop: Header=BB120_4 Depth=1
	v_add_nc_u64_e32 v[54:55], s[14:15], v[36:37]
	global_load_u16 v51, v[54:55], off
	s_wait_loadcnt 0x0
	s_wait_xcnt 0x0
	v_lshlrev_b32_e32 v54, 16, v51
.LBB120_16:                             ;   in Loop: Header=BB120_4 Depth=1
	s_or_b32 exec_lo, exec_lo, s5
	v_add_nc_u64_e32 v[56:57], s[24:25], v[16:17]
	v_mov_b32_e32 v51, 0
	s_delay_alu instid0(VALU_DEP_2)
	v_cmp_lt_u64_e64 s5, v[56:57], v[4:5]
	s_and_saveexec_b32 s17, s5
	s_cbranch_execnz .LBB120_22
; %bb.17:                               ;   in Loop: Header=BB120_4 Depth=1
	s_or_b32 exec_lo, exec_lo, s17
	v_mov_b32_e32 v55, 0
	s_and_saveexec_b32 s17, s5
	s_cbranch_execnz .LBB120_23
.LBB120_18:                             ;   in Loop: Header=BB120_4 Depth=1
	s_or_b32 exec_lo, exec_lo, s17
	s_and_saveexec_b32 s17, vcc_lo
	s_cbranch_execnz .LBB120_24
.LBB120_19:                             ;   in Loop: Header=BB120_4 Depth=1
	s_or_b32 exec_lo, exec_lo, s17
	s_and_saveexec_b32 s17, s3
	s_cbranch_execnz .LBB120_25
.LBB120_20:                             ;   in Loop: Header=BB120_4 Depth=1
	s_or_b32 exec_lo, exec_lo, s17
	s_and_saveexec_b32 s3, s4
	s_cbranch_execnz .LBB120_26
.LBB120_21:                             ;   in Loop: Header=BB120_4 Depth=1
	s_or_b32 exec_lo, exec_lo, s3
	s_and_saveexec_b32 s3, s5
	s_cbranch_execz .LBB120_3
	s_branch .LBB120_27
.LBB120_22:                             ;   in Loop: Header=BB120_4 Depth=1
	v_add_nc_u64_e32 v[56:57], s[14:15], v[22:23]
	v_add_nc_u64_e32 v[58:59], s[14:15], v[20:21]
	global_load_u16 v48, v[56:57], off
	global_load_u16 v51, v[58:59], off
	s_wait_loadcnt 0x0
	v_dual_lshlrev_b32 v48, 16, v48 :: v_dual_lshlrev_b32 v51, 16, v51
	s_wait_xcnt 0x0
	s_or_b32 exec_lo, exec_lo, s17
	v_mov_b32_e32 v55, 0
	s_and_saveexec_b32 s17, s5
	s_cbranch_execz .LBB120_18
.LBB120_23:                             ;   in Loop: Header=BB120_4 Depth=1
	v_add_nc_u64_e32 v[56:57], s[14:15], v[24:25]
	global_load_u16 v55, v[56:57], off
	s_wait_loadcnt 0x0
	v_lshlrev_b32_e32 v55, 16, v55
	s_wait_xcnt 0x0
	s_or_b32 exec_lo, exec_lo, s17
	s_and_saveexec_b32 s17, vcc_lo
	s_cbranch_execz .LBB120_19
.LBB120_24:                             ;   in Loop: Header=BB120_4 Depth=1
	v_div_scale_f32 v56, null, v52, v52, v47
	v_div_scale_f32 v59, vcc_lo, v47, v52, v47
	s_delay_alu instid0(VALU_DEP_2) | instskip(SKIP_1) | instid1(TRANS32_DEP_1)
	v_rcp_f32_e32 v57, v56
	v_nop
	v_fma_f32 v58, -v56, v57, 1.0
	s_delay_alu instid0(VALU_DEP_1) | instskip(NEXT) | instid1(VALU_DEP_1)
	v_fmac_f32_e32 v57, v58, v57
	v_mul_f32_e32 v58, v59, v57
	s_delay_alu instid0(VALU_DEP_1) | instskip(NEXT) | instid1(VALU_DEP_1)
	v_fma_f32 v60, -v56, v58, v59
	v_fmac_f32_e32 v58, v60, v57
	s_delay_alu instid0(VALU_DEP_1) | instskip(NEXT) | instid1(VALU_DEP_1)
	v_fma_f32 v56, -v56, v58, v59
	v_div_fmas_f32 v56, v56, v57, v58
	s_delay_alu instid0(VALU_DEP_1) | instskip(NEXT) | instid1(VALU_DEP_1)
	v_div_fixup_f32 v47, v56, v52, v47
	v_dual_add_f32 v52, v46, v47 :: v_dual_fmac_f32 v46, s16, v47
	s_delay_alu instid0(VALU_DEP_1) | instskip(NEXT) | instid1(VALU_DEP_1)
	v_cndmask_b32_e64 v52, v46, v52, s2
	v_bfe_u32 v46, v52, 16, 1
	v_cmp_o_f32_e32 vcc_lo, v52, v52
	s_delay_alu instid0(VALU_DEP_2) | instskip(NEXT) | instid1(VALU_DEP_1)
	v_add3_u32 v46, v52, v46, 0x7fff
	v_lshrrev_b32_e32 v56, 16, v46
	v_add_nc_u64_e32 v[46:47], s[14:15], v[14:15]
	s_delay_alu instid0(VALU_DEP_2)
	v_cndmask_b32_e32 v52, 0x7fc0, v56, vcc_lo
	global_store_b16 v[46:47], v52, off
	s_wait_xcnt 0x0
	s_or_b32 exec_lo, exec_lo, s17
	s_and_saveexec_b32 s17, s3
	s_cbranch_execz .LBB120_20
.LBB120_25:                             ;   in Loop: Header=BB120_4 Depth=1
	v_div_scale_f32 v46, null, v53, v53, v44
	v_div_scale_f32 v56, vcc_lo, v44, v53, v44
	s_delay_alu instid0(VALU_DEP_2) | instskip(SKIP_1) | instid1(TRANS32_DEP_1)
	v_rcp_f32_e32 v47, v46
	v_nop
	v_fma_f32 v52, -v46, v47, 1.0
	s_delay_alu instid0(VALU_DEP_1) | instskip(NEXT) | instid1(VALU_DEP_1)
	v_fmac_f32_e32 v47, v52, v47
	v_mul_f32_e32 v52, v56, v47
	s_delay_alu instid0(VALU_DEP_1) | instskip(NEXT) | instid1(VALU_DEP_1)
	v_fma_f32 v57, -v46, v52, v56
	v_fmac_f32_e32 v52, v57, v47
	s_delay_alu instid0(VALU_DEP_1) | instskip(NEXT) | instid1(VALU_DEP_1)
	v_fma_f32 v46, -v46, v52, v56
	v_div_fmas_f32 v46, v46, v47, v52
	s_delay_alu instid0(VALU_DEP_1) | instskip(NEXT) | instid1(VALU_DEP_1)
	v_div_fixup_f32 v44, v46, v53, v44
	v_dual_add_f32 v46, v49, v44 :: v_dual_fmac_f32 v49, s16, v44
	s_delay_alu instid0(VALU_DEP_1) | instskip(NEXT) | instid1(VALU_DEP_1)
	v_cndmask_b32_e64 v44, v49, v46, s2
	v_bfe_u32 v46, v44, 16, 1
	s_delay_alu instid0(VALU_DEP_1) | instskip(NEXT) | instid1(VALU_DEP_1)
	v_add3_u32 v46, v44, v46, 0x7fff
	v_lshrrev_b32_e32 v49, 16, v46
	v_cmp_o_f32_e32 vcc_lo, v44, v44
	v_add_nc_u64_e32 v[46:47], s[14:15], v[42:43]
	s_delay_alu instid0(VALU_DEP_3)
	v_cndmask_b32_e32 v44, 0x7fc0, v49, vcc_lo
	global_store_b16 v[46:47], v44, off
	s_wait_xcnt 0x0
	s_or_b32 exec_lo, exec_lo, s17
	s_and_saveexec_b32 s3, s4
	s_cbranch_execz .LBB120_21
.LBB120_26:                             ;   in Loop: Header=BB120_4 Depth=1
	v_div_scale_f32 v44, null, v54, v54, v45
	v_div_scale_f32 v49, vcc_lo, v45, v54, v45
	s_delay_alu instid0(VALU_DEP_2) | instskip(SKIP_1) | instid1(TRANS32_DEP_1)
	v_rcp_f32_e32 v46, v44
	v_nop
	v_fma_f32 v47, -v44, v46, 1.0
	s_delay_alu instid0(VALU_DEP_1) | instskip(NEXT) | instid1(VALU_DEP_1)
	v_fmac_f32_e32 v46, v47, v46
	v_mul_f32_e32 v47, v49, v46
	s_delay_alu instid0(VALU_DEP_1) | instskip(NEXT) | instid1(VALU_DEP_1)
	v_fma_f32 v52, -v44, v47, v49
	v_fmac_f32_e32 v47, v52, v46
	s_delay_alu instid0(VALU_DEP_1) | instskip(NEXT) | instid1(VALU_DEP_1)
	v_fma_f32 v44, -v44, v47, v49
	v_div_fmas_f32 v44, v44, v46, v47
	s_delay_alu instid0(VALU_DEP_1) | instskip(NEXT) | instid1(VALU_DEP_1)
	v_div_fixup_f32 v44, v44, v54, v45
	v_dual_add_f32 v45, v50, v44 :: v_dual_fmac_f32 v50, s16, v44
	s_delay_alu instid0(VALU_DEP_1) | instskip(NEXT) | instid1(VALU_DEP_1)
	v_cndmask_b32_e64 v46, v50, v45, s2
	v_bfe_u32 v44, v46, 16, 1
	v_cmp_o_f32_e32 vcc_lo, v46, v46
	s_delay_alu instid0(VALU_DEP_2) | instskip(NEXT) | instid1(VALU_DEP_1)
	v_add3_u32 v44, v46, v44, 0x7fff
	v_lshrrev_b32_e32 v47, 16, v44
	v_add_nc_u64_e32 v[44:45], s[14:15], v[38:39]
	s_delay_alu instid0(VALU_DEP_2)
	v_cndmask_b32_e32 v46, 0x7fc0, v47, vcc_lo
	global_store_b16 v[44:45], v46, off
	s_wait_xcnt 0x0
	s_or_b32 exec_lo, exec_lo, s3
	s_and_saveexec_b32 s3, s5
	s_cbranch_execz .LBB120_3
.LBB120_27:                             ;   in Loop: Header=BB120_4 Depth=1
	v_div_scale_f32 v44, null, v55, v55, v48
	v_div_scale_f32 v47, vcc_lo, v48, v55, v48
	s_delay_alu instid0(VALU_DEP_2) | instskip(SKIP_1) | instid1(TRANS32_DEP_1)
	v_rcp_f32_e32 v45, v44
	v_nop
	v_fma_f32 v46, -v44, v45, 1.0
	s_delay_alu instid0(VALU_DEP_1) | instskip(NEXT) | instid1(VALU_DEP_1)
	v_fmac_f32_e32 v45, v46, v45
	v_mul_f32_e32 v46, v47, v45
	s_delay_alu instid0(VALU_DEP_1) | instskip(NEXT) | instid1(VALU_DEP_1)
	v_fma_f32 v49, -v44, v46, v47
	v_fmac_f32_e32 v46, v49, v45
	s_delay_alu instid0(VALU_DEP_1) | instskip(NEXT) | instid1(VALU_DEP_1)
	v_fma_f32 v44, -v44, v46, v47
	v_div_fmas_f32 v44, v44, v45, v46
	s_delay_alu instid0(VALU_DEP_1) | instskip(NEXT) | instid1(VALU_DEP_1)
	v_div_fixup_f32 v44, v44, v55, v48
	v_dual_add_f32 v45, v51, v44 :: v_dual_fmac_f32 v51, s16, v44
	s_delay_alu instid0(VALU_DEP_1) | instskip(NEXT) | instid1(VALU_DEP_1)
	v_cndmask_b32_e64 v46, v51, v45, s2
	v_bfe_u32 v44, v46, 16, 1
	v_cmp_o_f32_e32 vcc_lo, v46, v46
	s_delay_alu instid0(VALU_DEP_2) | instskip(NEXT) | instid1(VALU_DEP_1)
	v_add3_u32 v44, v46, v44, 0x7fff
	v_lshrrev_b32_e32 v47, 16, v44
	v_add_nc_u64_e32 v[44:45], s[14:15], v[26:27]
	s_delay_alu instid0(VALU_DEP_2)
	v_cndmask_b32_e32 v46, 0x7fc0, v47, vcc_lo
	global_store_b16 v[44:45], v46, off
	s_branch .LBB120_3
.LBB120_28:
	s_mov_b32 s2, 0
.LBB120_29:
	s_delay_alu instid0(SALU_CYCLE_1)
	s_and_not1_b32 vcc_lo, exec_lo, s2
	s_cbranch_vccnz .LBB120_33
; %bb.30:
	v_min_i64 v[2:3], 0x10000, s[18:19]
	v_dual_mov_b32 v7, 0 :: v_dual_lshlrev_b32 v6, 2, v0
	s_mov_b32 s2, exec_lo
	s_delay_alu instid0(VALU_DEP_1)
	v_cmpx_lt_i64_e64 v[6:7], v[2:3]
	s_cbranch_execz .LBB120_33
; %bb.31:
	s_load_b32 s1, s[0:1], 0xc84
	v_dual_mov_b32 v1, v7 :: v_dual_lshlrev_b32 v6, 3, v0
	s_wait_kmcnt 0x0
	s_mov_b32 s17, s16
	s_cmp_eq_f32 s16, 1.0
	v_mov_b64_e32 v[4:5], s[16:17]
	s_mov_b32 s5, 0
	v_add_nc_u64_e32 v[6:7], s[14:15], v[6:7]
	s_cselect_b32 s0, -1, 0
	s_mov_b32 s15, s5
	s_mov_b32 s16, s5
	s_and_b32 s4, s1, 0xffff
	s_delay_alu instid0(SALU_CYCLE_1)
	s_lshl_b32 s14, s4, 3
.LBB120_32:                             ; =>This Inner Loop Header: Depth=1
	s_delay_alu instid0(VALU_DEP_1)
	v_add_nc_u64_e32 v[8:9], s[6:7], v[6:7]
	v_add_nc_u64_e32 v[10:11], s[10:11], v[6:7]
	;; [unrolled: 1-line block ×4, first 2 shown]
	global_load_b64 v[14:15], v[8:9], off
	global_load_b64 v[16:17], v[10:11], off
	global_load_b64 v[18:19], v[12:13], off
	s_wait_xcnt 0x2
	v_lshlrev_b64_e32 v[8:9], 2, v[0:1]
	s_wait_loadcnt 0x2
	v_lshlrev_b32_e32 v20, 16, v14
	v_and_b32_e32 v22, 0xffff0000, v14
	s_wait_loadcnt 0x0
	s_wait_xcnt 0x1
	v_dual_lshlrev_b32 v11, 16, v18 :: v_dual_lshlrev_b32 v21, 16, v16
	v_and_b32_e32 v23, 0xffff0000, v16
	s_wait_xcnt 0x0
	v_alignbit_b32 v13, v19, v18, 16
	v_and_b32_e32 v12, 0xffff0000, v19
	v_alignbit_b32 v14, v15, v14, 16
	v_and_b32_e32 v24, 0xffff0000, v15
	;; [unrolled: 2-line block ×3, first 2 shown]
	v_div_scale_f32 v17, null, v21, v21, v20
	v_div_scale_f32 v19, null, v23, v23, v22
	v_and_b32_e32 v26, 0xffff0000, v14
	v_and_b32_e32 v27, 0xffff0000, v15
	v_div_scale_f32 v14, null, v16, v16, v24
	v_rcp_f32_e32 v28, v17
	v_rcp_f32_e32 v29, v19
	s_delay_alu instid0(VALU_DEP_2) | instskip(NEXT) | instid1(VALU_DEP_2)
	v_div_scale_f32 v30, null, v27, v27, v26
	v_rcp_f32_e32 v31, v14
	v_and_b32_e32 v10, 0xffff0000, v18
	v_div_scale_f32 v25, s1, v22, v23, v22
	s_delay_alu instid0(TRANS32_DEP_3) | instskip(NEXT) | instid1(TRANS32_DEP_2)
	v_fma_f32 v34, -v17, v28, 1.0
	v_fma_f32 v35, -v19, v29, 1.0
	v_rcp_f32_e32 v33, v30
	s_delay_alu instid0(TRANS32_DEP_2) | instskip(SKIP_3) | instid1(VALU_DEP_4)
	v_fma_f32 v36, -v14, v31, 1.0
	v_div_scale_f32 v15, s2, v24, v16, v24
	v_fmac_f32_e32 v28, v34, v28
	v_div_scale_f32 v18, vcc_lo, v20, v21, v20
	v_dual_fmac_f32 v29, v35, v29 :: v_dual_fmac_f32 v31, v36, v31
	s_delay_alu instid0(TRANS32_DEP_1) | instskip(NEXT) | instid1(VALU_DEP_3)
	v_fma_f32 v34, -v30, v33, 1.0
	v_mul_f32_e32 v35, v18, v28
	v_div_scale_f32 v32, s3, v26, v27, v26
	s_delay_alu instid0(VALU_DEP_4) | instskip(NEXT) | instid1(VALU_DEP_4)
	v_mul_f32_e32 v36, v25, v29
	v_dual_fmac_f32 v33, v34, v33 :: v_dual_mul_f32 v34, v15, v31
	s_delay_alu instid0(VALU_DEP_4) | instskip(SKIP_1) | instid1(VALU_DEP_3)
	v_fma_f32 v37, -v17, v35, v18
	v_and_b32_e32 v13, 0xffff0000, v13
	v_dual_fma_f32 v38, -v19, v36, v25 :: v_dual_mul_f32 v39, v32, v33
	s_delay_alu instid0(VALU_DEP_4) | instskip(NEXT) | instid1(VALU_DEP_2)
	v_fma_f32 v40, -v14, v34, v15
	v_dual_fmac_f32 v35, v37, v28 :: v_dual_fmac_f32 v36, v38, v29
	s_delay_alu instid0(VALU_DEP_3) | instskip(NEXT) | instid1(VALU_DEP_2)
	v_fma_f32 v37, -v30, v39, v32
	v_dual_fma_f32 v17, -v17, v35, v18 :: v_dual_fma_f32 v18, -v19, v36, v25
	s_delay_alu instid0(VALU_DEP_2) | instskip(NEXT) | instid1(VALU_DEP_1)
	v_dual_fmac_f32 v34, v40, v31 :: v_dual_fmac_f32 v39, v37, v33
	v_fma_f32 v19, -v14, v34, v15
	s_delay_alu instid0(VALU_DEP_3) | instskip(SKIP_1) | instid1(VALU_DEP_3)
	v_div_fmas_f32 v14, v17, v28, v35
	s_mov_b32 vcc_lo, s1
	v_fma_f32 v17, -v30, v39, v32
	v_div_fmas_f32 v18, v18, v29, v36
	s_mov_b32 vcc_lo, s3
	v_div_fixup_f32 v15, v14, v21, v20
	s_delay_alu instid0(VALU_DEP_3) | instskip(NEXT) | instid1(VALU_DEP_3)
	v_div_fmas_f32 v17, v17, v33, v39
	v_div_fixup_f32 v14, v18, v23, v22
	s_mov_b32 vcc_lo, s2
	v_div_fmas_f32 v20, v19, v31, v34
	s_delay_alu instid0(VALU_DEP_3) | instskip(NEXT) | instid1(VALU_DEP_3)
	v_div_fixup_f32 v17, v17, v27, v26
	v_pk_add_f32 v[18:19], v[14:15], v[10:11]
	v_pk_fma_f32 v[10:11], v[4:5], v[14:15], v[10:11]
	s_delay_alu instid0(VALU_DEP_4) | instskip(NEXT) | instid1(VALU_DEP_2)
	v_div_fixup_f32 v16, v20, v16, v24
	v_dual_cndmask_b32 v14, v10, v18, s0 :: v_dual_cndmask_b32 v15, v11, v19, s0
	s_delay_alu instid0(VALU_DEP_2) | instskip(SKIP_1) | instid1(VALU_DEP_3)
	v_pk_add_f32 v[10:11], v[16:17], v[12:13]
	v_pk_fma_f32 v[12:13], v[4:5], v[16:17], v[12:13]
	v_bfe_u32 v17, v14, 16, 1
	s_delay_alu instid0(VALU_DEP_4) | instskip(SKIP_1) | instid1(VALU_DEP_4)
	v_bfe_u32 v16, v15, 16, 1
	v_cmp_o_f32_e32 vcc_lo, v14, v14
	v_cndmask_b32_e64 v10, v12, v10, s0
	v_cmp_o_f32_e64 s1, v15, v15
	s_delay_alu instid0(VALU_DEP_4) | instskip(SKIP_3) | instid1(VALU_DEP_4)
	v_add3_u32 v12, v15, v16, 0x7fff
	v_cndmask_b32_e64 v11, v13, v11, s0
	v_add3_u32 v13, v14, v17, 0x7fff
	v_bfe_u32 v17, v10, 16, 1
	v_lshrrev_b32_e32 v12, 16, v12
	s_delay_alu instid0(VALU_DEP_4) | instskip(NEXT) | instid1(VALU_DEP_4)
	v_bfe_u32 v16, v11, 16, 1
	v_and_b32_e32 v13, 0xffff0000, v13
	s_delay_alu instid0(VALU_DEP_4) | instskip(NEXT) | instid1(VALU_DEP_4)
	v_add3_u32 v17, v10, v17, 0x7fff
	v_cndmask_b32_e64 v12, 0x7fc0, v12, s1
	s_delay_alu instid0(VALU_DEP_4) | instskip(NEXT) | instid1(VALU_DEP_4)
	v_add3_u32 v16, v11, v16, 0x7fff
	v_cndmask_b32_e32 v13, 0x7fc00000, v13, vcc_lo
	s_delay_alu instid0(VALU_DEP_4) | instskip(SKIP_2) | instid1(VALU_DEP_4)
	v_and_b32_e32 v15, 0xffff0000, v17
	v_cmp_o_f32_e32 vcc_lo, v10, v10
	v_cmp_o_f32_e64 s1, v11, v11
	v_dual_lshrrev_b32 v14, 16, v16 :: v_dual_bitop2_b32 v12, v12, v13 bitop3:0x54
	s_delay_alu instid0(VALU_DEP_4) | instskip(SKIP_1) | instid1(VALU_DEP_3)
	v_cndmask_b32_e32 v11, 0x7fc00000, v15, vcc_lo
	v_cmp_ge_i64_e32 vcc_lo, v[8:9], v[2:3]
	v_cndmask_b32_e64 v10, 0x7fc0, v14, s1
	v_add_nc_u64_e32 v[8:9], s[12:13], v[6:7]
	v_add_nc_u64_e32 v[6:7], s[14:15], v[6:7]
	s_delay_alu instid0(VALU_DEP_3)
	v_or3_b32 v11, 0, v10, v11
	v_or3_b32 v10, v12, 0, 0
	s_or_b32 s16, vcc_lo, s16
	global_store_b64 v[8:9], v[10:11], off
	s_wait_xcnt 0x0
	s_and_not1_b32 exec_lo, exec_lo, s16
	s_cbranch_execnz .LBB120_32
.LBB120_33:
	s_endpgm
	.section	.rodata,"a",@progbits
	.p2align	6, 0x0
	.amdhsa_kernel _ZN2at6native12_GLOBAL__N_125multi_tensor_apply_kernelINS1_28TensorListScalarListMetadataIfLi4EEENS1_28PointwiseOpScalarListFunctorIN3c108BFloat16ELi4ELi3ELi3EEEJSt7dividesIfEEEEvT_T0_DpT1_
		.amdhsa_group_segment_fixed_size 0
		.amdhsa_private_segment_fixed_size 0
		.amdhsa_kernarg_size 3448
		.amdhsa_user_sgpr_count 2
		.amdhsa_user_sgpr_dispatch_ptr 0
		.amdhsa_user_sgpr_queue_ptr 0
		.amdhsa_user_sgpr_kernarg_segment_ptr 1
		.amdhsa_user_sgpr_dispatch_id 0
		.amdhsa_user_sgpr_kernarg_preload_length 0
		.amdhsa_user_sgpr_kernarg_preload_offset 0
		.amdhsa_user_sgpr_private_segment_size 0
		.amdhsa_wavefront_size32 1
		.amdhsa_uses_dynamic_stack 0
		.amdhsa_enable_private_segment 0
		.amdhsa_system_sgpr_workgroup_id_x 1
		.amdhsa_system_sgpr_workgroup_id_y 0
		.amdhsa_system_sgpr_workgroup_id_z 0
		.amdhsa_system_sgpr_workgroup_info 0
		.amdhsa_system_vgpr_workitem_id 0
		.amdhsa_next_free_vgpr 61
		.amdhsa_next_free_sgpr 27
		.amdhsa_named_barrier_count 0
		.amdhsa_reserve_vcc 1
		.amdhsa_float_round_mode_32 0
		.amdhsa_float_round_mode_16_64 0
		.amdhsa_float_denorm_mode_32 3
		.amdhsa_float_denorm_mode_16_64 3
		.amdhsa_fp16_overflow 0
		.amdhsa_memory_ordered 1
		.amdhsa_forward_progress 1
		.amdhsa_inst_pref_size 24
		.amdhsa_round_robin_scheduling 0
		.amdhsa_exception_fp_ieee_invalid_op 0
		.amdhsa_exception_fp_denorm_src 0
		.amdhsa_exception_fp_ieee_div_zero 0
		.amdhsa_exception_fp_ieee_overflow 0
		.amdhsa_exception_fp_ieee_underflow 0
		.amdhsa_exception_fp_ieee_inexact 0
		.amdhsa_exception_int_div_zero 0
	.end_amdhsa_kernel
	.section	.text._ZN2at6native12_GLOBAL__N_125multi_tensor_apply_kernelINS1_28TensorListScalarListMetadataIfLi4EEENS1_28PointwiseOpScalarListFunctorIN3c108BFloat16ELi4ELi3ELi3EEEJSt7dividesIfEEEEvT_T0_DpT1_,"axG",@progbits,_ZN2at6native12_GLOBAL__N_125multi_tensor_apply_kernelINS1_28TensorListScalarListMetadataIfLi4EEENS1_28PointwiseOpScalarListFunctorIN3c108BFloat16ELi4ELi3ELi3EEEJSt7dividesIfEEEEvT_T0_DpT1_,comdat
.Lfunc_end120:
	.size	_ZN2at6native12_GLOBAL__N_125multi_tensor_apply_kernelINS1_28TensorListScalarListMetadataIfLi4EEENS1_28PointwiseOpScalarListFunctorIN3c108BFloat16ELi4ELi3ELi3EEEJSt7dividesIfEEEEvT_T0_DpT1_, .Lfunc_end120-_ZN2at6native12_GLOBAL__N_125multi_tensor_apply_kernelINS1_28TensorListScalarListMetadataIfLi4EEENS1_28PointwiseOpScalarListFunctorIN3c108BFloat16ELi4ELi3ELi3EEEJSt7dividesIfEEEEvT_T0_DpT1_
                                        ; -- End function
	.set _ZN2at6native12_GLOBAL__N_125multi_tensor_apply_kernelINS1_28TensorListScalarListMetadataIfLi4EEENS1_28PointwiseOpScalarListFunctorIN3c108BFloat16ELi4ELi3ELi3EEEJSt7dividesIfEEEEvT_T0_DpT1_.num_vgpr, 61
	.set _ZN2at6native12_GLOBAL__N_125multi_tensor_apply_kernelINS1_28TensorListScalarListMetadataIfLi4EEENS1_28PointwiseOpScalarListFunctorIN3c108BFloat16ELi4ELi3ELi3EEEJSt7dividesIfEEEEvT_T0_DpT1_.num_agpr, 0
	.set _ZN2at6native12_GLOBAL__N_125multi_tensor_apply_kernelINS1_28TensorListScalarListMetadataIfLi4EEENS1_28PointwiseOpScalarListFunctorIN3c108BFloat16ELi4ELi3ELi3EEEJSt7dividesIfEEEEvT_T0_DpT1_.numbered_sgpr, 27
	.set _ZN2at6native12_GLOBAL__N_125multi_tensor_apply_kernelINS1_28TensorListScalarListMetadataIfLi4EEENS1_28PointwiseOpScalarListFunctorIN3c108BFloat16ELi4ELi3ELi3EEEJSt7dividesIfEEEEvT_T0_DpT1_.num_named_barrier, 0
	.set _ZN2at6native12_GLOBAL__N_125multi_tensor_apply_kernelINS1_28TensorListScalarListMetadataIfLi4EEENS1_28PointwiseOpScalarListFunctorIN3c108BFloat16ELi4ELi3ELi3EEEJSt7dividesIfEEEEvT_T0_DpT1_.private_seg_size, 0
	.set _ZN2at6native12_GLOBAL__N_125multi_tensor_apply_kernelINS1_28TensorListScalarListMetadataIfLi4EEENS1_28PointwiseOpScalarListFunctorIN3c108BFloat16ELi4ELi3ELi3EEEJSt7dividesIfEEEEvT_T0_DpT1_.uses_vcc, 1
	.set _ZN2at6native12_GLOBAL__N_125multi_tensor_apply_kernelINS1_28TensorListScalarListMetadataIfLi4EEENS1_28PointwiseOpScalarListFunctorIN3c108BFloat16ELi4ELi3ELi3EEEJSt7dividesIfEEEEvT_T0_DpT1_.uses_flat_scratch, 0
	.set _ZN2at6native12_GLOBAL__N_125multi_tensor_apply_kernelINS1_28TensorListScalarListMetadataIfLi4EEENS1_28PointwiseOpScalarListFunctorIN3c108BFloat16ELi4ELi3ELi3EEEJSt7dividesIfEEEEvT_T0_DpT1_.has_dyn_sized_stack, 0
	.set _ZN2at6native12_GLOBAL__N_125multi_tensor_apply_kernelINS1_28TensorListScalarListMetadataIfLi4EEENS1_28PointwiseOpScalarListFunctorIN3c108BFloat16ELi4ELi3ELi3EEEJSt7dividesIfEEEEvT_T0_DpT1_.has_recursion, 0
	.set _ZN2at6native12_GLOBAL__N_125multi_tensor_apply_kernelINS1_28TensorListScalarListMetadataIfLi4EEENS1_28PointwiseOpScalarListFunctorIN3c108BFloat16ELi4ELi3ELi3EEEJSt7dividesIfEEEEvT_T0_DpT1_.has_indirect_call, 0
	.section	.AMDGPU.csdata,"",@progbits
; Kernel info:
; codeLenInByte = 2960
; TotalNumSgprs: 29
; NumVgprs: 61
; ScratchSize: 0
; MemoryBound: 0
; FloatMode: 240
; IeeeMode: 1
; LDSByteSize: 0 bytes/workgroup (compile time only)
; SGPRBlocks: 0
; VGPRBlocks: 3
; NumSGPRsForWavesPerEU: 29
; NumVGPRsForWavesPerEU: 61
; NamedBarCnt: 0
; Occupancy: 16
; WaveLimiterHint : 0
; COMPUTE_PGM_RSRC2:SCRATCH_EN: 0
; COMPUTE_PGM_RSRC2:USER_SGPR: 2
; COMPUTE_PGM_RSRC2:TRAP_HANDLER: 0
; COMPUTE_PGM_RSRC2:TGID_X_EN: 1
; COMPUTE_PGM_RSRC2:TGID_Y_EN: 0
; COMPUTE_PGM_RSRC2:TGID_Z_EN: 0
; COMPUTE_PGM_RSRC2:TIDIG_COMP_CNT: 0
	.section	.text._ZN2at6native12_GLOBAL__N_125multi_tensor_apply_kernelINS1_28TensorListScalarListMetadataIhLi3EEENS1_28PointwiseOpScalarListFunctorIhLi3ELi3ELi0EEEJSt7dividesIhEEEEvT_T0_DpT1_,"axG",@progbits,_ZN2at6native12_GLOBAL__N_125multi_tensor_apply_kernelINS1_28TensorListScalarListMetadataIhLi3EEENS1_28PointwiseOpScalarListFunctorIhLi3ELi3ELi0EEEJSt7dividesIhEEEEvT_T0_DpT1_,comdat
	.globl	_ZN2at6native12_GLOBAL__N_125multi_tensor_apply_kernelINS1_28TensorListScalarListMetadataIhLi3EEENS1_28PointwiseOpScalarListFunctorIhLi3ELi3ELi0EEEJSt7dividesIhEEEEvT_T0_DpT1_ ; -- Begin function _ZN2at6native12_GLOBAL__N_125multi_tensor_apply_kernelINS1_28TensorListScalarListMetadataIhLi3EEENS1_28PointwiseOpScalarListFunctorIhLi3ELi3ELi0EEEJSt7dividesIhEEEEvT_T0_DpT1_
	.p2align	8
	.type	_ZN2at6native12_GLOBAL__N_125multi_tensor_apply_kernelINS1_28TensorListScalarListMetadataIhLi3EEENS1_28PointwiseOpScalarListFunctorIhLi3ELi3ELi0EEEJSt7dividesIhEEEEvT_T0_DpT1_,@function
_ZN2at6native12_GLOBAL__N_125multi_tensor_apply_kernelINS1_28TensorListScalarListMetadataIhLi3EEENS1_28PointwiseOpScalarListFunctorIhLi3ELi3ELi0EEEJSt7dividesIhEEEEvT_T0_DpT1_: ; @_ZN2at6native12_GLOBAL__N_125multi_tensor_apply_kernelINS1_28TensorListScalarListMetadataIhLi3EEENS1_28PointwiseOpScalarListFunctorIhLi3ELi3ELi0EEEJSt7dividesIhEEEEvT_T0_DpT1_
; %bb.0:
	s_bfe_u32 s2, ttmp6, 0x4000c
	s_and_b32 s3, ttmp6, 15
	s_add_co_i32 s2, s2, 1
	s_getreg_b32 s4, hwreg(HW_REG_IB_STS2, 6, 4)
	s_mul_i32 s2, ttmp9, s2
	v_mov_b32_e32 v3, 0
	s_add_co_i32 s3, s3, s2
	s_cmp_eq_u32 s4, 0
	s_cselect_b32 s2, ttmp9, s3
	s_mov_b32 s3, 0
	v_mov_b32_e32 v1, s2
	s_add_nc_u64 s[4:5], s[0:1], s[2:3]
	s_mul_u64 s[6:7], s[2:3], 3
	s_delay_alu instid0(SALU_CYCLE_1) | instskip(SKIP_4) | instid1(SALU_CYCLE_1)
	s_add_nc_u64 s[4:5], s[4:5], s[6:7]
	global_load_u8 v1, v1, s[0:1] offset:1584
	s_load_b32 s10, s[4:5], 0x770
	s_wait_kmcnt 0x0
	s_ashr_i32 s11, s10, 31
	s_lshl_b64 s[10:11], s[10:11], 16
	s_wait_loadcnt 0x0
	v_readfirstlane_b32 s2, v1
	s_delay_alu instid0(VALU_DEP_1) | instskip(SKIP_1) | instid1(VALU_DEP_1)
	v_mov_b32_e32 v2, s2
	s_and_b32 s2, s2, 0xff
	v_and_b32_e32 v2, 0xff, v2
	s_delay_alu instid0(VALU_DEP_1)
	v_add_nc_u64_e32 v[2:3], s[0:1], v[2:3]
	global_load_u8 v44, v[2:3], off offset:1536
	s_clause 0x3
	s_load_b64 s[4:5], s[0:1], s2 offset:0x180 scale_offset
	s_load_b64 s[6:7], s[0:1], s2 offset:0x300 scale_offset
	;; [unrolled: 1-line block ×4, first 2 shown]
	s_wait_kmcnt 0x0
	s_add_nc_u64 s[14:15], s[4:5], s[10:11]
	s_delay_alu instid0(SALU_CYCLE_1) | instskip(SKIP_2) | instid1(SALU_CYCLE_1)
	s_or_b32 s2, s6, s14
	s_add_nc_u64 s[14:15], s[8:9], s[10:11]
	s_and_b32 s2, s2, 3
	s_cmp_eq_u32 s2, 0
	s_cselect_b32 s16, -1, 0
	s_or_b64 s[14:15], s[12:13], s[14:15]
	s_sub_nc_u64 s[12:13], s[12:13], s[10:11]
	s_and_b32 s2, s14, 3
	s_delay_alu instid0(SALU_CYCLE_1) | instskip(SKIP_1) | instid1(SALU_CYCLE_1)
	s_cmp_eq_u64 s[2:3], 0
	s_cselect_b32 s2, -1, 0
	s_and_b32 s2, s16, s2
	s_delay_alu instid0(SALU_CYCLE_1)
	s_and_b32 vcc_lo, exec_lo, s2
	s_mov_b32 s2, -1
	s_cbranch_vccnz .LBB121_19
; %bb.1:
	v_cmp_lt_i64_e64 s2, s[12:13], 1
	s_and_b32 vcc_lo, exec_lo, s2
	s_cbranch_vccnz .LBB121_18
; %bb.2:
	s_load_b32 s2, s[0:1], 0xc84
	v_min_i64 v[2:3], 0x10000, s[12:13]
	v_min_u64 v[4:5], 0x10000, s[12:13]
	v_mov_b32_e32 v1, 0
	s_mov_b32 s15, 0
	s_delay_alu instid0(SALU_CYCLE_1) | instskip(SKIP_1) | instid1(VALU_DEP_1)
	s_mov_b32 s3, s15
	s_mov_b32 s17, s15
	v_add_nc_u64_e32 v[12:13], s[10:11], v[0:1]
	s_delay_alu instid0(VALU_DEP_1) | instskip(SKIP_4) | instid1(SALU_CYCLE_1)
	v_add_nc_u64_e32 v[6:7], s[8:9], v[12:13]
	v_add_nc_u64_e32 v[8:9], s[4:5], v[12:13]
	;; [unrolled: 1-line block ×3, first 2 shown]
	s_wait_kmcnt 0x0
	s_and_b32 s14, s2, 0xffff
	s_lshl_b32 s2, s14, 1
	s_mul_i32 s16, s14, 3
	s_add_nc_u64 s[20:21], s[10:11], s[2:3]
	s_add_nc_u64 s[18:19], s[10:11], s[16:17]
	v_add_nc_u64_e32 v[20:21], s[14:15], v[12:13]
	v_add_nc_u64_e32 v[28:29], s[18:19], v[0:1]
	;; [unrolled: 1-line block ×6, first 2 shown]
	s_lshl_b32 s14, s14, 2
	v_add_nc_u64_e32 v[16:17], s[8:9], v[20:21]
	v_add_nc_u64_e32 v[18:19], s[4:5], v[20:21]
	v_add_nc_u64_e32 v[20:21], s[6:7], v[20:21]
	v_add_nc_u64_e32 v[22:23], s[8:9], v[28:29]
	v_add_nc_u64_e32 v[24:25], s[8:9], v[32:33]
	v_add_nc_u64_e32 v[26:27], s[4:5], v[28:29]
	v_add_nc_u64_e32 v[28:29], s[6:7], v[28:29]
	v_add_nc_u64_e32 v[30:31], s[4:5], v[32:33]
	v_add_nc_u64_e32 v[32:33], s[6:7], v[32:33]
	s_mov_b64 s[16:17], 0
	s_branch .LBB121_4
.LBB121_3:                              ;   in Loop: Header=BB121_4 Depth=1
	s_wait_xcnt 0x0
	s_or_b32 exec_lo, exec_lo, s2
	v_add_nc_u64_e32 v[56:57], s[16:17], v[28:29]
	s_wait_loadcnt 0x0
	v_cvt_f32_ubyte0_e32 v54, v54
	v_cvt_f32_ubyte0_e32 v55, v55
	;; [unrolled: 1-line block ×6, first 2 shown]
	global_load_u8 v56, v[56:57], off
	s_wait_xcnt 0x0
	v_rcp_iflag_f32_e32 v57, v54
	v_rcp_iflag_f32_e32 v58, v55
	;; [unrolled: 1-line block ×3, first 2 shown]
	v_cvt_f32_ubyte0_e32 v53, v53
	s_add_nc_u64 s[16:17], s[16:17], s[14:15]
	s_delay_alu instid0(SALU_CYCLE_1) | instskip(NEXT) | instid1(TRANS32_DEP_2)
	v_cmp_lt_i64_e32 vcc_lo, s[16:17], v[2:3]
	v_dual_mul_f32 v57, v48, v57 :: v_dual_mul_f32 v58, v51, v58
	s_delay_alu instid0(VALU_DEP_1) | instskip(NEXT) | instid1(TRANS32_DEP_1)
	v_trunc_f32_e32 v57, v57
	v_mul_f32_e32 v59, v47, v59
	s_delay_alu instid0(VALU_DEP_3) | instskip(SKIP_1) | instid1(VALU_DEP_3)
	v_trunc_f32_e32 v58, v58
	s_and_b32 vcc_lo, exec_lo, vcc_lo
	v_fma_f32 v48, -v57, v54, v48
	s_delay_alu instid0(VALU_DEP_3) | instskip(SKIP_4) | instid1(VALU_DEP_1)
	v_trunc_f32_e32 v59, v59
	v_cvt_u32_f32_e32 v57, v57
	v_fma_f32 v51, -v58, v55, v51
	v_cvt_u32_f32_e32 v58, v58
	v_cmp_ge_f32_e64 s2, |v48|, v54
	v_add_co_ci_u32_e64 v48, null, 0, v57, s2
	s_delay_alu instid0(VALU_DEP_4) | instskip(NEXT) | instid1(VALU_DEP_2)
	v_cmp_ge_f32_e64 s2, |v51|, v55
	v_mad_u16 v46, v48, v44, v46
	s_delay_alu instid0(VALU_DEP_2) | instskip(SKIP_2) | instid1(VALU_DEP_1)
	v_add_co_ci_u32_e64 v51, null, 0, v58, s2
	s_wait_loadcnt 0x0
	v_cvt_f32_ubyte0_e32 v56, v56
	v_rcp_iflag_f32_e32 v60, v56
	v_nop
	s_delay_alu instid0(TRANS32_DEP_1) | instskip(NEXT) | instid1(VALU_DEP_1)
	v_mul_f32_e32 v60, v53, v60
	v_trunc_f32_e32 v60, v60
	v_fma_f32 v47, -v59, v49, v47
	v_cvt_u32_f32_e32 v59, v59
	s_delay_alu instid0(VALU_DEP_3) | instskip(NEXT) | instid1(VALU_DEP_3)
	v_fma_f32 v53, -v60, v56, v53
	v_cmp_ge_f32_e64 s2, |v47|, v49
	v_cvt_u32_f32_e32 v54, v60
	s_delay_alu instid0(VALU_DEP_2) | instskip(NEXT) | instid1(VALU_DEP_4)
	v_add_co_ci_u32_e64 v47, null, 0, v59, s2
	v_cmp_ge_f32_e64 s2, |v53|, v56
	s_delay_alu instid0(VALU_DEP_2) | instskip(SKIP_1) | instid1(VALU_DEP_3)
	v_mad_u16 v45, v47, v44, v45
	v_mad_u16 v47, v51, v44, v50
	v_add_co_ci_u32_e64 v49, null, 0, v54, s2
	s_delay_alu instid0(VALU_DEP_1)
	v_mad_u16 v48, v49, v44, v52
	s_clause 0x3
	global_store_b8 v[36:37], v45, off
	global_store_b8 v[38:39], v46, off
	;; [unrolled: 1-line block ×4, first 2 shown]
	s_cbranch_vccz .LBB121_18
.LBB121_4:                              ; =>This Inner Loop Header: Depth=1
	s_wait_xcnt 0x3
	v_add_nc_u64_e32 v[36:37], s[16:17], v[0:1]
	s_wait_xcnt 0x1
	v_dual_mov_b32 v47, 0 :: v_dual_mov_b32 v45, 0
	s_delay_alu instid0(VALU_DEP_2)
	v_cmp_lt_u64_e32 vcc_lo, v[36:37], v[4:5]
	v_add_nc_u64_e32 v[36:37], s[16:17], v[6:7]
	s_wait_xcnt 0x0
	s_and_saveexec_b32 s2, vcc_lo
	s_cbranch_execz .LBB121_6
; %bb.5:                                ;   in Loop: Header=BB121_4 Depth=1
	v_add_nc_u64_e32 v[38:39], s[16:17], v[8:9]
	global_load_u8 v45, v[36:37], off
	global_load_u8 v47, v[38:39], off
.LBB121_6:                              ;   in Loop: Header=BB121_4 Depth=1
	s_wait_xcnt 0x0
	s_or_b32 exec_lo, exec_lo, s2
	v_dual_mov_b32 v48, 0 :: v_dual_mov_b32 v49, 0
	s_and_saveexec_b32 s2, vcc_lo
	s_cbranch_execz .LBB121_8
; %bb.7:                                ;   in Loop: Header=BB121_4 Depth=1
	v_add_nc_u64_e32 v[38:39], s[16:17], v[10:11]
	global_load_u8 v49, v[38:39], off
.LBB121_8:                              ;   in Loop: Header=BB121_4 Depth=1
	s_wait_xcnt 0x0
	s_or_b32 exec_lo, exec_lo, s2
	v_add_nc_u64_e32 v[38:39], s[16:17], v[34:35]
	v_mov_b32_e32 v46, 0
	s_delay_alu instid0(VALU_DEP_2)
	v_cmp_lt_u64_e32 vcc_lo, v[38:39], v[4:5]
	v_add_nc_u64_e32 v[38:39], s[16:17], v[16:17]
	s_and_saveexec_b32 s2, vcc_lo
	s_cbranch_execz .LBB121_10
; %bb.9:                                ;   in Loop: Header=BB121_4 Depth=1
	v_add_nc_u64_e32 v[40:41], s[16:17], v[18:19]
	global_load_u8 v46, v[38:39], off
	global_load_u8 v48, v[40:41], off
.LBB121_10:                             ;   in Loop: Header=BB121_4 Depth=1
	s_wait_xcnt 0x0
	s_or_b32 exec_lo, exec_lo, s2
	v_dual_mov_b32 v51, 0 :: v_dual_mov_b32 v54, 0
	s_and_saveexec_b32 s2, vcc_lo
	s_cbranch_execz .LBB121_12
; %bb.11:                               ;   in Loop: Header=BB121_4 Depth=1
	v_add_nc_u64_e32 v[40:41], s[16:17], v[20:21]
	global_load_u8 v54, v[40:41], off
.LBB121_12:                             ;   in Loop: Header=BB121_4 Depth=1
	s_wait_xcnt 0x0
	s_or_b32 exec_lo, exec_lo, s2
	v_add_nc_u64_e32 v[40:41], s[16:17], v[14:15]
	v_mov_b32_e32 v50, 0
	s_delay_alu instid0(VALU_DEP_2)
	v_cmp_lt_u64_e32 vcc_lo, v[40:41], v[4:5]
	v_add_nc_u64_e32 v[40:41], s[16:17], v[24:25]
	s_and_saveexec_b32 s2, vcc_lo
	s_cbranch_execz .LBB121_14
; %bb.13:                               ;   in Loop: Header=BB121_4 Depth=1
	v_add_nc_u64_e32 v[42:43], s[16:17], v[30:31]
	global_load_u8 v50, v[40:41], off
	global_load_u8 v51, v[42:43], off
.LBB121_14:                             ;   in Loop: Header=BB121_4 Depth=1
	s_wait_xcnt 0x0
	s_or_b32 exec_lo, exec_lo, s2
	v_dual_mov_b32 v53, 0 :: v_dual_mov_b32 v55, 0
	s_and_saveexec_b32 s2, vcc_lo
	s_cbranch_execz .LBB121_16
; %bb.15:                               ;   in Loop: Header=BB121_4 Depth=1
	v_add_nc_u64_e32 v[42:43], s[16:17], v[32:33]
	global_load_u8 v55, v[42:43], off
.LBB121_16:                             ;   in Loop: Header=BB121_4 Depth=1
	s_wait_xcnt 0x0
	s_or_b32 exec_lo, exec_lo, s2
	v_add_nc_u64_e32 v[42:43], s[16:17], v[12:13]
	v_mov_b32_e32 v52, 0
	s_delay_alu instid0(VALU_DEP_2)
	v_cmp_lt_u64_e32 vcc_lo, v[42:43], v[4:5]
	v_add_nc_u64_e32 v[42:43], s[16:17], v[22:23]
	s_and_saveexec_b32 s2, vcc_lo
	s_cbranch_execz .LBB121_3
; %bb.17:                               ;   in Loop: Header=BB121_4 Depth=1
	v_add_nc_u64_e32 v[56:57], s[16:17], v[26:27]
	global_load_u8 v52, v[42:43], off
	global_load_u8 v53, v[56:57], off
	s_branch .LBB121_3
.LBB121_18:
	s_mov_b32 s2, 0
.LBB121_19:
	s_delay_alu instid0(SALU_CYCLE_1)
	s_and_not1_b32 vcc_lo, exec_lo, s2
	s_cbranch_vccnz .LBB121_23
; %bb.20:
	v_min_i64 v[2:3], 0x10000, s[12:13]
	v_dual_mov_b32 v5, 0 :: v_dual_lshlrev_b32 v4, 2, v0
	s_mov_b32 s2, exec_lo
	s_wait_xcnt 0x0
	s_delay_alu instid0(VALU_DEP_1)
	v_cmpx_lt_i64_e64 v[4:5], v[2:3]
	s_cbranch_execz .LBB121_23
; %bb.21:
	s_load_b32 s0, s[0:1], 0xc84
	v_mov_b32_e32 v1, v5
	v_add_nc_u64_e32 v[4:5], s[10:11], v[4:5]
	s_wait_xcnt 0x0
	s_mov_b32 s1, 0
	s_delay_alu instid0(SALU_CYCLE_1) | instskip(SKIP_3) | instid1(SALU_CYCLE_1)
	s_mov_b32 s3, s1
	s_mov_b32 s10, s1
	s_wait_kmcnt 0x0
	s_and_b32 s0, s0, 0xffff
	s_lshl_b32 s2, s0, 2
.LBB121_22:                             ; =>This Inner Loop Header: Depth=1
	v_add_nc_u64_e32 v[6:7], s[4:5], v[4:5]
	v_add_nc_u64_e32 v[8:9], s[6:7], v[4:5]
	v_add_nc_u64_e32 v[10:11], s[8:9], v[4:5]
	v_add_nc_u64_e32 v[0:1], s[0:1], v[0:1]
	v_add_nc_u64_e32 v[4:5], s[2:3], v[4:5]
	global_load_b32 v12, v[6:7], off
	global_load_b32 v13, v[8:9], off
	;; [unrolled: 1-line block ×3, first 2 shown]
	s_wait_loadcnt 0x2
	s_wait_xcnt 0x2
	v_cvt_f32_ubyte0_e32 v6, v12
	s_wait_loadcnt 0x1
	v_cvt_f32_ubyte0_e32 v7, v13
	v_cvt_f32_ubyte1_e32 v15, v13
	v_cvt_f32_ubyte2_e32 v18, v13
	v_cvt_f32_ubyte3_e32 v13, v13
	s_wait_xcnt 0x1
	v_cvt_f32_ubyte1_e32 v9, v12
	v_rcp_iflag_f32_e32 v20, v7
	v_rcp_iflag_f32_e32 v21, v15
	s_wait_loadcnt 0x0
	v_lshrrev_b32_e32 v19, 24, v14
	v_rcp_iflag_f32_e32 v22, v18
	v_rcp_iflag_f32_e32 v23, v13
	v_cvt_f32_ubyte2_e32 v17, v12
	v_cvt_f32_ubyte3_e32 v12, v12
	v_dual_mul_f32 v20, v6, v20 :: v_dual_mul_f32 v21, v9, v21
	v_dual_lshrrev_b32 v8, 8, v14 :: v_dual_lshrrev_b32 v16, 16, v14
	s_delay_alu instid0(TRANS32_DEP_1) | instid1(VALU_DEP_3)
	v_mul_f32_e32 v23, v12, v23
	s_delay_alu instid0(VALU_DEP_3) | instskip(SKIP_2) | instid1(VALU_DEP_4)
	v_trunc_f32_e32 v20, v20
	v_mul_f32_e32 v22, v17, v22
	v_trunc_f32_e32 v21, v21
	v_trunc_f32_e32 v23, v23
	s_delay_alu instid0(VALU_DEP_4) | instskip(NEXT) | instid1(VALU_DEP_4)
	v_fma_f32 v6, -v20, v7, v6
	v_trunc_f32_e32 v22, v22
	v_cvt_u32_f32_e32 v20, v20
	s_delay_alu instid0(VALU_DEP_4) | instskip(NEXT) | instid1(VALU_DEP_4)
	v_dual_fma_f32 v9, -v21, v15, v9 :: v_dual_fma_f32 v12, -v23, v13, v12
	v_cmp_ge_f32_e64 vcc_lo, |v6|, v7
	v_cvt_u32_f32_e32 v21, v21
	v_fma_f32 v17, -v22, v18, v17
	v_cvt_u32_f32_e32 v22, v22
	v_cvt_u32_f32_e32 v23, v23
	v_add_co_ci_u32_e64 v20, null, 0, v20, vcc_lo
	v_cmp_ge_f32_e64 vcc_lo, |v9|, v15
	s_delay_alu instid0(VALU_DEP_1) | instskip(SKIP_1) | instid1(VALU_DEP_2)
	v_add_co_ci_u32_e64 v6, null, 0, v21, vcc_lo
	v_cmp_ge_f32_e64 vcc_lo, |v17|, v18
	v_mad_u16 v8, v6, v44, v8
	s_delay_alu instid0(VALU_DEP_2) | instskip(SKIP_2) | instid1(VALU_DEP_4)
	v_add_co_ci_u32_e64 v7, null, 0, v22, vcc_lo
	v_cmp_ge_f32_e64 vcc_lo, |v12|, v13
	v_mad_u16 v13, v20, v44, v14
	v_and_b32_e32 v8, 0xff, v8
	s_delay_alu instid0(VALU_DEP_4) | instskip(SKIP_2) | instid1(VALU_DEP_4)
	v_mad_u16 v12, v7, v44, v16
	v_lshlrev_b64_e32 v[6:7], 2, v[0:1]
	v_add_co_ci_u32_e64 v9, null, 0, v23, vcc_lo
	v_perm_b32 v8, v8, v13, 0x6050400
	s_delay_alu instid0(VALU_DEP_4) | instskip(NEXT) | instid1(VALU_DEP_3)
	v_and_b32_e32 v12, 0xff, v12
	v_mad_u16 v9, v9, v44, v19
	v_cmp_ge_i64_e32 vcc_lo, v[6:7], v[2:3]
	s_delay_alu instid0(VALU_DEP_2) | instskip(SKIP_1) | instid1(VALU_DEP_1)
	v_dual_lshlrev_b32 v12, 16, v12 :: v_dual_lshlrev_b32 v9, 24, v9
	s_or_b32 s10, vcc_lo, s10
	v_or3_b32 v6, v8, v12, v9
	global_store_b32 v[10:11], v6, off
	s_wait_xcnt 0x0
	s_and_not1_b32 exec_lo, exec_lo, s10
	s_cbranch_execnz .LBB121_22
.LBB121_23:
	s_endpgm
	.section	.rodata,"a",@progbits
	.p2align	6, 0x0
	.amdhsa_kernel _ZN2at6native12_GLOBAL__N_125multi_tensor_apply_kernelINS1_28TensorListScalarListMetadataIhLi3EEENS1_28PointwiseOpScalarListFunctorIhLi3ELi3ELi0EEEJSt7dividesIhEEEEvT_T0_DpT1_
		.amdhsa_group_segment_fixed_size 0
		.amdhsa_private_segment_fixed_size 0
		.amdhsa_kernarg_size 3448
		.amdhsa_user_sgpr_count 2
		.amdhsa_user_sgpr_dispatch_ptr 0
		.amdhsa_user_sgpr_queue_ptr 0
		.amdhsa_user_sgpr_kernarg_segment_ptr 1
		.amdhsa_user_sgpr_dispatch_id 0
		.amdhsa_user_sgpr_kernarg_preload_length 0
		.amdhsa_user_sgpr_kernarg_preload_offset 0
		.amdhsa_user_sgpr_private_segment_size 0
		.amdhsa_wavefront_size32 1
		.amdhsa_uses_dynamic_stack 0
		.amdhsa_enable_private_segment 0
		.amdhsa_system_sgpr_workgroup_id_x 1
		.amdhsa_system_sgpr_workgroup_id_y 0
		.amdhsa_system_sgpr_workgroup_id_z 0
		.amdhsa_system_sgpr_workgroup_info 0
		.amdhsa_system_vgpr_workitem_id 0
		.amdhsa_next_free_vgpr 61
		.amdhsa_next_free_sgpr 22
		.amdhsa_named_barrier_count 0
		.amdhsa_reserve_vcc 1
		.amdhsa_float_round_mode_32 0
		.amdhsa_float_round_mode_16_64 0
		.amdhsa_float_denorm_mode_32 3
		.amdhsa_float_denorm_mode_16_64 3
		.amdhsa_fp16_overflow 0
		.amdhsa_memory_ordered 1
		.amdhsa_forward_progress 1
		.amdhsa_inst_pref_size 14
		.amdhsa_round_robin_scheduling 0
		.amdhsa_exception_fp_ieee_invalid_op 0
		.amdhsa_exception_fp_denorm_src 0
		.amdhsa_exception_fp_ieee_div_zero 0
		.amdhsa_exception_fp_ieee_overflow 0
		.amdhsa_exception_fp_ieee_underflow 0
		.amdhsa_exception_fp_ieee_inexact 0
		.amdhsa_exception_int_div_zero 0
	.end_amdhsa_kernel
	.section	.text._ZN2at6native12_GLOBAL__N_125multi_tensor_apply_kernelINS1_28TensorListScalarListMetadataIhLi3EEENS1_28PointwiseOpScalarListFunctorIhLi3ELi3ELi0EEEJSt7dividesIhEEEEvT_T0_DpT1_,"axG",@progbits,_ZN2at6native12_GLOBAL__N_125multi_tensor_apply_kernelINS1_28TensorListScalarListMetadataIhLi3EEENS1_28PointwiseOpScalarListFunctorIhLi3ELi3ELi0EEEJSt7dividesIhEEEEvT_T0_DpT1_,comdat
.Lfunc_end121:
	.size	_ZN2at6native12_GLOBAL__N_125multi_tensor_apply_kernelINS1_28TensorListScalarListMetadataIhLi3EEENS1_28PointwiseOpScalarListFunctorIhLi3ELi3ELi0EEEJSt7dividesIhEEEEvT_T0_DpT1_, .Lfunc_end121-_ZN2at6native12_GLOBAL__N_125multi_tensor_apply_kernelINS1_28TensorListScalarListMetadataIhLi3EEENS1_28PointwiseOpScalarListFunctorIhLi3ELi3ELi0EEEJSt7dividesIhEEEEvT_T0_DpT1_
                                        ; -- End function
	.set _ZN2at6native12_GLOBAL__N_125multi_tensor_apply_kernelINS1_28TensorListScalarListMetadataIhLi3EEENS1_28PointwiseOpScalarListFunctorIhLi3ELi3ELi0EEEJSt7dividesIhEEEEvT_T0_DpT1_.num_vgpr, 61
	.set _ZN2at6native12_GLOBAL__N_125multi_tensor_apply_kernelINS1_28TensorListScalarListMetadataIhLi3EEENS1_28PointwiseOpScalarListFunctorIhLi3ELi3ELi0EEEJSt7dividesIhEEEEvT_T0_DpT1_.num_agpr, 0
	.set _ZN2at6native12_GLOBAL__N_125multi_tensor_apply_kernelINS1_28TensorListScalarListMetadataIhLi3EEENS1_28PointwiseOpScalarListFunctorIhLi3ELi3ELi0EEEJSt7dividesIhEEEEvT_T0_DpT1_.numbered_sgpr, 22
	.set _ZN2at6native12_GLOBAL__N_125multi_tensor_apply_kernelINS1_28TensorListScalarListMetadataIhLi3EEENS1_28PointwiseOpScalarListFunctorIhLi3ELi3ELi0EEEJSt7dividesIhEEEEvT_T0_DpT1_.num_named_barrier, 0
	.set _ZN2at6native12_GLOBAL__N_125multi_tensor_apply_kernelINS1_28TensorListScalarListMetadataIhLi3EEENS1_28PointwiseOpScalarListFunctorIhLi3ELi3ELi0EEEJSt7dividesIhEEEEvT_T0_DpT1_.private_seg_size, 0
	.set _ZN2at6native12_GLOBAL__N_125multi_tensor_apply_kernelINS1_28TensorListScalarListMetadataIhLi3EEENS1_28PointwiseOpScalarListFunctorIhLi3ELi3ELi0EEEJSt7dividesIhEEEEvT_T0_DpT1_.uses_vcc, 1
	.set _ZN2at6native12_GLOBAL__N_125multi_tensor_apply_kernelINS1_28TensorListScalarListMetadataIhLi3EEENS1_28PointwiseOpScalarListFunctorIhLi3ELi3ELi0EEEJSt7dividesIhEEEEvT_T0_DpT1_.uses_flat_scratch, 0
	.set _ZN2at6native12_GLOBAL__N_125multi_tensor_apply_kernelINS1_28TensorListScalarListMetadataIhLi3EEENS1_28PointwiseOpScalarListFunctorIhLi3ELi3ELi0EEEJSt7dividesIhEEEEvT_T0_DpT1_.has_dyn_sized_stack, 0
	.set _ZN2at6native12_GLOBAL__N_125multi_tensor_apply_kernelINS1_28TensorListScalarListMetadataIhLi3EEENS1_28PointwiseOpScalarListFunctorIhLi3ELi3ELi0EEEJSt7dividesIhEEEEvT_T0_DpT1_.has_recursion, 0
	.set _ZN2at6native12_GLOBAL__N_125multi_tensor_apply_kernelINS1_28TensorListScalarListMetadataIhLi3EEENS1_28PointwiseOpScalarListFunctorIhLi3ELi3ELi0EEEJSt7dividesIhEEEEvT_T0_DpT1_.has_indirect_call, 0
	.section	.AMDGPU.csdata,"",@progbits
; Kernel info:
; codeLenInByte = 1768
; TotalNumSgprs: 24
; NumVgprs: 61
; ScratchSize: 0
; MemoryBound: 0
; FloatMode: 240
; IeeeMode: 1
; LDSByteSize: 0 bytes/workgroup (compile time only)
; SGPRBlocks: 0
; VGPRBlocks: 3
; NumSGPRsForWavesPerEU: 24
; NumVGPRsForWavesPerEU: 61
; NamedBarCnt: 0
; Occupancy: 16
; WaveLimiterHint : 0
; COMPUTE_PGM_RSRC2:SCRATCH_EN: 0
; COMPUTE_PGM_RSRC2:USER_SGPR: 2
; COMPUTE_PGM_RSRC2:TRAP_HANDLER: 0
; COMPUTE_PGM_RSRC2:TGID_X_EN: 1
; COMPUTE_PGM_RSRC2:TGID_Y_EN: 0
; COMPUTE_PGM_RSRC2:TGID_Z_EN: 0
; COMPUTE_PGM_RSRC2:TIDIG_COMP_CNT: 0
	.section	.text._ZN2at6native12_GLOBAL__N_125multi_tensor_apply_kernelINS1_28TensorListScalarListMetadataIaLi3EEENS1_28PointwiseOpScalarListFunctorIaLi3ELi3ELi0EEEJSt7dividesIaEEEEvT_T0_DpT1_,"axG",@progbits,_ZN2at6native12_GLOBAL__N_125multi_tensor_apply_kernelINS1_28TensorListScalarListMetadataIaLi3EEENS1_28PointwiseOpScalarListFunctorIaLi3ELi3ELi0EEEJSt7dividesIaEEEEvT_T0_DpT1_,comdat
	.globl	_ZN2at6native12_GLOBAL__N_125multi_tensor_apply_kernelINS1_28TensorListScalarListMetadataIaLi3EEENS1_28PointwiseOpScalarListFunctorIaLi3ELi3ELi0EEEJSt7dividesIaEEEEvT_T0_DpT1_ ; -- Begin function _ZN2at6native12_GLOBAL__N_125multi_tensor_apply_kernelINS1_28TensorListScalarListMetadataIaLi3EEENS1_28PointwiseOpScalarListFunctorIaLi3ELi3ELi0EEEJSt7dividesIaEEEEvT_T0_DpT1_
	.p2align	8
	.type	_ZN2at6native12_GLOBAL__N_125multi_tensor_apply_kernelINS1_28TensorListScalarListMetadataIaLi3EEENS1_28PointwiseOpScalarListFunctorIaLi3ELi3ELi0EEEJSt7dividesIaEEEEvT_T0_DpT1_,@function
_ZN2at6native12_GLOBAL__N_125multi_tensor_apply_kernelINS1_28TensorListScalarListMetadataIaLi3EEENS1_28PointwiseOpScalarListFunctorIaLi3ELi3ELi0EEEJSt7dividesIaEEEEvT_T0_DpT1_: ; @_ZN2at6native12_GLOBAL__N_125multi_tensor_apply_kernelINS1_28TensorListScalarListMetadataIaLi3EEENS1_28PointwiseOpScalarListFunctorIaLi3ELi3ELi0EEEJSt7dividesIaEEEEvT_T0_DpT1_
; %bb.0:
	s_bfe_u32 s2, ttmp6, 0x4000c
	s_and_b32 s3, ttmp6, 15
	s_add_co_i32 s2, s2, 1
	s_getreg_b32 s4, hwreg(HW_REG_IB_STS2, 6, 4)
	s_mul_i32 s2, ttmp9, s2
	v_mov_b32_e32 v3, 0
	s_add_co_i32 s3, s3, s2
	s_cmp_eq_u32 s4, 0
	s_cselect_b32 s2, ttmp9, s3
	s_mov_b32 s3, 0
	v_mov_b32_e32 v1, s2
	s_add_nc_u64 s[4:5], s[0:1], s[2:3]
	s_mul_u64 s[6:7], s[2:3], 3
	s_delay_alu instid0(SALU_CYCLE_1) | instskip(SKIP_4) | instid1(SALU_CYCLE_1)
	s_add_nc_u64 s[4:5], s[4:5], s[6:7]
	global_load_u8 v1, v1, s[0:1] offset:1584
	s_load_b32 s4, s[4:5], 0x770
	s_wait_kmcnt 0x0
	s_ashr_i32 s5, s4, 31
	s_lshl_b64 s[14:15], s[4:5], 16
	s_wait_loadcnt 0x0
	v_readfirstlane_b32 s2, v1
	s_delay_alu instid0(VALU_DEP_1) | instskip(SKIP_1) | instid1(VALU_DEP_1)
	v_mov_b32_e32 v2, s2
	s_and_b32 s2, s2, 0xff
	v_and_b32_e32 v2, 0xff, v2
	s_delay_alu instid0(VALU_DEP_1)
	v_add_nc_u64_e32 v[2:3], s[0:1], v[2:3]
	global_load_u8 v36, v[2:3], off offset:1536
	s_clause 0x3
	s_load_b64 s[8:9], s[0:1], s2 offset:0x180 scale_offset
	s_load_b64 s[10:11], s[0:1], s2 offset:0x300 scale_offset
	;; [unrolled: 1-line block ×4, first 2 shown]
	s_wait_kmcnt 0x0
	s_add_nc_u64 s[4:5], s[8:9], s[14:15]
	s_delay_alu instid0(SALU_CYCLE_1) | instskip(SKIP_2) | instid1(SALU_CYCLE_1)
	s_or_b32 s2, s10, s4
	s_add_nc_u64 s[4:5], s[12:13], s[14:15]
	s_and_b32 s2, s2, 3
	s_cmp_eq_u32 s2, 0
	s_cselect_b32 s16, -1, 0
	s_or_b64 s[4:5], s[6:7], s[4:5]
	s_delay_alu instid0(SALU_CYCLE_1) | instskip(NEXT) | instid1(SALU_CYCLE_1)
	s_and_b32 s2, s4, 3
	s_cmp_eq_u64 s[2:3], 0
	s_cselect_b32 s2, -1, 0
	s_delay_alu instid0(SALU_CYCLE_1)
	s_and_b32 s2, s16, s2
	s_sub_nc_u64 s[16:17], s[6:7], s[14:15]
	s_and_b32 vcc_lo, exec_lo, s2
	s_mov_b32 s2, -1
	s_cbranch_vccnz .LBB122_45
; %bb.1:
	v_cmp_lt_i64_e64 s2, s[16:17], 1
	s_and_b32 vcc_lo, exec_lo, s2
	s_cbranch_vccnz .LBB122_44
; %bb.2:
	s_load_b32 s2, s[0:1], 0xc84
	v_min_i64 v[2:3], 0x10000, s[16:17]
	v_min_u64 v[4:5], 0x10000, s[16:17]
	v_mov_b32_e32 v1, 0
	s_mov_b32 s19, 0
	s_wait_loadcnt 0x0
	v_and_b32_e32 v37, 0xff, v36
	s_mov_b32 s3, s19
	s_mov_b32 s5, s19
	v_add_nc_u64_e32 v[12:13], s[14:15], v[0:1]
	s_mov_b64 s[20:21], 0
	s_delay_alu instid0(VALU_DEP_1) | instskip(SKIP_4) | instid1(SALU_CYCLE_1)
	v_add_nc_u64_e32 v[6:7], s[12:13], v[12:13]
	v_add_nc_u64_e32 v[8:9], s[8:9], v[12:13]
	v_add_nc_u64_e32 v[10:11], s[10:11], v[12:13]
	s_wait_kmcnt 0x0
	s_and_b32 s18, s2, 0xffff
	s_lshl_b32 s2, s18, 1
	s_mul_i32 s4, s18, 3
	v_add_nc_u64_e32 v[20:21], s[18:19], v[12:13]
	s_add_nc_u64 s[6:7], s[14:15], s[4:5]
	v_add_nc_u64_e32 v[12:13], s[4:5], v[0:1]
	s_add_nc_u64 s[4:5], s[14:15], s[2:3]
	v_add_nc_u64_e32 v[26:27], s[6:7], v[0:1]
	v_add_nc_u64_e32 v[32:33], s[4:5], v[0:1]
	;; [unrolled: 1-line block ×13, first 2 shown]
	v_cmp_ne_u32_e64 s2, 1, v37
	s_lshl_b32 s18, s18, 2
	s_branch .LBB122_4
.LBB122_3:                              ;   in Loop: Header=BB122_4 Depth=1
	s_wait_xcnt 0x0
	s_or_b32 exec_lo, exec_lo, s3
	s_add_nc_u64 s[20:21], s[20:21], s[18:19]
	s_delay_alu instid0(SALU_CYCLE_1)
	v_cmp_ge_i64_e32 vcc_lo, s[20:21], v[2:3]
	s_cbranch_vccnz .LBB122_44
.LBB122_4:                              ; =>This Inner Loop Header: Depth=1
	v_add_nc_u64_e32 v[38:39], s[20:21], v[0:1]
	v_dual_mov_b32 v43, 0 :: v_dual_mov_b32 v42, 0
	s_delay_alu instid0(VALU_DEP_2)
	v_cmp_lt_u64_e64 s3, v[38:39], v[4:5]
	s_and_saveexec_b32 s4, s3
	s_cbranch_execz .LBB122_6
; %bb.5:                                ;   in Loop: Header=BB122_4 Depth=1
	v_add_nc_u64_e32 v[38:39], s[20:21], v[6:7]
	v_add_nc_u64_e32 v[40:41], s[20:21], v[8:9]
	global_load_u8 v42, v[38:39], off
	global_load_u8 v43, v[40:41], off
.LBB122_6:                              ;   in Loop: Header=BB122_4 Depth=1
	s_wait_xcnt 0x0
	s_or_b32 exec_lo, exec_lo, s4
	v_dual_mov_b32 v44, 0 :: v_dual_mov_b32 v48, 0
	s_and_saveexec_b32 s4, s3
	s_cbranch_execz .LBB122_8
; %bb.7:                                ;   in Loop: Header=BB122_4 Depth=1
	v_add_nc_u64_e32 v[38:39], s[20:21], v[10:11]
	global_load_u8 v48, v[38:39], off
.LBB122_8:                              ;   in Loop: Header=BB122_4 Depth=1
	s_wait_xcnt 0x0
	s_or_b32 exec_lo, exec_lo, s4
	v_add_nc_u64_e32 v[38:39], s[20:21], v[34:35]
	v_mov_b32_e32 v40, 0
	s_delay_alu instid0(VALU_DEP_2)
	v_cmp_lt_u64_e64 s4, v[38:39], v[4:5]
	s_and_saveexec_b32 s5, s4
	s_cbranch_execz .LBB122_10
; %bb.9:                                ;   in Loop: Header=BB122_4 Depth=1
	v_add_nc_u64_e32 v[38:39], s[20:21], v[16:17]
	v_add_nc_u64_e32 v[46:47], s[20:21], v[18:19]
	global_load_u8 v40, v[38:39], off
	global_load_u8 v44, v[46:47], off
.LBB122_10:                             ;   in Loop: Header=BB122_4 Depth=1
	s_wait_xcnt 0x0
	s_or_b32 exec_lo, exec_lo, s5
	v_dual_mov_b32 v41, 0 :: v_dual_mov_b32 v47, 0
	s_and_saveexec_b32 s5, s4
	s_cbranch_execz .LBB122_12
; %bb.11:                               ;   in Loop: Header=BB122_4 Depth=1
	v_add_nc_u64_e32 v[38:39], s[20:21], v[20:21]
	global_load_u8 v47, v[38:39], off
.LBB122_12:                             ;   in Loop: Header=BB122_4 Depth=1
	s_wait_xcnt 0x0
	s_or_b32 exec_lo, exec_lo, s5
	v_add_nc_u64_e32 v[38:39], s[20:21], v[14:15]
	s_delay_alu instid0(VALU_DEP_1)
	v_cmp_lt_u64_e64 s5, v[38:39], v[4:5]
	v_mov_b32_e32 v38, 0
	s_and_saveexec_b32 s6, s5
	s_cbranch_execz .LBB122_14
; %bb.13:                               ;   in Loop: Header=BB122_4 Depth=1
	v_add_nc_u64_e32 v[50:51], s[20:21], v[28:29]
	v_add_nc_u64_e32 v[52:53], s[20:21], v[30:31]
	global_load_u8 v38, v[50:51], off
	global_load_u8 v41, v[52:53], off
.LBB122_14:                             ;   in Loop: Header=BB122_4 Depth=1
	s_wait_xcnt 0x0
	s_or_b32 exec_lo, exec_lo, s6
	v_dual_mov_b32 v39, 0 :: v_dual_mov_b32 v46, 0
	s_and_saveexec_b32 s6, s5
	s_cbranch_execz .LBB122_16
; %bb.15:                               ;   in Loop: Header=BB122_4 Depth=1
	v_add_nc_u64_e32 v[50:51], s[20:21], v[32:33]
	global_load_u8 v46, v[50:51], off
.LBB122_16:                             ;   in Loop: Header=BB122_4 Depth=1
	s_wait_xcnt 0x0
	s_or_b32 exec_lo, exec_lo, s6
	v_add_nc_u64_e32 v[50:51], s[20:21], v[12:13]
	v_mov_b32_e32 v37, 0
	s_delay_alu instid0(VALU_DEP_2)
	v_cmp_lt_u64_e64 s6, v[50:51], v[4:5]
	s_and_saveexec_b32 s7, s6
	s_cbranch_execz .LBB122_18
; %bb.17:                               ;   in Loop: Header=BB122_4 Depth=1
	v_add_nc_u64_e32 v[50:51], s[20:21], v[22:23]
	v_add_nc_u64_e32 v[52:53], s[20:21], v[24:25]
	global_load_u8 v37, v[50:51], off
	global_load_u8 v39, v[52:53], off
.LBB122_18:                             ;   in Loop: Header=BB122_4 Depth=1
	s_wait_xcnt 0x0
	s_or_b32 exec_lo, exec_lo, s7
	v_mov_b32_e32 v45, 0
	s_and_saveexec_b32 s7, s6
	s_cbranch_execz .LBB122_20
; %bb.19:                               ;   in Loop: Header=BB122_4 Depth=1
	v_add_nc_u64_e32 v[50:51], s[20:21], v[26:27]
	global_load_u8 v45, v[50:51], off
.LBB122_20:                             ;   in Loop: Header=BB122_4 Depth=1
	s_wait_xcnt 0x0
	s_or_b32 exec_lo, exec_lo, s7
	s_wait_loadcnt 0x0
	v_bfe_i32 v48, v48, 0, 8
	v_bfe_i32 v43, v43, 0, 8
	s_mov_b32 s7, -1
	s_delay_alu instid0(VALU_DEP_2) | instskip(NEXT) | instid1(VALU_DEP_2)
	v_cvt_f32_i32_e32 v49, v48
	v_cvt_f32_i32_e32 v51, v43
	v_xor_b32_e32 v43, v43, v48
	s_delay_alu instid0(VALU_DEP_3) | instskip(SKIP_1) | instid1(TRANS32_DEP_1)
	v_rcp_iflag_f32_e32 v50, v49
	v_nop
	v_dual_mul_f32 v50, v51, v50 :: v_dual_ashrrev_i32 v43, 30, v43
	s_delay_alu instid0(VALU_DEP_1) | instskip(NEXT) | instid1(VALU_DEP_2)
	v_or_b32_e32 v43, 1, v43
	v_trunc_f32_e32 v48, v50
	s_delay_alu instid0(VALU_DEP_1) | instskip(SKIP_1) | instid1(VALU_DEP_2)
	v_fma_f32 v50, -v48, v49, v51
	v_cvt_i32_f32_e32 v48, v48
	v_cmp_ge_f32_e64 vcc_lo, |v50|, |v49|
	v_cndmask_b32_e32 v43, 0, v43, vcc_lo
	s_and_b32 vcc_lo, exec_lo, s2
	s_delay_alu instid0(VALU_DEP_1) | instskip(NEXT) | instid1(VALU_DEP_1)
	v_add_nc_u32_e32 v43, v48, v43
	v_bfe_i32 v48, v43, 0, 8
                                        ; implicit-def: $vgpr43
	s_cbranch_vccz .LBB122_22
; %bb.21:                               ;   in Loop: Header=BB122_4 Depth=1
	s_delay_alu instid0(VALU_DEP_1)
	v_mad_u16 v43, v36, v48, v42
	s_mov_b32 s7, 0
.LBB122_22:                             ;   in Loop: Header=BB122_4 Depth=1
	s_delay_alu instid0(SALU_CYCLE_1)
	s_and_not1_b32 vcc_lo, exec_lo, s7
	s_cbranch_vccnz .LBB122_24
; %bb.23:                               ;   in Loop: Header=BB122_4 Depth=1
	s_delay_alu instid0(VALU_DEP_1)
	v_add_nc_u16 v43, v42, v48
.LBB122_24:                             ;   in Loop: Header=BB122_4 Depth=1
	v_bfe_i32 v42, v47, 0, 8
	v_bfe_i32 v44, v44, 0, 8
	s_mov_b32 s7, -1
	s_delay_alu instid0(VALU_DEP_2) | instskip(NEXT) | instid1(VALU_DEP_2)
	v_cvt_f32_i32_e32 v47, v42
	v_cvt_f32_i32_e32 v49, v44
	v_xor_b32_e32 v42, v44, v42
	s_delay_alu instid0(VALU_DEP_3) | instskip(SKIP_1) | instid1(TRANS32_DEP_1)
	v_rcp_iflag_f32_e32 v48, v47
	v_nop
	v_mul_f32_e32 v48, v49, v48
	s_delay_alu instid0(VALU_DEP_1) | instskip(NEXT) | instid1(VALU_DEP_1)
	v_trunc_f32_e32 v44, v48
	v_dual_ashrrev_i32 v42, 30, v42 :: v_dual_fma_f32 v48, -v44, v47, v49
	s_delay_alu instid0(VALU_DEP_1) | instskip(SKIP_1) | instid1(VALU_DEP_3)
	v_or_b32_e32 v42, 1, v42
	v_cvt_i32_f32_e32 v44, v44
	v_cmp_ge_f32_e64 vcc_lo, |v48|, |v47|
	s_delay_alu instid0(VALU_DEP_3) | instskip(SKIP_1) | instid1(VALU_DEP_1)
	v_cndmask_b32_e32 v42, 0, v42, vcc_lo
	s_and_not1_b32 vcc_lo, exec_lo, s2
	v_add_nc_u32_e32 v42, v44, v42
	s_delay_alu instid0(VALU_DEP_1)
	v_bfe_i32 v44, v42, 0, 8
                                        ; implicit-def: $vgpr42
	s_cbranch_vccnz .LBB122_26
; %bb.25:                               ;   in Loop: Header=BB122_4 Depth=1
	s_delay_alu instid0(VALU_DEP_1)
	v_mad_u16 v42, v36, v44, v40
	s_mov_b32 s7, 0
.LBB122_26:                             ;   in Loop: Header=BB122_4 Depth=1
	s_delay_alu instid0(SALU_CYCLE_1)
	s_and_not1_b32 vcc_lo, exec_lo, s7
	s_cbranch_vccnz .LBB122_28
; %bb.27:                               ;   in Loop: Header=BB122_4 Depth=1
	s_delay_alu instid0(VALU_DEP_1)
	v_add_nc_u16 v42, v40, v44
.LBB122_28:                             ;   in Loop: Header=BB122_4 Depth=1
	v_bfe_i32 v40, v46, 0, 8
	v_bfe_i32 v41, v41, 0, 8
	s_mov_b32 s7, -1
	s_delay_alu instid0(VALU_DEP_2) | instskip(NEXT) | instid1(VALU_DEP_2)
	v_cvt_f32_i32_e32 v44, v40
	v_cvt_f32_i32_e32 v47, v41
	v_xor_b32_e32 v40, v41, v40
	s_delay_alu instid0(VALU_DEP_3) | instskip(SKIP_1) | instid1(TRANS32_DEP_1)
	v_rcp_iflag_f32_e32 v46, v44
	v_nop
	v_dual_ashrrev_i32 v40, 30, v40 :: v_dual_mul_f32 v46, v47, v46
	s_delay_alu instid0(VALU_DEP_1) | instskip(NEXT) | instid1(VALU_DEP_2)
	v_or_b32_e32 v40, 1, v40
	v_trunc_f32_e32 v41, v46
	s_delay_alu instid0(VALU_DEP_1) | instskip(SKIP_1) | instid1(VALU_DEP_2)
	v_fma_f32 v46, -v41, v44, v47
	v_cvt_i32_f32_e32 v41, v41
	v_cmp_ge_f32_e64 vcc_lo, |v46|, |v44|
	v_cndmask_b32_e32 v40, 0, v40, vcc_lo
	s_and_not1_b32 vcc_lo, exec_lo, s2
	s_delay_alu instid0(VALU_DEP_1) | instskip(NEXT) | instid1(VALU_DEP_1)
	v_add_nc_u32_e32 v40, v41, v40
	v_bfe_i32 v41, v40, 0, 8
                                        ; implicit-def: $vgpr40
	s_cbranch_vccnz .LBB122_30
; %bb.29:                               ;   in Loop: Header=BB122_4 Depth=1
	s_delay_alu instid0(VALU_DEP_1)
	v_mad_u16 v40, v36, v41, v38
	s_mov_b32 s7, 0
.LBB122_30:                             ;   in Loop: Header=BB122_4 Depth=1
	s_delay_alu instid0(SALU_CYCLE_1)
	s_and_not1_b32 vcc_lo, exec_lo, s7
	s_cbranch_vccnz .LBB122_32
; %bb.31:                               ;   in Loop: Header=BB122_4 Depth=1
	s_delay_alu instid0(VALU_DEP_1)
	v_add_nc_u16 v40, v38, v41
.LBB122_32:                             ;   in Loop: Header=BB122_4 Depth=1
	v_bfe_i32 v38, v45, 0, 8
	v_bfe_i32 v39, v39, 0, 8
	s_mov_b32 s7, -1
	s_delay_alu instid0(VALU_DEP_2) | instskip(NEXT) | instid1(VALU_DEP_2)
	v_cvt_f32_i32_e32 v41, v38
	v_cvt_f32_i32_e32 v45, v39
	v_xor_b32_e32 v38, v39, v38
	s_delay_alu instid0(VALU_DEP_3) | instskip(SKIP_1) | instid1(TRANS32_DEP_1)
	v_rcp_iflag_f32_e32 v44, v41
	v_nop
	v_mul_f32_e32 v44, v45, v44
	s_delay_alu instid0(VALU_DEP_1) | instskip(NEXT) | instid1(VALU_DEP_1)
	v_trunc_f32_e32 v39, v44
	v_dual_ashrrev_i32 v38, 30, v38 :: v_dual_fma_f32 v44, -v39, v41, v45
	s_delay_alu instid0(VALU_DEP_1) | instskip(SKIP_1) | instid1(VALU_DEP_3)
	v_or_b32_e32 v38, 1, v38
	v_cvt_i32_f32_e32 v39, v39
	v_cmp_ge_f32_e64 vcc_lo, |v44|, |v41|
	s_delay_alu instid0(VALU_DEP_3) | instskip(SKIP_1) | instid1(VALU_DEP_1)
	v_cndmask_b32_e32 v38, 0, v38, vcc_lo
	s_and_not1_b32 vcc_lo, exec_lo, s2
	v_add_nc_u32_e32 v38, v39, v38
	s_delay_alu instid0(VALU_DEP_1)
	v_bfe_i32 v39, v38, 0, 8
                                        ; implicit-def: $vgpr38
	s_cbranch_vccz .LBB122_38
; %bb.33:                               ;   in Loop: Header=BB122_4 Depth=1
	s_and_not1_b32 vcc_lo, exec_lo, s7
	s_cbranch_vccz .LBB122_39
.LBB122_34:                             ;   in Loop: Header=BB122_4 Depth=1
	s_and_saveexec_b32 s7, s3
	s_delay_alu instid0(SALU_CYCLE_1)
	s_xor_b32 s3, exec_lo, s7
	s_cbranch_execnz .LBB122_40
.LBB122_35:                             ;   in Loop: Header=BB122_4 Depth=1
	s_or_b32 exec_lo, exec_lo, s3
	s_and_saveexec_b32 s3, s4
	s_cbranch_execnz .LBB122_41
.LBB122_36:                             ;   in Loop: Header=BB122_4 Depth=1
	s_or_b32 exec_lo, exec_lo, s3
	s_and_saveexec_b32 s3, s5
	s_cbranch_execnz .LBB122_42
.LBB122_37:                             ;   in Loop: Header=BB122_4 Depth=1
	s_or_b32 exec_lo, exec_lo, s3
	s_and_saveexec_b32 s3, s6
	s_cbranch_execz .LBB122_3
	s_branch .LBB122_43
.LBB122_38:                             ;   in Loop: Header=BB122_4 Depth=1
	s_delay_alu instid0(VALU_DEP_1)
	v_mad_u16 v38, v36, v39, v37
	s_cbranch_execnz .LBB122_34
.LBB122_39:                             ;   in Loop: Header=BB122_4 Depth=1
	s_delay_alu instid0(VALU_DEP_1) | instskip(SKIP_1) | instid1(SALU_CYCLE_1)
	v_add_nc_u16 v38, v37, v39
	s_and_saveexec_b32 s7, s3
	s_xor_b32 s3, exec_lo, s7
	s_cbranch_execz .LBB122_35
.LBB122_40:                             ;   in Loop: Header=BB122_4 Depth=1
	v_add_nc_u64_e32 v[44:45], s[20:21], v[6:7]
	global_store_b8 v[44:45], v43, off
	s_wait_xcnt 0x0
	s_or_b32 exec_lo, exec_lo, s3
	s_and_saveexec_b32 s3, s4
	s_cbranch_execz .LBB122_36
.LBB122_41:                             ;   in Loop: Header=BB122_4 Depth=1
	v_add_nc_u64_e32 v[44:45], s[20:21], v[16:17]
	global_store_b8 v[44:45], v42, off
	s_wait_xcnt 0x0
	s_or_b32 exec_lo, exec_lo, s3
	s_and_saveexec_b32 s3, s5
	s_cbranch_execz .LBB122_37
.LBB122_42:                             ;   in Loop: Header=BB122_4 Depth=1
	v_add_nc_u64_e32 v[42:43], s[20:21], v[28:29]
	global_store_b8 v[42:43], v40, off
	s_wait_xcnt 0x0
	s_or_b32 exec_lo, exec_lo, s3
	s_and_saveexec_b32 s3, s6
	s_cbranch_execz .LBB122_3
.LBB122_43:                             ;   in Loop: Header=BB122_4 Depth=1
	v_add_nc_u64_e32 v[40:41], s[20:21], v[22:23]
	global_store_b8 v[40:41], v38, off
	s_branch .LBB122_3
.LBB122_44:
	s_mov_b32 s2, 0
.LBB122_45:
	s_delay_alu instid0(SALU_CYCLE_1)
	s_and_not1_b32 vcc_lo, exec_lo, s2
	s_cbranch_vccnz .LBB122_49
; %bb.46:
	v_min_i64 v[2:3], 0x10000, s[16:17]
	v_dual_mov_b32 v5, 0 :: v_dual_lshlrev_b32 v4, 2, v0
	s_mov_b32 s2, exec_lo
	s_delay_alu instid0(VALU_DEP_1)
	v_cmpx_lt_i64_e64 v[4:5], v[2:3]
	s_cbranch_execz .LBB122_49
; %bb.47:
	s_load_b32 s0, s[0:1], 0xc84
	v_mov_b32_e32 v1, v5
	v_add_nc_u64_e32 v[4:5], s[14:15], v[4:5]
	s_wait_xcnt 0x0
	s_mov_b32 s1, 0
	s_delay_alu instid0(SALU_CYCLE_1) | instskip(SKIP_3) | instid1(SALU_CYCLE_1)
	s_mov_b32 s3, s1
	s_mov_b32 s4, s1
	s_wait_kmcnt 0x0
	s_and_b32 s0, s0, 0xffff
	s_lshl_b32 s2, s0, 2
.LBB122_48:                             ; =>This Inner Loop Header: Depth=1
	v_add_nc_u64_e32 v[6:7], s[8:9], v[4:5]
	v_add_nc_u64_e32 v[8:9], s[10:11], v[4:5]
	;; [unrolled: 1-line block ×5, first 2 shown]
	global_load_b32 v12, v[6:7], off
	global_load_b32 v13, v[8:9], off
	;; [unrolled: 1-line block ×3, first 2 shown]
	s_wait_loadcnt 0x2
	v_bfe_i32 v15, v12, 8, 8
	s_wait_loadcnt 0x1
	v_bfe_i32 v16, v13, 8, 8
	s_wait_xcnt 0x2
	v_bfe_i32 v6, v12, 0, 8
	v_bfe_i32 v7, v13, 0, 8
	;; [unrolled: 1-line block ×4, first 2 shown]
	v_xor_b32_e32 v20, v15, v16
	v_cvt_f32_i32_e32 v16, v16
	v_xor_b32_e32 v19, v6, v7
	v_cvt_f32_i32_e32 v7, v7
	v_dual_ashrrev_i32 v13, 24, v13 :: v_dual_ashrrev_i32 v12, 24, v12
	s_delay_alu instid0(VALU_DEP_4)
	v_rcp_iflag_f32_e32 v24, v16
	v_cvt_f32_i32_e32 v15, v15
	v_cvt_f32_i32_e32 v6, v6
	v_rcp_iflag_f32_e32 v23, v7
	v_xor_b32_e32 v21, v17, v18
	v_cvt_f32_i32_e32 v18, v18
	s_delay_alu instid0(TRANS32_DEP_2) | instskip(SKIP_2) | instid1(VALU_DEP_4)
	v_dual_mul_f32 v24, v15, v24 :: v_dual_bitop2_b32 v22, v12, v13 bitop3:0x14
	v_cvt_f32_i32_e32 v17, v17
	v_ashrrev_i32_e32 v20, 30, v20
	v_rcp_iflag_f32_e32 v25, v18
	s_delay_alu instid0(VALU_DEP_3)
	v_dual_ashrrev_i32 v19, 30, v19 :: v_dual_ashrrev_i32 v22, 30, v22
	v_dual_mul_f32 v23, v6, v23 :: v_dual_ashrrev_i32 v21, 30, v21
	v_trunc_f32_e32 v24, v24
	v_cvt_f32_i32_e32 v13, v13
	s_delay_alu instid0(TRANS32_DEP_1) | instid1(VALU_DEP_4)
	v_dual_mul_f32 v25, v17, v25 :: v_dual_bitop2_b32 v19, 1, v19 bitop3:0x54
	s_delay_alu instid0(VALU_DEP_3) | instskip(SKIP_1) | instid1(VALU_DEP_4)
	v_dual_fma_f32 v15, -v24, v16, v15 :: v_dual_bitop2_b32 v22, 1, v22 bitop3:0x54
	v_trunc_f32_e32 v23, v23
	v_rcp_iflag_f32_e32 v26, v13
	v_cvt_f32_i32_e32 v12, v12
	v_or_b32_e32 v20, 1, v20
	s_delay_alu instid0(VALU_DEP_3) | instskip(SKIP_2) | instid1(TRANS32_DEP_1)
	v_dual_fma_f32 v6, -v23, v7, v6 :: v_dual_bitop2_b32 v21, 1, v21 bitop3:0x54
	v_trunc_f32_e32 v25, v25
	v_cmp_ge_f32_e64 vcc_lo, |v15|, |v16|
	v_mul_f32_e32 v26, v12, v26
	v_cvt_i32_f32_e32 v24, v24
	s_wait_loadcnt 0x0
	s_wait_xcnt 0x1
	v_dual_lshrrev_b32 v8, 8, v14 :: v_dual_lshrrev_b32 v9, 16, v14
	v_dual_fma_f32 v17, -v25, v18, v17 :: v_dual_cndmask_b32 v15, 0, v20, vcc_lo
	v_cmp_ge_f32_e64 vcc_lo, |v6|, |v7|
	v_trunc_f32_e32 v26, v26
	v_cvt_i32_f32_e32 v23, v23
	v_cvt_i32_f32_e32 v25, v25
	v_add_nc_u32_e32 v15, v24, v15
	v_cndmask_b32_e32 v6, 0, v19, vcc_lo
	v_cmp_ge_f32_e64 vcc_lo, |v17|, |v18|
	v_fma_f32 v12, -v26, v13, v12
	v_cvt_i32_f32_e32 v16, v26
	v_mad_u16 v8, v36, v15, v8
	v_dual_cndmask_b32 v7, 0, v21 :: v_dual_add_nc_u32 v6, v23, v6
	s_delay_alu instid0(VALU_DEP_4) | instskip(NEXT) | instid1(VALU_DEP_3)
	v_cmp_ge_f32_e64 vcc_lo, |v12|, |v13|
	v_and_b32_e32 v8, 0xff, v8
	s_delay_alu instid0(VALU_DEP_3) | instskip(NEXT) | instid1(VALU_DEP_4)
	v_add_nc_u32_e32 v7, v25, v7
	v_mad_u16 v13, v36, v6, v14
	v_cndmask_b32_e32 v12, 0, v22, vcc_lo
	v_lshrrev_b32_e32 v14, 24, v14
	s_delay_alu instid0(VALU_DEP_4) | instskip(SKIP_1) | instid1(VALU_DEP_4)
	v_mad_u16 v9, v36, v7, v9
	v_lshlrev_b64_e32 v[6:7], 2, v[0:1]
	v_add_nc_u32_e32 v12, v16, v12
	v_perm_b32 v8, v8, v13, 0x6050400
	s_delay_alu instid0(VALU_DEP_4) | instskip(NEXT) | instid1(VALU_DEP_3)
	v_and_b32_e32 v9, 0xff, v9
	v_mad_u16 v12, v36, v12, v14
	v_cmp_ge_i64_e32 vcc_lo, v[6:7], v[2:3]
	s_delay_alu instid0(VALU_DEP_3) | instskip(NEXT) | instid1(VALU_DEP_1)
	v_lshl_or_b32 v8, v9, 16, v8
	v_lshl_or_b32 v6, v12, 24, v8
	s_or_b32 s4, vcc_lo, s4
	global_store_b32 v[10:11], v6, off
	s_wait_xcnt 0x0
	s_and_not1_b32 exec_lo, exec_lo, s4
	s_cbranch_execnz .LBB122_48
.LBB122_49:
	s_endpgm
	.section	.rodata,"a",@progbits
	.p2align	6, 0x0
	.amdhsa_kernel _ZN2at6native12_GLOBAL__N_125multi_tensor_apply_kernelINS1_28TensorListScalarListMetadataIaLi3EEENS1_28PointwiseOpScalarListFunctorIaLi3ELi3ELi0EEEJSt7dividesIaEEEEvT_T0_DpT1_
		.amdhsa_group_segment_fixed_size 0
		.amdhsa_private_segment_fixed_size 0
		.amdhsa_kernarg_size 3448
		.amdhsa_user_sgpr_count 2
		.amdhsa_user_sgpr_dispatch_ptr 0
		.amdhsa_user_sgpr_queue_ptr 0
		.amdhsa_user_sgpr_kernarg_segment_ptr 1
		.amdhsa_user_sgpr_dispatch_id 0
		.amdhsa_user_sgpr_kernarg_preload_length 0
		.amdhsa_user_sgpr_kernarg_preload_offset 0
		.amdhsa_user_sgpr_private_segment_size 0
		.amdhsa_wavefront_size32 1
		.amdhsa_uses_dynamic_stack 0
		.amdhsa_enable_private_segment 0
		.amdhsa_system_sgpr_workgroup_id_x 1
		.amdhsa_system_sgpr_workgroup_id_y 0
		.amdhsa_system_sgpr_workgroup_id_z 0
		.amdhsa_system_sgpr_workgroup_info 0
		.amdhsa_system_vgpr_workitem_id 0
		.amdhsa_next_free_vgpr 54
		.amdhsa_next_free_sgpr 22
		.amdhsa_named_barrier_count 0
		.amdhsa_reserve_vcc 1
		.amdhsa_float_round_mode_32 0
		.amdhsa_float_round_mode_16_64 0
		.amdhsa_float_denorm_mode_32 3
		.amdhsa_float_denorm_mode_16_64 3
		.amdhsa_fp16_overflow 0
		.amdhsa_memory_ordered 1
		.amdhsa_forward_progress 1
		.amdhsa_inst_pref_size 20
		.amdhsa_round_robin_scheduling 0
		.amdhsa_exception_fp_ieee_invalid_op 0
		.amdhsa_exception_fp_denorm_src 0
		.amdhsa_exception_fp_ieee_div_zero 0
		.amdhsa_exception_fp_ieee_overflow 0
		.amdhsa_exception_fp_ieee_underflow 0
		.amdhsa_exception_fp_ieee_inexact 0
		.amdhsa_exception_int_div_zero 0
	.end_amdhsa_kernel
	.section	.text._ZN2at6native12_GLOBAL__N_125multi_tensor_apply_kernelINS1_28TensorListScalarListMetadataIaLi3EEENS1_28PointwiseOpScalarListFunctorIaLi3ELi3ELi0EEEJSt7dividesIaEEEEvT_T0_DpT1_,"axG",@progbits,_ZN2at6native12_GLOBAL__N_125multi_tensor_apply_kernelINS1_28TensorListScalarListMetadataIaLi3EEENS1_28PointwiseOpScalarListFunctorIaLi3ELi3ELi0EEEJSt7dividesIaEEEEvT_T0_DpT1_,comdat
.Lfunc_end122:
	.size	_ZN2at6native12_GLOBAL__N_125multi_tensor_apply_kernelINS1_28TensorListScalarListMetadataIaLi3EEENS1_28PointwiseOpScalarListFunctorIaLi3ELi3ELi0EEEJSt7dividesIaEEEEvT_T0_DpT1_, .Lfunc_end122-_ZN2at6native12_GLOBAL__N_125multi_tensor_apply_kernelINS1_28TensorListScalarListMetadataIaLi3EEENS1_28PointwiseOpScalarListFunctorIaLi3ELi3ELi0EEEJSt7dividesIaEEEEvT_T0_DpT1_
                                        ; -- End function
	.set _ZN2at6native12_GLOBAL__N_125multi_tensor_apply_kernelINS1_28TensorListScalarListMetadataIaLi3EEENS1_28PointwiseOpScalarListFunctorIaLi3ELi3ELi0EEEJSt7dividesIaEEEEvT_T0_DpT1_.num_vgpr, 54
	.set _ZN2at6native12_GLOBAL__N_125multi_tensor_apply_kernelINS1_28TensorListScalarListMetadataIaLi3EEENS1_28PointwiseOpScalarListFunctorIaLi3ELi3ELi0EEEJSt7dividesIaEEEEvT_T0_DpT1_.num_agpr, 0
	.set _ZN2at6native12_GLOBAL__N_125multi_tensor_apply_kernelINS1_28TensorListScalarListMetadataIaLi3EEENS1_28PointwiseOpScalarListFunctorIaLi3ELi3ELi0EEEJSt7dividesIaEEEEvT_T0_DpT1_.numbered_sgpr, 22
	.set _ZN2at6native12_GLOBAL__N_125multi_tensor_apply_kernelINS1_28TensorListScalarListMetadataIaLi3EEENS1_28PointwiseOpScalarListFunctorIaLi3ELi3ELi0EEEJSt7dividesIaEEEEvT_T0_DpT1_.num_named_barrier, 0
	.set _ZN2at6native12_GLOBAL__N_125multi_tensor_apply_kernelINS1_28TensorListScalarListMetadataIaLi3EEENS1_28PointwiseOpScalarListFunctorIaLi3ELi3ELi0EEEJSt7dividesIaEEEEvT_T0_DpT1_.private_seg_size, 0
	.set _ZN2at6native12_GLOBAL__N_125multi_tensor_apply_kernelINS1_28TensorListScalarListMetadataIaLi3EEENS1_28PointwiseOpScalarListFunctorIaLi3ELi3ELi0EEEJSt7dividesIaEEEEvT_T0_DpT1_.uses_vcc, 1
	.set _ZN2at6native12_GLOBAL__N_125multi_tensor_apply_kernelINS1_28TensorListScalarListMetadataIaLi3EEENS1_28PointwiseOpScalarListFunctorIaLi3ELi3ELi0EEEJSt7dividesIaEEEEvT_T0_DpT1_.uses_flat_scratch, 0
	.set _ZN2at6native12_GLOBAL__N_125multi_tensor_apply_kernelINS1_28TensorListScalarListMetadataIaLi3EEENS1_28PointwiseOpScalarListFunctorIaLi3ELi3ELi0EEEJSt7dividesIaEEEEvT_T0_DpT1_.has_dyn_sized_stack, 0
	.set _ZN2at6native12_GLOBAL__N_125multi_tensor_apply_kernelINS1_28TensorListScalarListMetadataIaLi3EEENS1_28PointwiseOpScalarListFunctorIaLi3ELi3ELi0EEEJSt7dividesIaEEEEvT_T0_DpT1_.has_recursion, 0
	.set _ZN2at6native12_GLOBAL__N_125multi_tensor_apply_kernelINS1_28TensorListScalarListMetadataIaLi3EEENS1_28PointwiseOpScalarListFunctorIaLi3ELi3ELi0EEEJSt7dividesIaEEEEvT_T0_DpT1_.has_indirect_call, 0
	.section	.AMDGPU.csdata,"",@progbits
; Kernel info:
; codeLenInByte = 2440
; TotalNumSgprs: 24
; NumVgprs: 54
; ScratchSize: 0
; MemoryBound: 0
; FloatMode: 240
; IeeeMode: 1
; LDSByteSize: 0 bytes/workgroup (compile time only)
; SGPRBlocks: 0
; VGPRBlocks: 3
; NumSGPRsForWavesPerEU: 24
; NumVGPRsForWavesPerEU: 54
; NamedBarCnt: 0
; Occupancy: 16
; WaveLimiterHint : 0
; COMPUTE_PGM_RSRC2:SCRATCH_EN: 0
; COMPUTE_PGM_RSRC2:USER_SGPR: 2
; COMPUTE_PGM_RSRC2:TRAP_HANDLER: 0
; COMPUTE_PGM_RSRC2:TGID_X_EN: 1
; COMPUTE_PGM_RSRC2:TGID_Y_EN: 0
; COMPUTE_PGM_RSRC2:TGID_Z_EN: 0
; COMPUTE_PGM_RSRC2:TIDIG_COMP_CNT: 0
	.section	.text._ZN2at6native12_GLOBAL__N_125multi_tensor_apply_kernelINS1_28TensorListScalarListMetadataIiLi3EEENS1_28PointwiseOpScalarListFunctorIiLi3ELi3ELi0EEEJSt7dividesIiEEEEvT_T0_DpT1_,"axG",@progbits,_ZN2at6native12_GLOBAL__N_125multi_tensor_apply_kernelINS1_28TensorListScalarListMetadataIiLi3EEENS1_28PointwiseOpScalarListFunctorIiLi3ELi3ELi0EEEJSt7dividesIiEEEEvT_T0_DpT1_,comdat
	.globl	_ZN2at6native12_GLOBAL__N_125multi_tensor_apply_kernelINS1_28TensorListScalarListMetadataIiLi3EEENS1_28PointwiseOpScalarListFunctorIiLi3ELi3ELi0EEEJSt7dividesIiEEEEvT_T0_DpT1_ ; -- Begin function _ZN2at6native12_GLOBAL__N_125multi_tensor_apply_kernelINS1_28TensorListScalarListMetadataIiLi3EEENS1_28PointwiseOpScalarListFunctorIiLi3ELi3ELi0EEEJSt7dividesIiEEEEvT_T0_DpT1_
	.p2align	8
	.type	_ZN2at6native12_GLOBAL__N_125multi_tensor_apply_kernelINS1_28TensorListScalarListMetadataIiLi3EEENS1_28PointwiseOpScalarListFunctorIiLi3ELi3ELi0EEEJSt7dividesIiEEEEvT_T0_DpT1_,@function
_ZN2at6native12_GLOBAL__N_125multi_tensor_apply_kernelINS1_28TensorListScalarListMetadataIiLi3EEENS1_28PointwiseOpScalarListFunctorIiLi3ELi3ELi0EEEJSt7dividesIiEEEEvT_T0_DpT1_: ; @_ZN2at6native12_GLOBAL__N_125multi_tensor_apply_kernelINS1_28TensorListScalarListMetadataIiLi3EEENS1_28PointwiseOpScalarListFunctorIiLi3ELi3ELi0EEEJSt7dividesIiEEEEvT_T0_DpT1_
; %bb.0:
	s_bfe_u32 s2, ttmp6, 0x4000c
	s_and_b32 s3, ttmp6, 15
	s_add_co_i32 s2, s2, 1
	s_getreg_b32 s4, hwreg(HW_REG_IB_STS2, 6, 4)
	s_mul_i32 s2, ttmp9, s2
	s_mov_b32 s11, 0
	s_add_co_i32 s3, s3, s2
	s_cmp_eq_u32 s4, 0
	s_cselect_b32 s10, ttmp9, s3
	s_load_u8 s20, s[0:1], s10 offset:0x6c0
	s_add_nc_u64 s[2:3], s[0:1], s[10:11]
	s_mul_u64 s[4:5], s[10:11], 3
	s_delay_alu instid0(SALU_CYCLE_1)
	s_add_nc_u64 s[8:9], s[2:3], s[4:5]
	s_load_b32 s12, s[8:9], 0x800
	s_wait_kmcnt 0x0
	s_clause 0x3
	s_load_b64 s[2:3], s[0:1], s20 offset:0x180 scale_offset
	s_load_b64 s[4:5], s[0:1], s20 offset:0x300 scale_offset
	;; [unrolled: 1-line block ×4, first 2 shown]
	s_lshl_b32 s10, s20, 3
	s_ashr_i32 s13, s12, 31
	s_delay_alu instid0(SALU_CYCLE_1) | instskip(SKIP_2) | instid1(SALU_CYCLE_1)
	s_lshl_b64 s[8:9], s[12:13], 18
	s_wait_kmcnt 0x0
	s_add_nc_u64 s[16:17], s[2:3], s[8:9]
	s_or_b32 s16, s4, s16
	s_delay_alu instid0(SALU_CYCLE_1)
	s_and_b32 s18, s16, 15
	s_and_b64 s[16:17], s[6:7], 15
	s_cmp_eq_u32 s18, 0
	s_add_nc_u64 s[18:19], s[0:1], s[10:11]
	s_cselect_b32 s22, -1, 0
	s_lshl_b32 s10, s20, 2
	s_lshl_b64 s[12:13], s[12:13], 16
	s_sub_nc_u64 s[20:21], 0, s[10:11]
	s_and_b32 s10, s14, 3
	s_add_nc_u64 s[18:19], s[18:19], s[20:21]
	s_or_b64 s[10:11], s[16:17], s[10:11]
	s_load_b32 s18, s[18:19], 0x600
	s_cmp_eq_u64 s[10:11], 0
	s_cselect_b32 s10, -1, 0
	s_delay_alu instid0(SALU_CYCLE_1)
	s_and_b32 s16, s22, s10
	s_sub_nc_u64 s[10:11], s[14:15], s[12:13]
	s_and_b32 vcc_lo, exec_lo, s16
	s_mov_b32 s12, -1
	s_cbranch_vccnz .LBB123_19
; %bb.1:
	v_cmp_lt_i64_e64 s12, s[10:11], 1
	s_and_b32 vcc_lo, exec_lo, s12
	s_cbranch_vccnz .LBB123_18
; %bb.2:
	s_load_b32 s12, s[0:1], 0xd14
	v_min_i64 v[2:3], 0x10000, s[10:11]
	v_min_u64 v[4:5], 0x10000, s[10:11]
	v_dual_mov_b32 v1, 0 :: v_dual_lshlrev_b32 v18, 2, v0
	s_mov_b32 s15, 0
	s_delay_alu instid0(SALU_CYCLE_1) | instskip(NEXT) | instid1(VALU_DEP_1)
	s_mov_b32 s23, s15
	v_dual_mov_b32 v19, v1 :: v_dual_mov_b32 v37, v1
	s_mov_b32 s13, s15
	s_mov_b32 s17, s15
	;; [unrolled: 1-line block ×3, first 2 shown]
	s_delay_alu instid0(VALU_DEP_1) | instskip(SKIP_4) | instid1(SALU_CYCLE_1)
	v_add_nc_u64_e32 v[6:7], s[6:7], v[18:19]
	v_add_nc_u64_e32 v[8:9], s[2:3], v[18:19]
	;; [unrolled: 1-line block ×3, first 2 shown]
	s_wait_kmcnt 0x0
	s_and_b32 s14, s12, 0xffff
	v_add_nc_u64_e32 v[12:13], s[14:15], v[0:1]
	v_mad_nc_u64_u32 v[30:31], s14, 12, v[18:19]
	s_lshl_b32 s22, s14, 3
	s_lshl_b32 s12, s14, 2
	v_add_nc_u64_e32 v[24:25], s[22:23], v[18:19]
	s_lshl_b32 s16, s14, 1
	s_mul_i32 s20, s14, 3
	v_lshlrev_b32_e32 v36, 2, v12
	s_add_nc_u64 s[22:23], s[6:7], s[12:13]
	v_add_nc_u64_e32 v[14:15], s[20:21], v[0:1]
	v_add_nc_u64_e32 v[16:17], s[16:17], v[0:1]
	;; [unrolled: 1-line block ×12, first 2 shown]
	s_lshl_b32 s14, s14, 4
	s_mov_b64 s[16:17], 0
	s_branch .LBB123_4
.LBB123_3:                              ;   in Loop: Header=BB123_4 Depth=1
	s_wait_xcnt 0x0
	s_or_b32 exec_lo, exec_lo, s19
	v_add_nc_u64_e32 v[56:57], s[8:9], v[30:31]
	s_add_nc_u64 s[16:17], s[16:17], s[12:13]
	v_add_nc_u64_e32 v[6:7], s[14:15], v[6:7]
	v_add_nc_u64_e32 v[8:9], s[14:15], v[8:9]
	;; [unrolled: 1-line block ×5, first 2 shown]
	global_load_b32 v55, v[56:57], off
	s_wait_loadcnt 0x1
	s_wait_xcnt 0x0
	v_dual_sub_nc_u32 v57, 0, v51 :: v_dual_bitop2_b32 v56, v51, v54 bitop3:0x14
	v_add_nc_u64_e32 v[28:29], s[14:15], v[28:29]
	v_add_nc_u64_e32 v[30:31], s[14:15], v[30:31]
	;; [unrolled: 1-line block ×3, first 2 shown]
	s_delay_alu instid0(VALU_DEP_4)
	v_dual_ashrrev_i32 v56, 31, v56 :: v_dual_max_i32 v51, v51, v57
	v_sub_nc_u32_e32 v57, 0, v54
	v_add_nc_u64_e32 v[24:25], s[14:15], v[24:25]
	v_add_nc_u64_e32 v[32:33], s[14:15], v[32:33]
	;; [unrolled: 1-line block ×4, first 2 shown]
	v_max_i32_e32 v54, v54, v57
	s_delay_alu instid0(VALU_DEP_1) | instskip(NEXT) | instid1(VALU_DEP_1)
	v_cvt_f32_u32_e32 v57, v54
	v_rcp_iflag_f32_e32 v57, v57
	v_nop
	s_delay_alu instid0(TRANS32_DEP_1) | instskip(NEXT) | instid1(VALU_DEP_1)
	v_dual_mul_f32 v57, 0x4f7ffffe, v57 :: v_dual_sub_nc_u32 v58, 0, v54
	v_cvt_u32_f32_e32 v57, v57
	s_delay_alu instid0(VALU_DEP_1) | instskip(NEXT) | instid1(VALU_DEP_1)
	v_mul_lo_u32 v58, v58, v57
	v_mul_hi_u32 v58, v57, v58
	s_delay_alu instid0(VALU_DEP_1) | instskip(NEXT) | instid1(VALU_DEP_1)
	v_add_nc_u32_e32 v57, v57, v58
	v_mul_hi_u32 v57, v51, v57
	s_delay_alu instid0(VALU_DEP_1) | instskip(NEXT) | instid1(VALU_DEP_1)
	v_mul_lo_u32 v58, v57, v54
	v_dual_sub_nc_u32 v51, v51, v58 :: v_dual_add_nc_u32 v58, 1, v57
	s_delay_alu instid0(VALU_DEP_1) | instskip(NEXT) | instid1(VALU_DEP_2)
	v_cmp_ge_u32_e32 vcc_lo, v51, v54
	v_cndmask_b32_e32 v57, v57, v58, vcc_lo
	v_sub_nc_u32_e32 v58, v51, v54
	s_delay_alu instid0(VALU_DEP_1) | instskip(NEXT) | instid1(VALU_DEP_1)
	v_cndmask_b32_e32 v51, v51, v58, vcc_lo
	v_cmp_ge_u32_e32 vcc_lo, v51, v54
	s_delay_alu instid0(VALU_DEP_4) | instskip(NEXT) | instid1(VALU_DEP_1)
	v_dual_add_nc_u32 v51, 1, v57 :: v_dual_sub_nc_u32 v54, 0, v52
	v_cndmask_b32_e32 v51, v57, v51, vcc_lo
	s_delay_alu instid0(VALU_DEP_1) | instskip(NEXT) | instid1(VALU_DEP_1)
	v_xor_b32_e32 v51, v51, v56
	v_sub_nc_u32_e32 v51, v51, v56
	s_delay_alu instid0(VALU_DEP_1) | instskip(SKIP_2) | instid1(VALU_DEP_1)
	v_mad_u32 v50, v51, s18, v50
	v_xor_b32_e32 v51, v52, v53
	v_dual_sub_nc_u32 v54, 0, v53 :: v_dual_max_i32 v52, v52, v54
	v_max_i32_e32 v53, v53, v54
	s_delay_alu instid0(VALU_DEP_1) | instskip(SKIP_1) | instid1(VALU_DEP_2)
	v_cvt_f32_u32_e32 v54, v53
	v_sub_nc_u32_e32 v56, 0, v53
	v_rcp_iflag_f32_e32 v54, v54
	v_nop
	s_delay_alu instid0(TRANS32_DEP_1) | instskip(NEXT) | instid1(VALU_DEP_1)
	v_dual_mul_f32 v54, 0x4f7ffffe, v54 :: v_dual_ashrrev_i32 v51, 31, v51
	v_cvt_u32_f32_e32 v54, v54
	s_delay_alu instid0(VALU_DEP_1) | instskip(NEXT) | instid1(VALU_DEP_1)
	v_mul_lo_u32 v56, v56, v54
	v_mul_hi_u32 v56, v54, v56
	s_delay_alu instid0(VALU_DEP_1) | instskip(NEXT) | instid1(VALU_DEP_1)
	v_add_nc_u32_e32 v54, v54, v56
	v_mul_hi_u32 v54, v52, v54
	s_delay_alu instid0(VALU_DEP_1) | instskip(NEXT) | instid1(VALU_DEP_1)
	v_mul_lo_u32 v56, v54, v53
	v_dual_sub_nc_u32 v52, v52, v56 :: v_dual_add_nc_u32 v56, 1, v54
	s_delay_alu instid0(VALU_DEP_1) | instskip(NEXT) | instid1(VALU_DEP_2)
	v_cmp_ge_u32_e32 vcc_lo, v52, v53
	v_dual_cndmask_b32 v54, v54, v56, vcc_lo :: v_dual_sub_nc_u32 v56, v52, v53
	s_delay_alu instid0(VALU_DEP_1) | instskip(NEXT) | instid1(VALU_DEP_1)
	v_cndmask_b32_e32 v52, v52, v56, vcc_lo
	v_cmp_ge_u32_e32 vcc_lo, v52, v53
	s_delay_alu instid0(VALU_DEP_3) | instskip(NEXT) | instid1(VALU_DEP_1)
	v_add_nc_u32_e32 v52, 1, v54
	v_cndmask_b32_e32 v52, v54, v52, vcc_lo
	s_delay_alu instid0(VALU_DEP_1) | instskip(NEXT) | instid1(VALU_DEP_1)
	v_xor_b32_e32 v52, v52, v51
	v_dual_sub_nc_u32 v51, v52, v51 :: v_dual_sub_nc_u32 v52, 0, v49
	s_delay_alu instid0(VALU_DEP_1) | instskip(SKIP_2) | instid1(VALU_DEP_3)
	v_mad_u32 v47, v51, s18, v47
	s_wait_loadcnt 0x0
	v_xor_b32_e32 v51, v49, v55
	v_dual_sub_nc_u32 v52, 0, v55 :: v_dual_max_i32 v49, v49, v52
	s_delay_alu instid0(VALU_DEP_1) | instskip(NEXT) | instid1(VALU_DEP_1)
	v_dual_ashrrev_i32 v51, 31, v51 :: v_dual_max_i32 v52, v55, v52
	v_cvt_f32_u32_e32 v53, v52
	s_delay_alu instid0(VALU_DEP_1) | instskip(SKIP_1) | instid1(TRANS32_DEP_1)
	v_rcp_iflag_f32_e32 v53, v53
	v_nop
	v_dual_mul_f32 v53, 0x4f7ffffe, v53 :: v_dual_sub_nc_u32 v54, 0, v52
	s_delay_alu instid0(VALU_DEP_1) | instskip(NEXT) | instid1(VALU_DEP_1)
	v_cvt_u32_f32_e32 v53, v53
	v_mul_lo_u32 v54, v54, v53
	s_delay_alu instid0(VALU_DEP_1) | instskip(NEXT) | instid1(VALU_DEP_1)
	v_mul_hi_u32 v54, v53, v54
	v_add_nc_u32_e32 v53, v53, v54
	s_delay_alu instid0(VALU_DEP_1) | instskip(NEXT) | instid1(VALU_DEP_1)
	v_mul_hi_u32 v53, v49, v53
	v_mul_lo_u32 v54, v53, v52
	s_delay_alu instid0(VALU_DEP_1) | instskip(NEXT) | instid1(VALU_DEP_1)
	v_dual_sub_nc_u32 v49, v49, v54 :: v_dual_add_nc_u32 v54, 1, v53
	v_cmp_ge_u32_e32 vcc_lo, v49, v52
	s_delay_alu instid0(VALU_DEP_2) | instskip(SKIP_1) | instid1(VALU_DEP_1)
	v_cndmask_b32_e32 v53, v53, v54, vcc_lo
	v_sub_nc_u32_e32 v54, v49, v52
	v_cndmask_b32_e32 v49, v49, v54, vcc_lo
	s_delay_alu instid0(VALU_DEP_1) | instskip(NEXT) | instid1(VALU_DEP_4)
	v_cmp_ge_u32_e32 vcc_lo, v49, v52
	v_add_nc_u32_e32 v49, 1, v53
	s_delay_alu instid0(VALU_DEP_1) | instskip(NEXT) | instid1(VALU_DEP_1)
	v_cndmask_b32_e32 v49, v53, v49, vcc_lo
	v_xor_b32_e32 v49, v49, v51
	s_delay_alu instid0(VALU_DEP_1) | instskip(NEXT) | instid1(VALU_DEP_1)
	v_dual_sub_nc_u32 v49, v49, v51 :: v_dual_sub_nc_u32 v51, 0, v46
	v_mad_u32 v48, v49, s18, v48
	v_xor_b32_e32 v49, v46, v45
	s_delay_alu instid0(VALU_DEP_3) | instskip(NEXT) | instid1(VALU_DEP_1)
	v_dual_sub_nc_u32 v51, 0, v45 :: v_dual_max_i32 v46, v46, v51
	v_dual_ashrrev_i32 v49, 31, v49 :: v_dual_max_i32 v45, v45, v51
	s_delay_alu instid0(VALU_DEP_1) | instskip(SKIP_1) | instid1(VALU_DEP_2)
	v_cvt_f32_u32_e32 v51, v45
	v_sub_nc_u32_e32 v52, 0, v45
	v_rcp_iflag_f32_e32 v51, v51
	v_nop
	s_delay_alu instid0(TRANS32_DEP_1) | instskip(NEXT) | instid1(VALU_DEP_1)
	v_mul_f32_e32 v51, 0x4f7ffffe, v51
	v_cvt_u32_f32_e32 v51, v51
	s_delay_alu instid0(VALU_DEP_1) | instskip(NEXT) | instid1(VALU_DEP_1)
	v_mul_lo_u32 v52, v52, v51
	v_mul_hi_u32 v52, v51, v52
	s_delay_alu instid0(VALU_DEP_1) | instskip(NEXT) | instid1(VALU_DEP_1)
	v_add_nc_u32_e32 v51, v51, v52
	v_mul_hi_u32 v51, v46, v51
	s_delay_alu instid0(VALU_DEP_1) | instskip(NEXT) | instid1(VALU_DEP_1)
	v_mul_lo_u32 v52, v51, v45
	v_dual_sub_nc_u32 v46, v46, v52 :: v_dual_add_nc_u32 v52, 1, v51
	s_delay_alu instid0(VALU_DEP_1) | instskip(NEXT) | instid1(VALU_DEP_2)
	v_cmp_ge_u32_e32 vcc_lo, v46, v45
	v_dual_cndmask_b32 v51, v51, v52 :: v_dual_sub_nc_u32 v52, v46, v45
	s_delay_alu instid0(VALU_DEP_1) | instskip(NEXT) | instid1(VALU_DEP_1)
	v_cndmask_b32_e32 v46, v46, v52, vcc_lo
	v_cmp_ge_u32_e32 vcc_lo, v46, v45
	s_delay_alu instid0(VALU_DEP_3) | instskip(NEXT) | instid1(VALU_DEP_1)
	v_add_nc_u32_e32 v45, 1, v51
	v_cndmask_b32_e32 v45, v51, v45, vcc_lo
	v_cmp_lt_i64_e32 vcc_lo, s[16:17], v[2:3]
	s_delay_alu instid0(VALU_DEP_2) | instskip(SKIP_1) | instid1(VALU_DEP_1)
	v_xor_b32_e32 v45, v45, v49
	s_and_b32 vcc_lo, exec_lo, vcc_lo
	v_sub_nc_u32_e32 v45, v45, v49
	s_delay_alu instid0(VALU_DEP_1)
	v_mad_u32 v44, v45, s18, v44
	global_store_b32 v[38:39], v44, off
	s_wait_xcnt 0x0
	v_add_nc_u64_e32 v[38:39], s[8:9], v[18:19]
	v_add_nc_u64_e32 v[18:19], s[14:15], v[18:19]
	global_store_b32 v[38:39], v50, off
	global_store_b32 v[40:41], v47, off
	;; [unrolled: 1-line block ×3, first 2 shown]
	s_cbranch_vccz .LBB123_18
.LBB123_4:                              ; =>This Inner Loop Header: Depth=1
	s_wait_xcnt 0x2
	v_add_nc_u64_e32 v[38:39], s[16:17], v[0:1]
	v_dual_mov_b32 v46, 0 :: v_dual_mov_b32 v44, 0
	s_delay_alu instid0(VALU_DEP_2)
	v_cmp_lt_u64_e32 vcc_lo, v[38:39], v[4:5]
	v_add_nc_u64_e32 v[38:39], s[8:9], v[6:7]
	s_wait_xcnt 0x0
	s_and_saveexec_b32 s19, vcc_lo
	s_cbranch_execz .LBB123_6
; %bb.5:                                ;   in Loop: Header=BB123_4 Depth=1
	v_add_nc_u64_e32 v[40:41], s[8:9], v[8:9]
	global_load_b32 v44, v[38:39], off
	global_load_b32 v46, v[40:41], off
.LBB123_6:                              ;   in Loop: Header=BB123_4 Depth=1
	s_wait_xcnt 0x0
	s_or_b32 exec_lo, exec_lo, s19
	v_dual_mov_b32 v51, 0 :: v_dual_mov_b32 v45, 0
	s_and_saveexec_b32 s19, vcc_lo
	s_cbranch_execz .LBB123_8
; %bb.7:                                ;   in Loop: Header=BB123_4 Depth=1
	v_add_nc_u64_e32 v[40:41], s[8:9], v[10:11]
	global_load_b32 v45, v[40:41], off
.LBB123_8:                              ;   in Loop: Header=BB123_4 Depth=1
	s_wait_xcnt 0x0
	s_or_b32 exec_lo, exec_lo, s19
	v_add_nc_u64_e32 v[40:41], s[16:17], v[12:13]
	v_mov_b32_e32 v50, 0
	s_delay_alu instid0(VALU_DEP_2)
	v_cmp_lt_u64_e32 vcc_lo, v[40:41], v[4:5]
	s_and_saveexec_b32 s19, vcc_lo
	s_cbranch_execz .LBB123_10
; %bb.9:                                ;   in Loop: Header=BB123_4 Depth=1
	v_add_nc_u64_e32 v[40:41], s[8:9], v[32:33]
	v_add_nc_u64_e32 v[42:43], s[8:9], v[34:35]
	global_load_b32 v50, v[40:41], off
	global_load_b32 v51, v[42:43], off
.LBB123_10:                             ;   in Loop: Header=BB123_4 Depth=1
	s_wait_xcnt 0x0
	s_or_b32 exec_lo, exec_lo, s19
	v_dual_mov_b32 v52, 0 :: v_dual_mov_b32 v54, 0
	s_and_saveexec_b32 s19, vcc_lo
	s_cbranch_execz .LBB123_12
; %bb.11:                               ;   in Loop: Header=BB123_4 Depth=1
	v_add_nc_u64_e32 v[40:41], s[8:9], v[36:37]
	global_load_b32 v54, v[40:41], off
.LBB123_12:                             ;   in Loop: Header=BB123_4 Depth=1
	s_wait_xcnt 0x0
	s_or_b32 exec_lo, exec_lo, s19
	v_add_nc_u64_e32 v[40:41], s[16:17], v[16:17]
	v_mov_b32_e32 v47, 0
	s_delay_alu instid0(VALU_DEP_2)
	v_cmp_lt_u64_e32 vcc_lo, v[40:41], v[4:5]
	v_add_nc_u64_e32 v[40:41], s[8:9], v[20:21]
	s_and_saveexec_b32 s19, vcc_lo
	s_cbranch_execz .LBB123_14
; %bb.13:                               ;   in Loop: Header=BB123_4 Depth=1
	v_add_nc_u64_e32 v[42:43], s[8:9], v[22:23]
	global_load_b32 v47, v[40:41], off
	global_load_b32 v52, v[42:43], off
.LBB123_14:                             ;   in Loop: Header=BB123_4 Depth=1
	s_wait_xcnt 0x0
	s_or_b32 exec_lo, exec_lo, s19
	v_dual_mov_b32 v49, 0 :: v_dual_mov_b32 v53, 0
	s_and_saveexec_b32 s19, vcc_lo
	s_cbranch_execz .LBB123_16
; %bb.15:                               ;   in Loop: Header=BB123_4 Depth=1
	v_add_nc_u64_e32 v[42:43], s[8:9], v[24:25]
	global_load_b32 v53, v[42:43], off
.LBB123_16:                             ;   in Loop: Header=BB123_4 Depth=1
	s_wait_xcnt 0x0
	s_or_b32 exec_lo, exec_lo, s19
	v_add_nc_u64_e32 v[42:43], s[16:17], v[14:15]
	v_mov_b32_e32 v48, 0
	s_delay_alu instid0(VALU_DEP_2)
	v_cmp_lt_u64_e32 vcc_lo, v[42:43], v[4:5]
	v_add_nc_u64_e32 v[42:43], s[8:9], v[26:27]
	s_and_saveexec_b32 s19, vcc_lo
	s_cbranch_execz .LBB123_3
; %bb.17:                               ;   in Loop: Header=BB123_4 Depth=1
	v_add_nc_u64_e32 v[56:57], s[8:9], v[28:29]
	global_load_b32 v48, v[42:43], off
	global_load_b32 v49, v[56:57], off
	s_branch .LBB123_3
.LBB123_18:
	s_mov_b32 s12, 0
.LBB123_19:
	s_delay_alu instid0(SALU_CYCLE_1)
	s_and_not1_b32 vcc_lo, exec_lo, s12
	s_cbranch_vccnz .LBB123_23
; %bb.20:
	v_min_i64 v[2:3], 0x10000, s[10:11]
	v_dual_mov_b32 v5, 0 :: v_dual_lshlrev_b32 v4, 2, v0
	s_mov_b32 s10, exec_lo
	s_wait_xcnt 0x0
	s_delay_alu instid0(VALU_DEP_1)
	v_cmpx_lt_i64_e64 v[4:5], v[2:3]
	s_cbranch_execz .LBB123_23
; %bb.21:
	s_load_b32 s0, s[0:1], 0xd14
	v_dual_mov_b32 v1, v5 :: v_dual_lshlrev_b32 v4, 4, v0
	s_mov_b32 s11, 0
	s_wait_kmcnt 0x0
	s_mov_b32 s14, s18
	s_add_nc_u64 s[6:7], s[6:7], 8
	v_add_nc_u64_e32 v[4:5], s[8:9], v[4:5]
	s_add_nc_u64 s[8:9], s[2:3], 8
	s_mov_b32 s13, s11
	s_mov_b32 s3, s11
	s_and_b32 s10, s0, 0xffff
	s_delay_alu instid0(SALU_CYCLE_1)
	s_lshl_b32 s12, s10, 4
.LBB123_22:                             ; =>This Inner Loop Header: Depth=1
	s_delay_alu instid0(VALU_DEP_1)
	v_add_nc_u64_e32 v[14:15], s[4:5], v[4:5]
	v_add_nc_u64_e32 v[16:17], s[8:9], v[4:5]
	v_add_nc_u64_e32 v[18:19], s[6:7], v[4:5]
	v_add_nc_u64_e32 v[0:1], s[10:11], v[0:1]
	v_add_nc_u64_e32 v[4:5], s[12:13], v[4:5]
	global_load_b128 v[6:9], v[14:15], off
	global_load_b128 v[10:13], v[16:17], off offset:-8
	global_load_b128 v[14:17], v[18:19], off offset:-8
	s_wait_loadcnt 0x1
	v_dual_sub_nc_u32 v25, 0, v7 :: v_dual_sub_nc_u32 v27, 0, v12
	v_dual_sub_nc_u32 v22, 0, v6 :: v_dual_bitop2_b32 v20, v10, v6 bitop3:0x14
	v_dual_sub_nc_u32 v21, 0, v10 :: v_dual_bitop2_b32 v23, v11, v7 bitop3:0x14
	;; [unrolled: 1-line block ×3, first 2 shown]
	s_delay_alu instid0(VALU_DEP_3) | instskip(SKIP_1) | instid1(VALU_DEP_3)
	v_dual_sub_nc_u32 v31, 0, v9 :: v_dual_max_i32 v6, v6, v22
	v_max_i32_e32 v7, v7, v25
	v_dual_ashrrev_i32 v22, 31, v26 :: v_dual_max_i32 v11, v11, v24
	v_dual_sub_nc_u32 v28, 0, v8 :: v_dual_bitop2_b32 v29, v13, v9 bitop3:0x14
	s_delay_alu instid0(VALU_DEP_4)
	v_cvt_f32_u32_e32 v24, v6
	v_sub_nc_u32_e32 v25, 0, v6
	v_cvt_f32_u32_e32 v26, v7
	v_max_i32_e32 v12, v12, v27
	v_dual_sub_nc_u32 v27, 0, v7 :: v_dual_max_i32 v8, v8, v28
	v_rcp_iflag_f32_e32 v24, v24
	s_delay_alu instid0(VALU_DEP_3) | instskip(SKIP_1) | instid1(VALU_DEP_2)
	v_rcp_iflag_f32_e32 v26, v26
	v_max_i32_e32 v9, v9, v31
	v_cvt_f32_u32_e32 v28, v8
	v_dual_sub_nc_u32 v30, 0, v13 :: v_dual_ashrrev_i32 v20, 31, v20
	v_dual_ashrrev_i32 v21, 31, v23 :: v_dual_max_i32 v10, v10, v21
	s_delay_alu instid0(TRANS32_DEP_2) | instid1(VALU_DEP_4)
	v_dual_mul_f32 v24, 0x4f7ffffe, v24 :: v_dual_sub_nc_u32 v31, 0, v9
	s_delay_alu instid0(TRANS32_DEP_1) | instskip(SKIP_2) | instid1(VALU_DEP_3)
	v_mul_f32_e32 v26, 0x4f7ffffe, v26
	v_rcp_iflag_f32_e32 v28, v28
	v_max_i32_e32 v13, v13, v30
	v_cvt_u32_f32_e32 v24, v24
	v_cvt_f32_u32_e32 v30, v9
	v_cvt_u32_f32_e32 v26, v26
	v_dual_ashrrev_i32 v23, 31, v29 :: v_dual_sub_nc_u32 v29, 0, v8
	s_delay_alu instid0(VALU_DEP_4) | instskip(NEXT) | instid1(VALU_DEP_4)
	v_mul_lo_u32 v25, v25, v24
	v_rcp_iflag_f32_e32 v30, v30
	s_delay_alu instid0(VALU_DEP_3) | instskip(NEXT) | instid1(VALU_DEP_2)
	v_mul_lo_u32 v27, v27, v26
	v_mul_hi_u32 v25, v24, v25
	s_delay_alu instid0(VALU_DEP_2) | instskip(SKIP_1) | instid1(VALU_DEP_2)
	v_mul_hi_u32 v27, v26, v27
	v_mul_f32_e32 v28, 0x4f7ffffe, v28
	v_dual_add_nc_u32 v24, v24, v25 :: v_dual_add_nc_u32 v25, v26, v27
	s_delay_alu instid0(VALU_DEP_2) | instskip(NEXT) | instid1(VALU_DEP_2)
	v_cvt_u32_f32_e32 v28, v28
	v_mul_hi_u32 v25, v11, v25
	v_mul_f32_e32 v30, 0x4f7ffffe, v30
	s_delay_alu instid0(VALU_DEP_3) | instskip(NEXT) | instid1(VALU_DEP_3)
	v_mul_lo_u32 v29, v29, v28
	v_add_nc_u32_e32 v33, 1, v25
	s_delay_alu instid0(VALU_DEP_3) | instskip(NEXT) | instid1(VALU_DEP_3)
	v_cvt_u32_f32_e32 v30, v30
	v_mul_hi_u32 v29, v28, v29
	s_delay_alu instid0(VALU_DEP_2) | instskip(NEXT) | instid1(VALU_DEP_1)
	v_mul_lo_u32 v31, v31, v30
	v_mul_hi_u32 v31, v30, v31
	s_delay_alu instid0(VALU_DEP_1) | instskip(SKIP_3) | instid1(VALU_DEP_4)
	v_add_nc_u32_e32 v27, v30, v31
	v_mul_hi_u32 v24, v10, v24
	v_add_nc_u32_e32 v26, v28, v29
	v_mul_lo_u32 v29, v25, v7
	v_mul_hi_u32 v27, v13, v27
	s_delay_alu instid0(VALU_DEP_4) | instskip(NEXT) | instid1(VALU_DEP_4)
	v_add_nc_u32_e32 v32, 1, v24
	v_mul_hi_u32 v26, v12, v26
	v_mul_lo_u32 v28, v24, v6
	v_sub_nc_u32_e32 v11, v11, v29
	v_mul_lo_u32 v31, v27, v9
	v_add_nc_u32_e32 v35, 1, v27
	s_delay_alu instid0(VALU_DEP_3)
	v_cmp_ge_u32_e64 s0, v11, v7
	v_sub_nc_u32_e32 v29, v11, v7
	v_mul_lo_u32 v30, v26, v8
	v_dual_sub_nc_u32 v10, v10, v28 :: v_dual_add_nc_u32 v34, 1, v26
	v_sub_nc_u32_e32 v13, v13, v31
	v_cndmask_b32_e64 v25, v25, v33, s0
	v_cndmask_b32_e64 v11, v11, v29, s0
	s_delay_alu instid0(VALU_DEP_4)
	v_cmp_ge_u32_e32 vcc_lo, v10, v6
	v_sub_nc_u32_e32 v28, v10, v6
	v_cmp_ge_u32_e64 s2, v13, v9
	v_add_nc_u32_e32 v29, 1, v25
	v_dual_sub_nc_u32 v31, v13, v9 :: v_dual_sub_nc_u32 v12, v12, v30
	v_cndmask_b32_e32 v24, v24, v32, vcc_lo
	s_delay_alu instid0(VALU_DEP_4) | instskip(NEXT) | instid1(VALU_DEP_3)
	v_dual_cndmask_b32 v10, v10, v28, vcc_lo :: v_dual_cndmask_b32 v27, v27, v35, s2
	v_cndmask_b32_e64 v13, v13, v31, s2
	s_delay_alu instid0(VALU_DEP_4) | instskip(SKIP_3) | instid1(VALU_DEP_4)
	v_cmp_ge_u32_e64 s1, v12, v8
	v_sub_nc_u32_e32 v30, v12, v8
	v_add_nc_u32_e32 v28, 1, v24
	v_cmp_ge_u32_e32 vcc_lo, v10, v6
	v_dual_add_nc_u32 v31, 1, v27 :: v_dual_cndmask_b32 v26, v26, v34, s1
	s_delay_alu instid0(VALU_DEP_4) | instskip(NEXT) | instid1(VALU_DEP_4)
	v_cndmask_b32_e64 v12, v12, v30, s1
	v_cndmask_b32_e32 v6, v24, v28, vcc_lo
	v_cmp_ge_u32_e32 vcc_lo, v11, v7
	s_delay_alu instid0(VALU_DEP_4) | instskip(SKIP_4) | instid1(VALU_DEP_3)
	v_add_nc_u32_e32 v30, 1, v26
	v_lshlrev_b64_e32 v[10:11], 2, v[0:1]
	v_cndmask_b32_e32 v7, v25, v29, vcc_lo
	v_cmp_ge_u32_e32 vcc_lo, v12, v8
	v_xor_b32_e32 v6, v6, v20
	v_dual_cndmask_b32 v8, v26, v30, vcc_lo :: v_dual_bitop2_b32 v7, v7, v21 bitop3:0x14
	v_cmp_ge_u32_e32 vcc_lo, v13, v9
	s_delay_alu instid0(VALU_DEP_2) | instskip(NEXT) | instid1(VALU_DEP_3)
	v_dual_sub_nc_u32 v6, v6, v20 :: v_dual_sub_nc_u32 v7, v7, v21
	v_dual_cndmask_b32 v9, v27, v31, vcc_lo :: v_dual_bitop2_b32 v8, v8, v22 bitop3:0x14
	s_wait_loadcnt 0x0
	s_delay_alu instid0(VALU_DEP_2) | instskip(NEXT) | instid1(VALU_DEP_3)
	v_mad_u32 v6, v6, s18, v14
	v_mad_u32 v7, v7, s14, v15
	v_cmp_ge_i64_e32 vcc_lo, v[10:11], v[2:3]
	v_dual_sub_nc_u32 v8, v8, v22 :: v_dual_bitop2_b32 v9, v9, v23 bitop3:0x14
	s_delay_alu instid0(VALU_DEP_1) | instskip(NEXT) | instid1(VALU_DEP_2)
	v_sub_nc_u32_e32 v9, v9, v23
	v_mad_u32 v8, v8, s18, v16
	s_or_b32 s3, vcc_lo, s3
	s_delay_alu instid0(VALU_DEP_2)
	v_mad_u32 v9, v9, s14, v17
	global_store_b128 v[18:19], v[6:9], off offset:-8
	s_wait_xcnt 0x0
	s_and_not1_b32 exec_lo, exec_lo, s3
	s_cbranch_execnz .LBB123_22
.LBB123_23:
	s_endpgm
	.section	.rodata,"a",@progbits
	.p2align	6, 0x0
	.amdhsa_kernel _ZN2at6native12_GLOBAL__N_125multi_tensor_apply_kernelINS1_28TensorListScalarListMetadataIiLi3EEENS1_28PointwiseOpScalarListFunctorIiLi3ELi3ELi0EEEJSt7dividesIiEEEEvT_T0_DpT1_
		.amdhsa_group_segment_fixed_size 0
		.amdhsa_private_segment_fixed_size 0
		.amdhsa_kernarg_size 3592
		.amdhsa_user_sgpr_count 2
		.amdhsa_user_sgpr_dispatch_ptr 0
		.amdhsa_user_sgpr_queue_ptr 0
		.amdhsa_user_sgpr_kernarg_segment_ptr 1
		.amdhsa_user_sgpr_dispatch_id 0
		.amdhsa_user_sgpr_kernarg_preload_length 0
		.amdhsa_user_sgpr_kernarg_preload_offset 0
		.amdhsa_user_sgpr_private_segment_size 0
		.amdhsa_wavefront_size32 1
		.amdhsa_uses_dynamic_stack 0
		.amdhsa_enable_private_segment 0
		.amdhsa_system_sgpr_workgroup_id_x 1
		.amdhsa_system_sgpr_workgroup_id_y 0
		.amdhsa_system_sgpr_workgroup_id_z 0
		.amdhsa_system_sgpr_workgroup_info 0
		.amdhsa_system_vgpr_workitem_id 0
		.amdhsa_next_free_vgpr 59
		.amdhsa_next_free_sgpr 24
		.amdhsa_named_barrier_count 0
		.amdhsa_reserve_vcc 1
		.amdhsa_float_round_mode_32 0
		.amdhsa_float_round_mode_16_64 0
		.amdhsa_float_denorm_mode_32 3
		.amdhsa_float_denorm_mode_16_64 3
		.amdhsa_fp16_overflow 0
		.amdhsa_memory_ordered 1
		.amdhsa_forward_progress 1
		.amdhsa_inst_pref_size 22
		.amdhsa_round_robin_scheduling 0
		.amdhsa_exception_fp_ieee_invalid_op 0
		.amdhsa_exception_fp_denorm_src 0
		.amdhsa_exception_fp_ieee_div_zero 0
		.amdhsa_exception_fp_ieee_overflow 0
		.amdhsa_exception_fp_ieee_underflow 0
		.amdhsa_exception_fp_ieee_inexact 0
		.amdhsa_exception_int_div_zero 0
	.end_amdhsa_kernel
	.section	.text._ZN2at6native12_GLOBAL__N_125multi_tensor_apply_kernelINS1_28TensorListScalarListMetadataIiLi3EEENS1_28PointwiseOpScalarListFunctorIiLi3ELi3ELi0EEEJSt7dividesIiEEEEvT_T0_DpT1_,"axG",@progbits,_ZN2at6native12_GLOBAL__N_125multi_tensor_apply_kernelINS1_28TensorListScalarListMetadataIiLi3EEENS1_28PointwiseOpScalarListFunctorIiLi3ELi3ELi0EEEJSt7dividesIiEEEEvT_T0_DpT1_,comdat
.Lfunc_end123:
	.size	_ZN2at6native12_GLOBAL__N_125multi_tensor_apply_kernelINS1_28TensorListScalarListMetadataIiLi3EEENS1_28PointwiseOpScalarListFunctorIiLi3ELi3ELi0EEEJSt7dividesIiEEEEvT_T0_DpT1_, .Lfunc_end123-_ZN2at6native12_GLOBAL__N_125multi_tensor_apply_kernelINS1_28TensorListScalarListMetadataIiLi3EEENS1_28PointwiseOpScalarListFunctorIiLi3ELi3ELi0EEEJSt7dividesIiEEEEvT_T0_DpT1_
                                        ; -- End function
	.set _ZN2at6native12_GLOBAL__N_125multi_tensor_apply_kernelINS1_28TensorListScalarListMetadataIiLi3EEENS1_28PointwiseOpScalarListFunctorIiLi3ELi3ELi0EEEJSt7dividesIiEEEEvT_T0_DpT1_.num_vgpr, 59
	.set _ZN2at6native12_GLOBAL__N_125multi_tensor_apply_kernelINS1_28TensorListScalarListMetadataIiLi3EEENS1_28PointwiseOpScalarListFunctorIiLi3ELi3ELi0EEEJSt7dividesIiEEEEvT_T0_DpT1_.num_agpr, 0
	.set _ZN2at6native12_GLOBAL__N_125multi_tensor_apply_kernelINS1_28TensorListScalarListMetadataIiLi3EEENS1_28PointwiseOpScalarListFunctorIiLi3ELi3ELi0EEEJSt7dividesIiEEEEvT_T0_DpT1_.numbered_sgpr, 24
	.set _ZN2at6native12_GLOBAL__N_125multi_tensor_apply_kernelINS1_28TensorListScalarListMetadataIiLi3EEENS1_28PointwiseOpScalarListFunctorIiLi3ELi3ELi0EEEJSt7dividesIiEEEEvT_T0_DpT1_.num_named_barrier, 0
	.set _ZN2at6native12_GLOBAL__N_125multi_tensor_apply_kernelINS1_28TensorListScalarListMetadataIiLi3EEENS1_28PointwiseOpScalarListFunctorIiLi3ELi3ELi0EEEJSt7dividesIiEEEEvT_T0_DpT1_.private_seg_size, 0
	.set _ZN2at6native12_GLOBAL__N_125multi_tensor_apply_kernelINS1_28TensorListScalarListMetadataIiLi3EEENS1_28PointwiseOpScalarListFunctorIiLi3ELi3ELi0EEEJSt7dividesIiEEEEvT_T0_DpT1_.uses_vcc, 1
	.set _ZN2at6native12_GLOBAL__N_125multi_tensor_apply_kernelINS1_28TensorListScalarListMetadataIiLi3EEENS1_28PointwiseOpScalarListFunctorIiLi3ELi3ELi0EEEJSt7dividesIiEEEEvT_T0_DpT1_.uses_flat_scratch, 0
	.set _ZN2at6native12_GLOBAL__N_125multi_tensor_apply_kernelINS1_28TensorListScalarListMetadataIiLi3EEENS1_28PointwiseOpScalarListFunctorIiLi3ELi3ELi0EEEJSt7dividesIiEEEEvT_T0_DpT1_.has_dyn_sized_stack, 0
	.set _ZN2at6native12_GLOBAL__N_125multi_tensor_apply_kernelINS1_28TensorListScalarListMetadataIiLi3EEENS1_28PointwiseOpScalarListFunctorIiLi3ELi3ELi0EEEJSt7dividesIiEEEEvT_T0_DpT1_.has_recursion, 0
	.set _ZN2at6native12_GLOBAL__N_125multi_tensor_apply_kernelINS1_28TensorListScalarListMetadataIiLi3EEENS1_28PointwiseOpScalarListFunctorIiLi3ELi3ELi0EEEJSt7dividesIiEEEEvT_T0_DpT1_.has_indirect_call, 0
	.section	.AMDGPU.csdata,"",@progbits
; Kernel info:
; codeLenInByte = 2776
; TotalNumSgprs: 26
; NumVgprs: 59
; ScratchSize: 0
; MemoryBound: 0
; FloatMode: 240
; IeeeMode: 1
; LDSByteSize: 0 bytes/workgroup (compile time only)
; SGPRBlocks: 0
; VGPRBlocks: 3
; NumSGPRsForWavesPerEU: 26
; NumVGPRsForWavesPerEU: 59
; NamedBarCnt: 0
; Occupancy: 16
; WaveLimiterHint : 0
; COMPUTE_PGM_RSRC2:SCRATCH_EN: 0
; COMPUTE_PGM_RSRC2:USER_SGPR: 2
; COMPUTE_PGM_RSRC2:TRAP_HANDLER: 0
; COMPUTE_PGM_RSRC2:TGID_X_EN: 1
; COMPUTE_PGM_RSRC2:TGID_Y_EN: 0
; COMPUTE_PGM_RSRC2:TGID_Z_EN: 0
; COMPUTE_PGM_RSRC2:TIDIG_COMP_CNT: 0
	.section	.text._ZN2at6native12_GLOBAL__N_125multi_tensor_apply_kernelINS1_28TensorListScalarListMetadataIlLi3EEENS1_28PointwiseOpScalarListFunctorIlLi3ELi3ELi0EEEJSt7dividesIlEEEEvT_T0_DpT1_,"axG",@progbits,_ZN2at6native12_GLOBAL__N_125multi_tensor_apply_kernelINS1_28TensorListScalarListMetadataIlLi3EEENS1_28PointwiseOpScalarListFunctorIlLi3ELi3ELi0EEEJSt7dividesIlEEEEvT_T0_DpT1_,comdat
	.globl	_ZN2at6native12_GLOBAL__N_125multi_tensor_apply_kernelINS1_28TensorListScalarListMetadataIlLi3EEENS1_28PointwiseOpScalarListFunctorIlLi3ELi3ELi0EEEJSt7dividesIlEEEEvT_T0_DpT1_ ; -- Begin function _ZN2at6native12_GLOBAL__N_125multi_tensor_apply_kernelINS1_28TensorListScalarListMetadataIlLi3EEENS1_28PointwiseOpScalarListFunctorIlLi3ELi3ELi0EEEJSt7dividesIlEEEEvT_T0_DpT1_
	.p2align	8
	.type	_ZN2at6native12_GLOBAL__N_125multi_tensor_apply_kernelINS1_28TensorListScalarListMetadataIlLi3EEENS1_28PointwiseOpScalarListFunctorIlLi3ELi3ELi0EEEJSt7dividesIlEEEEvT_T0_DpT1_,@function
_ZN2at6native12_GLOBAL__N_125multi_tensor_apply_kernelINS1_28TensorListScalarListMetadataIlLi3EEENS1_28PointwiseOpScalarListFunctorIlLi3ELi3ELi0EEEJSt7dividesIlEEEEvT_T0_DpT1_: ; @_ZN2at6native12_GLOBAL__N_125multi_tensor_apply_kernelINS1_28TensorListScalarListMetadataIlLi3EEENS1_28PointwiseOpScalarListFunctorIlLi3ELi3ELi0EEEJSt7dividesIlEEEEvT_T0_DpT1_
; %bb.0:
	s_bfe_u32 s2, ttmp6, 0x4000c
	s_and_b32 s3, ttmp6, 15
	s_add_co_i32 s2, s2, 1
	s_getreg_b32 s4, hwreg(HW_REG_IB_STS2, 6, 4)
	s_mul_i32 s2, ttmp9, s2
	s_mov_b32 s15, 0
	s_add_co_i32 s3, s3, s2
	s_cmp_eq_u32 s4, 0
	s_cselect_b32 s14, ttmp9, s3
	s_load_u8 s8, s[0:1], s14 offset:0x780
	s_add_nc_u64 s[2:3], s[0:1], s[14:15]
	s_mul_u64 s[4:5], s[14:15], 3
	s_delay_alu instid0(SALU_CYCLE_1)
	s_add_nc_u64 s[6:7], s[2:3], s[4:5]
	s_load_b32 s20, s[6:7], 0x8c0
	s_wait_kmcnt 0x0
	s_clause 0x4
	s_load_b64 s[2:3], s[0:1], s8 offset:0x180 scale_offset
	s_load_b64 s[16:17], s[0:1], s8 offset:0x300 scale_offset
	;; [unrolled: 1-line block ×5, first 2 shown]
	s_ashr_i32 s21, s20, 31
	s_delay_alu instid0(SALU_CYCLE_1)
	s_lshl_b64 s[12:13], s[20:21], 19
	s_wait_kmcnt 0x0
	s_add_nc_u64 s[6:7], s[2:3], s[12:13]
	s_add_nc_u64 s[8:9], s[16:17], s[12:13]
	;; [unrolled: 1-line block ×3, first 2 shown]
	s_or_b32 s14, s8, s6
	s_and_b64 s[24:25], s[10:11], 31
	s_and_b32 s14, s14, 31
	s_delay_alu instid0(SALU_CYCLE_1) | instskip(SKIP_4) | instid1(SALU_CYCLE_1)
	s_cmp_eq_u32 s14, 0
	s_cselect_b32 s26, -1, 0
	s_and_b32 s14, s22, 3
	s_lshl_b64 s[20:21], s[20:21], 16
	s_or_b64 s[14:15], s[24:25], s[14:15]
	s_cmp_eq_u64 s[14:15], 0
	s_cselect_b32 s14, -1, 0
	s_delay_alu instid0(SALU_CYCLE_1)
	s_and_b32 s24, s26, s14
	s_sub_nc_u64 s[14:15], s[22:23], s[20:21]
	s_and_b32 vcc_lo, exec_lo, s24
	s_mov_b32 s20, -1
	s_cbranch_vccnz .LBB124_35
; %bb.1:
	v_cmp_lt_i64_e64 s20, s[14:15], 1
	s_and_b32 vcc_lo, exec_lo, s20
	s_cbranch_vccnz .LBB124_34
; %bb.2:
	s_load_b32 s20, s[0:1], 0xdd4
	v_min_i64 v[2:3], 0x10000, s[14:15]
	v_min_u64 v[6:7], 0x10000, s[14:15]
	v_dual_mov_b32 v4, 0 :: v_dual_lshlrev_b32 v18, 3, v0
	s_mov_b32 s21, 0
	s_delay_alu instid0(SALU_CYCLE_1) | instskip(NEXT) | instid1(VALU_DEP_1)
	s_mov_b32 s27, s21
	v_dual_mov_b32 v19, v4 :: v_dual_mov_b32 v1, v4
	s_mov_b32 s29, s21
	s_mov_b32 s23, s21
	;; [unrolled: 1-line block ×3, first 2 shown]
	s_delay_alu instid0(VALU_DEP_1) | instskip(SKIP_4) | instid1(SALU_CYCLE_1)
	v_add_nc_u64_e32 v[8:9], s[18:19], v[18:19]
	v_add_nc_u64_e32 v[10:11], s[2:3], v[18:19]
	;; [unrolled: 1-line block ×3, first 2 shown]
	s_wait_kmcnt 0x0
	s_and_b32 s20, s20, 0xffff
	v_add_nc_u64_e32 v[14:15], s[20:21], v[0:1]
	v_mad_nc_u64_u32 v[30:31], s20, 24, v[18:19]
	s_lshl_b32 s26, s20, 4
	v_mov_b32_e32 v39, v4
	v_add_nc_u64_e32 v[24:25], s[26:27], v[18:19]
	s_lshl_b32 s28, s20, 3
	s_lshl_b32 s22, s20, 1
	v_lshlrev_b32_e32 v38, 3, v14
	s_mul_i32 s24, s20, 3
	s_add_nc_u64 s[26:27], s[18:19], s[28:29]
	v_add_nc_u64_e32 v[16:17], s[24:25], v[0:1]
	v_add_nc_u64_e32 v[18:19], s[26:27], v[18:19]
	;; [unrolled: 1-line block ×12, first 2 shown]
	s_lshl_b32 s16, s20, 2
	s_mov_b32 s17, s21
	s_lshl_b32 s18, s20, 5
	s_mov_b32 s19, s21
	s_mov_b64 s[20:21], 0
	s_branch .LBB124_4
.LBB124_3:                              ;   in Loop: Header=BB124_4 Depth=1
	s_or_b32 exec_lo, exec_lo, s2
	s_delay_alu instid0(VALU_DEP_1)
	v_mad_nc_u64_u32 v[42:43], v60, s4, v[42:43]
	v_mad_nc_u64_u32 v[46:47], v58, s4, v[46:47]
	;; [unrolled: 1-line block ×4, first 2 shown]
	s_add_nc_u64 s[20:21], s[20:21], s[16:17]
	v_add_nc_u64_e32 v[54:55], s[12:13], v[18:19]
	v_cmp_lt_i64_e32 vcc_lo, s[20:21], v[2:3]
	v_add_nc_u64_e32 v[8:9], s[18:19], v[8:9]
	v_add_nc_u64_e32 v[10:11], s[18:19], v[10:11]
	;; [unrolled: 1-line block ×4, first 2 shown]
	v_mad_u32 v5, v61, s4, v43
	v_mad_u32 v47, v59, s4, v47
	;; [unrolled: 1-line block ×4, first 2 shown]
	v_add_nc_u64_e32 v[20:21], s[18:19], v[20:21]
	v_add_nc_u64_e32 v[18:19], s[18:19], v[18:19]
	v_add_nc_u64_e32 v[28:29], s[18:19], v[28:29]
	v_add_nc_u64_e32 v[30:31], s[18:19], v[30:31]
	v_add_nc_u64_e32 v[22:23], s[18:19], v[22:23]
	v_add_nc_u64_e32 v[24:25], s[18:19], v[24:25]
	v_add_nc_u64_e32 v[34:35], s[18:19], v[34:35]
	v_mad_u32 v43, v60, s5, v5
	v_mad_u32 v47, v58, s5, v47
	;; [unrolled: 1-line block ×4, first 2 shown]
	v_add_nc_u64_e32 v[36:37], s[18:19], v[36:37]
	v_add_nc_u64_e32 v[38:39], s[18:19], v[38:39]
	s_and_b32 vcc_lo, exec_lo, vcc_lo
	global_store_b64 v[40:41], v[42:43], off
	global_store_b64 v[54:55], v[46:47], off
	;; [unrolled: 1-line block ×4, first 2 shown]
	s_cbranch_vccz .LBB124_34
.LBB124_4:                              ; =>This Inner Loop Header: Depth=1
	s_wait_xcnt 0x3
	v_add_nc_u64_e32 v[42:43], s[20:21], v[0:1]
	v_mov_b64_e32 v[56:57], 0
	v_add_nc_u64_e32 v[40:41], s[12:13], v[8:9]
	s_wait_xcnt 0x2
	v_mov_b64_e32 v[54:55], 0
	s_delay_alu instid0(VALU_DEP_4)
	v_cmp_lt_u64_e32 vcc_lo, v[42:43], v[6:7]
	v_mov_b64_e32 v[42:43], 0
	s_wait_xcnt 0x0
	s_and_saveexec_b32 s2, vcc_lo
	s_cbranch_execz .LBB124_6
; %bb.5:                                ;   in Loop: Header=BB124_4 Depth=1
	v_add_nc_u64_e32 v[44:45], s[12:13], v[10:11]
	global_load_b64 v[42:43], v[40:41], off
	global_load_b64 v[54:55], v[44:45], off
.LBB124_6:                              ;   in Loop: Header=BB124_4 Depth=1
	s_wait_xcnt 0x0
	s_or_b32 exec_lo, exec_lo, s2
	s_and_saveexec_b32 s2, vcc_lo
	s_cbranch_execz .LBB124_8
; %bb.7:                                ;   in Loop: Header=BB124_4 Depth=1
	v_add_nc_u64_e32 v[44:45], s[12:13], v[12:13]
	global_load_b64 v[56:57], v[44:45], off
.LBB124_8:                              ;   in Loop: Header=BB124_4 Depth=1
	s_wait_xcnt 0x0
	s_or_b32 exec_lo, exec_lo, s2
	v_add_nc_u64_e32 v[44:45], s[20:21], v[14:15]
	v_mov_b64_e32 v[70:71], 0
	v_mov_b64_e32 v[62:63], 0
	;; [unrolled: 1-line block ×3, first 2 shown]
	s_delay_alu instid0(VALU_DEP_4)
	v_cmp_lt_u64_e32 vcc_lo, v[44:45], v[6:7]
	s_and_saveexec_b32 s2, vcc_lo
	s_cbranch_execz .LBB124_10
; %bb.9:                                ;   in Loop: Header=BB124_4 Depth=1
	v_add_nc_u64_e32 v[44:45], s[12:13], v[34:35]
	v_add_nc_u64_e32 v[48:49], s[12:13], v[36:37]
	global_load_b64 v[46:47], v[44:45], off
	global_load_b64 v[62:63], v[48:49], off
.LBB124_10:                             ;   in Loop: Header=BB124_4 Depth=1
	s_wait_xcnt 0x0
	s_or_b32 exec_lo, exec_lo, s2
	s_and_saveexec_b32 s2, vcc_lo
	s_cbranch_execz .LBB124_12
; %bb.11:                               ;   in Loop: Header=BB124_4 Depth=1
	v_add_nc_u64_e32 v[44:45], s[12:13], v[38:39]
	global_load_b64 v[70:71], v[44:45], off
.LBB124_12:                             ;   in Loop: Header=BB124_4 Depth=1
	s_wait_xcnt 0x0
	s_or_b32 exec_lo, exec_lo, s2
	v_add_nc_u64_e32 v[48:49], s[20:21], v[32:33]
	v_mov_b64_e32 v[68:69], 0
	v_add_nc_u64_e32 v[44:45], s[12:13], v[20:21]
	v_mov_b64_e32 v[66:67], 0
	v_mov_b64_e32 v[50:51], 0
	v_cmp_lt_u64_e32 vcc_lo, v[48:49], v[6:7]
	s_and_saveexec_b32 s2, vcc_lo
	s_cbranch_execz .LBB124_14
; %bb.13:                               ;   in Loop: Header=BB124_4 Depth=1
	v_add_nc_u64_e32 v[48:49], s[12:13], v[22:23]
	global_load_b64 v[50:51], v[44:45], off
	global_load_b64 v[66:67], v[48:49], off
.LBB124_14:                             ;   in Loop: Header=BB124_4 Depth=1
	s_wait_xcnt 0x0
	s_or_b32 exec_lo, exec_lo, s2
	s_and_saveexec_b32 s2, vcc_lo
	s_cbranch_execz .LBB124_16
; %bb.15:                               ;   in Loop: Header=BB124_4 Depth=1
	v_add_nc_u64_e32 v[48:49], s[12:13], v[24:25]
	global_load_b64 v[68:69], v[48:49], off
.LBB124_16:                             ;   in Loop: Header=BB124_4 Depth=1
	s_wait_xcnt 0x0
	s_or_b32 exec_lo, exec_lo, s2
	v_add_nc_u64_e32 v[52:53], s[20:21], v[16:17]
	v_mov_b64_e32 v[60:61], 0
	v_add_nc_u64_e32 v[48:49], s[12:13], v[26:27]
	s_delay_alu instid0(VALU_DEP_3)
	v_cmp_lt_u64_e32 vcc_lo, v[52:53], v[6:7]
	v_mov_b64_e32 v[52:53], 0
	s_and_saveexec_b32 s2, vcc_lo
	s_cbranch_execz .LBB124_18
; %bb.17:                               ;   in Loop: Header=BB124_4 Depth=1
	v_add_nc_u64_e32 v[58:59], s[12:13], v[28:29]
	global_load_b64 v[52:53], v[48:49], off
	global_load_b64 v[60:61], v[58:59], off
.LBB124_18:                             ;   in Loop: Header=BB124_4 Depth=1
	s_wait_xcnt 0x0
	s_or_b32 exec_lo, exec_lo, s2
	v_add_nc_u64_e32 v[58:59], s[12:13], v[30:31]
	s_wait_loadcnt 0x0
	v_or_b32_e32 v5, v63, v71
	s_mov_b32 s2, exec_lo
	global_load_b64 v[64:65], v[58:59], off
                                        ; implicit-def: $vgpr58_vgpr59
	s_wait_xcnt 0x0
	v_cmpx_ne_u64_e32 0, v[4:5]
	s_xor_b32 s3, exec_lo, s2
	s_cbranch_execz .LBB124_20
; %bb.19:                               ;   in Loop: Header=BB124_4 Depth=1
	v_dual_mov_b32 v73, v4 :: v_dual_ashrrev_i32 v58, 31, v71
	v_dual_mov_b32 v81, v4 :: v_dual_mov_b32 v83, v4
	s_delay_alu instid0(VALU_DEP_2) | instskip(NEXT) | instid1(VALU_DEP_1)
	v_mov_b32_e32 v59, v58
	v_add_nc_u64_e32 v[70:71], v[70:71], v[58:59]
	s_delay_alu instid0(VALU_DEP_1) | instskip(NEXT) | instid1(VALU_DEP_2)
	v_xor_b32_e32 v70, v70, v58
	v_xor_b32_e32 v71, v71, v58
	s_delay_alu instid0(VALU_DEP_2) | instskip(NEXT) | instid1(VALU_DEP_2)
	v_cvt_f32_u32_e32 v5, v70
	v_cvt_f32_u32_e32 v59, v71
	s_delay_alu instid0(VALU_DEP_1) | instskip(NEXT) | instid1(VALU_DEP_1)
	v_fmac_f32_e32 v5, 0x4f800000, v59
	v_rcp_f32_e32 v5, v5
	v_nop
	s_delay_alu instid0(TRANS32_DEP_1) | instskip(NEXT) | instid1(VALU_DEP_1)
	v_mul_f32_e32 v5, 0x5f7ffffc, v5
	v_mul_f32_e32 v59, 0x2f800000, v5
	s_delay_alu instid0(VALU_DEP_1) | instskip(NEXT) | instid1(VALU_DEP_1)
	v_trunc_f32_e32 v59, v59
	v_fmac_f32_e32 v5, 0xcf800000, v59
	v_cvt_u32_f32_e32 v77, v59
	s_delay_alu instid0(VALU_DEP_2) | instskip(NEXT) | instid1(VALU_DEP_1)
	v_cvt_u32_f32_e32 v72, v5
	v_dual_mov_b32 v82, v77 :: v_dual_mov_b32 v76, v72
	v_sub_nc_u64_e32 v[74:75], 0, v[70:71]
	s_delay_alu instid0(VALU_DEP_1) | instskip(NEXT) | instid1(VALU_DEP_1)
	v_mul_u64_e32 v[78:79], v[74:75], v[76:77]
	v_dual_mov_b32 v80, v79 :: v_dual_mov_b32 v79, v4
	s_delay_alu instid0(VALU_DEP_1) | instskip(NEXT) | instid1(VALU_DEP_2)
	v_mul_u64_e32 v[84:85], v[72:73], v[80:81]
	v_mul_u64_e32 v[86:87], v[82:83], v[78:79]
	;; [unrolled: 1-line block ×3, first 2 shown]
	v_mul_hi_u32 v78, v72, v78
	s_delay_alu instid0(VALU_DEP_1) | instskip(SKIP_1) | instid1(VALU_DEP_2)
	v_add_nc_u64_e32 v[78:79], v[78:79], v[84:85]
	v_ashrrev_i32_e32 v84, 31, v63
	v_add_co_u32 v5, vcc_lo, v78, v86
	s_delay_alu instid0(VALU_DEP_3) | instskip(SKIP_1) | instid1(VALU_DEP_1)
	v_add_co_ci_u32_e32 v82, vcc_lo, v79, v87, vcc_lo
	v_add_co_ci_u32_e32 v81, vcc_lo, 0, v81, vcc_lo
	v_add_nc_u64_e32 v[78:79], v[82:83], v[80:81]
	s_delay_alu instid0(VALU_DEP_1) | instskip(NEXT) | instid1(VALU_DEP_1)
	v_add_co_u32 v72, vcc_lo, v72, v78
	v_add_co_ci_u32_e64 v76, null, v77, v79, vcc_lo
	v_dual_mov_b32 v79, v4 :: v_dual_mov_b32 v77, v4
	s_delay_alu instid0(VALU_DEP_2) | instskip(NEXT) | instid1(VALU_DEP_1)
	v_mov_b32_e32 v73, v76
	v_mul_u64_e32 v[74:75], v[74:75], v[72:73]
	s_delay_alu instid0(VALU_DEP_1) | instskip(NEXT) | instid1(VALU_DEP_2)
	v_dual_mov_b32 v73, v4 :: v_dual_mov_b32 v78, v75
	v_dual_mov_b32 v82, v74 :: v_dual_mov_b32 v75, v4
	v_mul_hi_u32 v74, v72, v74
	s_delay_alu instid0(VALU_DEP_3) | instskip(NEXT) | instid1(VALU_DEP_3)
	v_mul_u64_e32 v[80:81], v[72:73], v[78:79]
	v_mul_u64_e32 v[82:83], v[76:77], v[82:83]
	;; [unrolled: 1-line block ×3, first 2 shown]
	s_delay_alu instid0(VALU_DEP_3) | instskip(SKIP_2) | instid1(VALU_DEP_3)
	v_add_nc_u64_e32 v[74:75], v[74:75], v[80:81]
	v_dual_mov_b32 v81, v4 :: v_dual_mov_b32 v85, v84
	v_xor_b32_e32 v58, v84, v58
	v_add_co_u32 v5, vcc_lo, v74, v82
	s_delay_alu instid0(VALU_DEP_4) | instskip(SKIP_1) | instid1(VALU_DEP_1)
	v_add_co_ci_u32_e32 v80, vcc_lo, v75, v83, vcc_lo
	v_add_co_ci_u32_e32 v79, vcc_lo, 0, v79, vcc_lo
	v_add_nc_u64_e32 v[74:75], v[80:81], v[78:79]
	v_mov_b32_e32 v79, v4
	v_add_nc_u64_e32 v[62:63], v[62:63], v[84:85]
	s_delay_alu instid0(VALU_DEP_3) | instskip(NEXT) | instid1(VALU_DEP_2)
	v_add_co_u32 v74, vcc_lo, v72, v74
	v_xor_b32_e32 v78, v62, v84
	v_add_co_ci_u32_e64 v72, null, v76, v75, vcc_lo
	s_delay_alu instid0(VALU_DEP_4) | instskip(NEXT) | instid1(VALU_DEP_2)
	v_dual_mov_b32 v75, v4 :: v_dual_bitop2_b32 v76, v63, v84 bitop3:0x14
	v_mul_u64_e32 v[80:81], v[78:79], v[72:73]
	s_delay_alu instid0(VALU_DEP_2) | instskip(SKIP_1) | instid1(VALU_DEP_1)
	v_mul_u64_e32 v[62:63], v[76:77], v[74:75]
	v_mul_hi_u32 v74, v78, v74
	v_add_nc_u64_e32 v[74:75], v[74:75], v[80:81]
	v_mov_b32_e32 v81, v4
	v_mul_u64_e32 v[72:73], v[76:77], v[72:73]
	s_delay_alu instid0(VALU_DEP_3) | instskip(NEXT) | instid1(VALU_DEP_4)
	v_add_co_u32 v5, vcc_lo, v74, v62
	v_add_co_ci_u32_e32 v80, vcc_lo, v75, v63, vcc_lo
	s_delay_alu instid0(VALU_DEP_3) | instskip(NEXT) | instid1(VALU_DEP_1)
	v_add_co_ci_u32_e32 v73, vcc_lo, 0, v73, vcc_lo
	v_add_nc_u64_e32 v[62:63], v[80:81], v[72:73]
	s_delay_alu instid0(VALU_DEP_1) | instskip(SKIP_1) | instid1(VALU_DEP_2)
	v_mul_u64_e32 v[72:73], v[70:71], v[62:63]
	v_add_nc_u64_e32 v[74:75], 1, v[62:63]
	v_sub_nc_u32_e32 v5, v76, v73
	s_delay_alu instid0(VALU_DEP_3) | instskip(NEXT) | instid1(VALU_DEP_1)
	v_sub_co_u32 v59, vcc_lo, v78, v72
	v_sub_co_ci_u32_e64 v76, null, v76, v73, vcc_lo
	s_delay_alu instid0(VALU_DEP_3) | instskip(NEXT) | instid1(VALU_DEP_3)
	v_sub_co_ci_u32_e64 v5, null, v5, v71, vcc_lo
	v_sub_co_u32 v72, s2, v59, v70
	s_delay_alu instid0(VALU_DEP_1) | instskip(NEXT) | instid1(VALU_DEP_2)
	v_subrev_co_ci_u32_e64 v5, null, 0, v5, s2
	v_cmp_ge_u32_e32 vcc_lo, v72, v70
	v_cndmask_b32_e64 v72, 0, -1, vcc_lo
	s_delay_alu instid0(VALU_DEP_3)
	v_cmp_ge_u32_e32 vcc_lo, v5, v71
	v_cndmask_b32_e64 v73, 0, -1, vcc_lo
	v_cmp_ge_u32_e32 vcc_lo, v59, v70
	v_cndmask_b32_e64 v59, 0, -1, vcc_lo
	;; [unrolled: 2-line block ×3, first 2 shown]
	v_cmp_eq_u32_e32 vcc_lo, v5, v71
	v_cndmask_b32_e32 v5, v73, v72, vcc_lo
	v_cmp_eq_u32_e32 vcc_lo, v76, v71
	v_add_nc_u64_e32 v[72:73], 2, v[62:63]
	v_cndmask_b32_e32 v59, v70, v59, vcc_lo
	s_delay_alu instid0(VALU_DEP_4) | instskip(NEXT) | instid1(VALU_DEP_2)
	v_cmp_ne_u32_e32 vcc_lo, 0, v5
                                        ; implicit-def: $vgpr70_vgpr71
	v_cmp_ne_u32_e64 s2, 0, v59
	s_delay_alu instid0(VALU_DEP_4) | instskip(NEXT) | instid1(VALU_DEP_1)
	v_dual_cndmask_b32 v5, v75, v73, vcc_lo :: v_dual_cndmask_b32 v59, v74, v72, vcc_lo
	v_dual_cndmask_b32 v5, v63, v5, s2 :: v_dual_cndmask_b32 v62, v62, v59, s2
	s_delay_alu instid0(VALU_DEP_1) | instskip(NEXT) | instid1(VALU_DEP_2)
	v_dual_mov_b32 v59, v58 :: v_dual_bitop2_b32 v63, v5, v58 bitop3:0x14
	v_xor_b32_e32 v62, v62, v58
	s_delay_alu instid0(VALU_DEP_1)
	v_sub_nc_u64_e32 v[58:59], v[62:63], v[58:59]
                                        ; implicit-def: $vgpr62_vgpr63
.LBB124_20:                             ;   in Loop: Header=BB124_4 Depth=1
	s_and_not1_saveexec_b32 s2, s3
	s_cbranch_execz .LBB124_22
; %bb.21:                               ;   in Loop: Header=BB124_4 Depth=1
	v_cvt_f32_u32_e32 v5, v70
	v_sub_nc_u32_e32 v58, 0, v70
	s_delay_alu instid0(VALU_DEP_2) | instskip(SKIP_1) | instid1(TRANS32_DEP_1)
	v_rcp_iflag_f32_e32 v5, v5
	v_nop
	v_mul_f32_e32 v5, 0x4f7ffffe, v5
	s_delay_alu instid0(VALU_DEP_1) | instskip(NEXT) | instid1(VALU_DEP_1)
	v_cvt_u32_f32_e32 v5, v5
	v_mul_lo_u32 v58, v58, v5
	s_delay_alu instid0(VALU_DEP_1) | instskip(NEXT) | instid1(VALU_DEP_1)
	v_mul_hi_u32 v58, v5, v58
	v_add_nc_u32_e32 v5, v5, v58
	s_delay_alu instid0(VALU_DEP_1) | instskip(NEXT) | instid1(VALU_DEP_1)
	v_mul_hi_u32 v5, v62, v5
	v_mul_lo_u32 v58, v5, v70
	s_delay_alu instid0(VALU_DEP_1) | instskip(NEXT) | instid1(VALU_DEP_1)
	v_dual_sub_nc_u32 v58, v62, v58 :: v_dual_add_nc_u32 v59, 1, v5
	v_sub_nc_u32_e32 v62, v58, v70
	v_cmp_ge_u32_e32 vcc_lo, v58, v70
	s_delay_alu instid0(VALU_DEP_2) | instskip(NEXT) | instid1(VALU_DEP_1)
	v_dual_cndmask_b32 v58, v58, v62 :: v_dual_cndmask_b32 v5, v5, v59
	v_cmp_ge_u32_e32 vcc_lo, v58, v70
	s_delay_alu instid0(VALU_DEP_2) | instskip(NEXT) | instid1(VALU_DEP_1)
	v_add_nc_u32_e32 v59, 1, v5
	v_dual_cndmask_b32 v58, v5, v59 :: v_dual_mov_b32 v59, v4
.LBB124_22:                             ;   in Loop: Header=BB124_4 Depth=1
	s_or_b32 exec_lo, exec_lo, s2
	v_or_b32_e32 v5, v67, v69
                                        ; implicit-def: $vgpr62_vgpr63
	s_mov_b32 s2, exec_lo
	s_delay_alu instid0(VALU_DEP_1)
	v_cmpx_ne_u64_e32 0, v[4:5]
	s_xor_b32 s3, exec_lo, s2
	s_cbranch_execz .LBB124_24
; %bb.23:                               ;   in Loop: Header=BB124_4 Depth=1
	v_dual_mov_b32 v71, v4 :: v_dual_ashrrev_i32 v62, 31, v69
	v_dual_mov_b32 v79, v4 :: v_dual_mov_b32 v81, v4
	s_delay_alu instid0(VALU_DEP_2) | instskip(NEXT) | instid1(VALU_DEP_1)
	v_mov_b32_e32 v63, v62
	v_add_nc_u64_e32 v[68:69], v[68:69], v[62:63]
	s_delay_alu instid0(VALU_DEP_1) | instskip(NEXT) | instid1(VALU_DEP_2)
	v_xor_b32_e32 v68, v68, v62
	v_xor_b32_e32 v69, v69, v62
	s_delay_alu instid0(VALU_DEP_2) | instskip(NEXT) | instid1(VALU_DEP_2)
	v_cvt_f32_u32_e32 v5, v68
	v_cvt_f32_u32_e32 v63, v69
	s_delay_alu instid0(VALU_DEP_1) | instskip(NEXT) | instid1(VALU_DEP_1)
	v_fmac_f32_e32 v5, 0x4f800000, v63
	v_rcp_f32_e32 v5, v5
	v_nop
	s_delay_alu instid0(TRANS32_DEP_1) | instskip(NEXT) | instid1(VALU_DEP_1)
	v_mul_f32_e32 v5, 0x5f7ffffc, v5
	v_mul_f32_e32 v63, 0x2f800000, v5
	s_delay_alu instid0(VALU_DEP_1) | instskip(NEXT) | instid1(VALU_DEP_1)
	v_trunc_f32_e32 v63, v63
	v_fmac_f32_e32 v5, 0xcf800000, v63
	v_cvt_u32_f32_e32 v75, v63
	s_delay_alu instid0(VALU_DEP_2) | instskip(NEXT) | instid1(VALU_DEP_1)
	v_cvt_u32_f32_e32 v70, v5
	v_dual_mov_b32 v80, v75 :: v_dual_mov_b32 v74, v70
	v_sub_nc_u64_e32 v[72:73], 0, v[68:69]
	s_delay_alu instid0(VALU_DEP_1) | instskip(NEXT) | instid1(VALU_DEP_1)
	v_mul_u64_e32 v[76:77], v[72:73], v[74:75]
	v_dual_mov_b32 v78, v77 :: v_dual_mov_b32 v77, v4
	s_delay_alu instid0(VALU_DEP_1) | instskip(NEXT) | instid1(VALU_DEP_2)
	v_mul_u64_e32 v[82:83], v[70:71], v[78:79]
	v_mul_u64_e32 v[84:85], v[80:81], v[76:77]
	;; [unrolled: 1-line block ×3, first 2 shown]
	v_mul_hi_u32 v76, v70, v76
	s_delay_alu instid0(VALU_DEP_1) | instskip(SKIP_1) | instid1(VALU_DEP_2)
	v_add_nc_u64_e32 v[76:77], v[76:77], v[82:83]
	v_ashrrev_i32_e32 v82, 31, v67
	v_add_co_u32 v5, vcc_lo, v76, v84
	s_delay_alu instid0(VALU_DEP_3) | instskip(SKIP_1) | instid1(VALU_DEP_1)
	v_add_co_ci_u32_e32 v80, vcc_lo, v77, v85, vcc_lo
	v_add_co_ci_u32_e32 v79, vcc_lo, 0, v79, vcc_lo
	v_add_nc_u64_e32 v[76:77], v[80:81], v[78:79]
	s_delay_alu instid0(VALU_DEP_1) | instskip(NEXT) | instid1(VALU_DEP_1)
	v_add_co_u32 v70, vcc_lo, v70, v76
	v_add_co_ci_u32_e64 v74, null, v75, v77, vcc_lo
	v_dual_mov_b32 v77, v4 :: v_dual_mov_b32 v75, v4
	s_delay_alu instid0(VALU_DEP_2) | instskip(NEXT) | instid1(VALU_DEP_1)
	v_mov_b32_e32 v71, v74
	v_mul_u64_e32 v[72:73], v[72:73], v[70:71]
	s_delay_alu instid0(VALU_DEP_1) | instskip(NEXT) | instid1(VALU_DEP_2)
	v_dual_mov_b32 v71, v4 :: v_dual_mov_b32 v76, v73
	v_dual_mov_b32 v80, v72 :: v_dual_mov_b32 v73, v4
	v_mul_hi_u32 v72, v70, v72
	s_delay_alu instid0(VALU_DEP_3) | instskip(NEXT) | instid1(VALU_DEP_3)
	v_mul_u64_e32 v[78:79], v[70:71], v[76:77]
	v_mul_u64_e32 v[80:81], v[74:75], v[80:81]
	;; [unrolled: 1-line block ×3, first 2 shown]
	s_delay_alu instid0(VALU_DEP_3) | instskip(SKIP_2) | instid1(VALU_DEP_3)
	v_add_nc_u64_e32 v[72:73], v[72:73], v[78:79]
	v_dual_mov_b32 v79, v4 :: v_dual_mov_b32 v83, v82
	v_xor_b32_e32 v62, v82, v62
	v_add_co_u32 v5, vcc_lo, v72, v80
	s_delay_alu instid0(VALU_DEP_4) | instskip(SKIP_1) | instid1(VALU_DEP_1)
	v_add_co_ci_u32_e32 v78, vcc_lo, v73, v81, vcc_lo
	v_add_co_ci_u32_e32 v77, vcc_lo, 0, v77, vcc_lo
	v_add_nc_u64_e32 v[72:73], v[78:79], v[76:77]
	v_mov_b32_e32 v77, v4
	v_add_nc_u64_e32 v[66:67], v[66:67], v[82:83]
	s_delay_alu instid0(VALU_DEP_3) | instskip(NEXT) | instid1(VALU_DEP_2)
	v_add_co_u32 v72, vcc_lo, v70, v72
	v_xor_b32_e32 v76, v66, v82
	v_add_co_ci_u32_e64 v70, null, v74, v73, vcc_lo
	s_delay_alu instid0(VALU_DEP_4) | instskip(NEXT) | instid1(VALU_DEP_2)
	v_dual_mov_b32 v73, v4 :: v_dual_bitop2_b32 v74, v67, v82 bitop3:0x14
	v_mul_u64_e32 v[78:79], v[76:77], v[70:71]
	s_delay_alu instid0(VALU_DEP_2) | instskip(SKIP_1) | instid1(VALU_DEP_1)
	v_mul_u64_e32 v[66:67], v[74:75], v[72:73]
	v_mul_hi_u32 v72, v76, v72
	v_add_nc_u64_e32 v[72:73], v[72:73], v[78:79]
	v_mov_b32_e32 v79, v4
	v_mul_u64_e32 v[70:71], v[74:75], v[70:71]
	s_delay_alu instid0(VALU_DEP_3) | instskip(NEXT) | instid1(VALU_DEP_4)
	v_add_co_u32 v5, vcc_lo, v72, v66
	v_add_co_ci_u32_e32 v78, vcc_lo, v73, v67, vcc_lo
	s_delay_alu instid0(VALU_DEP_3) | instskip(NEXT) | instid1(VALU_DEP_1)
	v_add_co_ci_u32_e32 v71, vcc_lo, 0, v71, vcc_lo
	v_add_nc_u64_e32 v[66:67], v[78:79], v[70:71]
	s_delay_alu instid0(VALU_DEP_1) | instskip(SKIP_1) | instid1(VALU_DEP_2)
	v_mul_u64_e32 v[70:71], v[68:69], v[66:67]
	v_add_nc_u64_e32 v[72:73], 1, v[66:67]
	v_sub_nc_u32_e32 v5, v74, v71
	s_delay_alu instid0(VALU_DEP_3) | instskip(NEXT) | instid1(VALU_DEP_1)
	v_sub_co_u32 v63, vcc_lo, v76, v70
	v_sub_co_ci_u32_e64 v74, null, v74, v71, vcc_lo
	s_delay_alu instid0(VALU_DEP_3) | instskip(NEXT) | instid1(VALU_DEP_3)
	v_sub_co_ci_u32_e64 v5, null, v5, v69, vcc_lo
	v_sub_co_u32 v70, s2, v63, v68
	s_delay_alu instid0(VALU_DEP_1) | instskip(NEXT) | instid1(VALU_DEP_2)
	v_subrev_co_ci_u32_e64 v5, null, 0, v5, s2
	v_cmp_ge_u32_e32 vcc_lo, v70, v68
	v_cndmask_b32_e64 v70, 0, -1, vcc_lo
	s_delay_alu instid0(VALU_DEP_3)
	v_cmp_ge_u32_e32 vcc_lo, v5, v69
	v_cndmask_b32_e64 v71, 0, -1, vcc_lo
	v_cmp_ge_u32_e32 vcc_lo, v63, v68
	v_cndmask_b32_e64 v63, 0, -1, vcc_lo
	;; [unrolled: 2-line block ×3, first 2 shown]
	v_cmp_eq_u32_e32 vcc_lo, v5, v69
	v_cndmask_b32_e32 v5, v71, v70, vcc_lo
	v_cmp_eq_u32_e32 vcc_lo, v74, v69
	v_add_nc_u64_e32 v[70:71], 2, v[66:67]
	v_cndmask_b32_e32 v63, v68, v63, vcc_lo
	s_delay_alu instid0(VALU_DEP_4) | instskip(NEXT) | instid1(VALU_DEP_2)
	v_cmp_ne_u32_e32 vcc_lo, 0, v5
                                        ; implicit-def: $vgpr68_vgpr69
	v_cmp_ne_u32_e64 s2, 0, v63
	s_delay_alu instid0(VALU_DEP_4) | instskip(NEXT) | instid1(VALU_DEP_1)
	v_dual_cndmask_b32 v5, v73, v71, vcc_lo :: v_dual_cndmask_b32 v63, v72, v70, vcc_lo
	v_dual_cndmask_b32 v5, v67, v5, s2 :: v_dual_cndmask_b32 v66, v66, v63, s2
	s_delay_alu instid0(VALU_DEP_1) | instskip(NEXT) | instid1(VALU_DEP_2)
	v_dual_mov_b32 v63, v62 :: v_dual_bitop2_b32 v67, v5, v62 bitop3:0x14
	v_xor_b32_e32 v66, v66, v62
	s_delay_alu instid0(VALU_DEP_1)
	v_sub_nc_u64_e32 v[62:63], v[66:67], v[62:63]
                                        ; implicit-def: $vgpr66_vgpr67
.LBB124_24:                             ;   in Loop: Header=BB124_4 Depth=1
	s_and_not1_saveexec_b32 s2, s3
	s_cbranch_execz .LBB124_26
; %bb.25:                               ;   in Loop: Header=BB124_4 Depth=1
	v_cvt_f32_u32_e32 v5, v68
	v_sub_nc_u32_e32 v62, 0, v68
	s_delay_alu instid0(VALU_DEP_2) | instskip(SKIP_1) | instid1(TRANS32_DEP_1)
	v_rcp_iflag_f32_e32 v5, v5
	v_nop
	v_mul_f32_e32 v5, 0x4f7ffffe, v5
	s_delay_alu instid0(VALU_DEP_1) | instskip(NEXT) | instid1(VALU_DEP_1)
	v_cvt_u32_f32_e32 v5, v5
	v_mul_lo_u32 v62, v62, v5
	s_delay_alu instid0(VALU_DEP_1) | instskip(NEXT) | instid1(VALU_DEP_1)
	v_mul_hi_u32 v62, v5, v62
	v_add_nc_u32_e32 v5, v5, v62
	s_delay_alu instid0(VALU_DEP_1) | instskip(NEXT) | instid1(VALU_DEP_1)
	v_mul_hi_u32 v5, v66, v5
	v_mul_lo_u32 v62, v5, v68
	s_delay_alu instid0(VALU_DEP_1) | instskip(NEXT) | instid1(VALU_DEP_1)
	v_dual_sub_nc_u32 v62, v66, v62 :: v_dual_add_nc_u32 v63, 1, v5
	v_sub_nc_u32_e32 v66, v62, v68
	v_cmp_ge_u32_e32 vcc_lo, v62, v68
	s_delay_alu instid0(VALU_DEP_2) | instskip(NEXT) | instid1(VALU_DEP_1)
	v_dual_cndmask_b32 v62, v62, v66 :: v_dual_cndmask_b32 v5, v5, v63
	v_cmp_ge_u32_e32 vcc_lo, v62, v68
	s_delay_alu instid0(VALU_DEP_2) | instskip(NEXT) | instid1(VALU_DEP_1)
	v_add_nc_u32_e32 v63, 1, v5
	v_dual_cndmask_b32 v62, v5, v63 :: v_dual_mov_b32 v63, v4
.LBB124_26:                             ;   in Loop: Header=BB124_4 Depth=1
	s_or_b32 exec_lo, exec_lo, s2
	s_wait_loadcnt 0x0
	v_or_b32_e32 v5, v61, v65
                                        ; implicit-def: $vgpr66_vgpr67
	s_mov_b32 s2, exec_lo
	s_delay_alu instid0(VALU_DEP_1)
	v_cmpx_ne_u64_e32 0, v[4:5]
	s_xor_b32 s3, exec_lo, s2
	s_cbranch_execz .LBB124_28
; %bb.27:                               ;   in Loop: Header=BB124_4 Depth=1
	v_dual_mov_b32 v69, v4 :: v_dual_ashrrev_i32 v66, 31, v65
	v_dual_mov_b32 v77, v4 :: v_dual_mov_b32 v79, v4
	s_delay_alu instid0(VALU_DEP_2) | instskip(NEXT) | instid1(VALU_DEP_1)
	v_mov_b32_e32 v67, v66
	v_add_nc_u64_e32 v[64:65], v[64:65], v[66:67]
	s_delay_alu instid0(VALU_DEP_1) | instskip(NEXT) | instid1(VALU_DEP_2)
	v_xor_b32_e32 v64, v64, v66
	v_xor_b32_e32 v65, v65, v66
	s_delay_alu instid0(VALU_DEP_2) | instskip(NEXT) | instid1(VALU_DEP_2)
	v_cvt_f32_u32_e32 v5, v64
	v_cvt_f32_u32_e32 v67, v65
	s_delay_alu instid0(VALU_DEP_1) | instskip(NEXT) | instid1(VALU_DEP_1)
	v_fmac_f32_e32 v5, 0x4f800000, v67
	v_rcp_f32_e32 v5, v5
	v_nop
	s_delay_alu instid0(TRANS32_DEP_1) | instskip(NEXT) | instid1(VALU_DEP_1)
	v_mul_f32_e32 v5, 0x5f7ffffc, v5
	v_mul_f32_e32 v67, 0x2f800000, v5
	s_delay_alu instid0(VALU_DEP_1) | instskip(NEXT) | instid1(VALU_DEP_1)
	v_trunc_f32_e32 v67, v67
	v_fmac_f32_e32 v5, 0xcf800000, v67
	v_cvt_u32_f32_e32 v73, v67
	s_delay_alu instid0(VALU_DEP_2) | instskip(NEXT) | instid1(VALU_DEP_1)
	v_cvt_u32_f32_e32 v68, v5
	v_dual_mov_b32 v78, v73 :: v_dual_mov_b32 v72, v68
	v_sub_nc_u64_e32 v[70:71], 0, v[64:65]
	s_delay_alu instid0(VALU_DEP_1) | instskip(NEXT) | instid1(VALU_DEP_1)
	v_mul_u64_e32 v[74:75], v[70:71], v[72:73]
	v_dual_mov_b32 v76, v75 :: v_dual_mov_b32 v75, v4
	s_delay_alu instid0(VALU_DEP_1) | instskip(NEXT) | instid1(VALU_DEP_2)
	v_mul_u64_e32 v[80:81], v[68:69], v[76:77]
	v_mul_u64_e32 v[82:83], v[78:79], v[74:75]
	;; [unrolled: 1-line block ×3, first 2 shown]
	v_mul_hi_u32 v74, v68, v74
	s_delay_alu instid0(VALU_DEP_1) | instskip(SKIP_1) | instid1(VALU_DEP_2)
	v_add_nc_u64_e32 v[74:75], v[74:75], v[80:81]
	v_ashrrev_i32_e32 v80, 31, v61
	v_add_co_u32 v5, vcc_lo, v74, v82
	s_delay_alu instid0(VALU_DEP_3) | instskip(SKIP_1) | instid1(VALU_DEP_1)
	v_add_co_ci_u32_e32 v78, vcc_lo, v75, v83, vcc_lo
	v_add_co_ci_u32_e32 v77, vcc_lo, 0, v77, vcc_lo
	v_add_nc_u64_e32 v[74:75], v[78:79], v[76:77]
	s_delay_alu instid0(VALU_DEP_1) | instskip(NEXT) | instid1(VALU_DEP_1)
	v_add_co_u32 v68, vcc_lo, v68, v74
	v_add_co_ci_u32_e64 v72, null, v73, v75, vcc_lo
	v_dual_mov_b32 v75, v4 :: v_dual_mov_b32 v73, v4
	s_delay_alu instid0(VALU_DEP_2) | instskip(NEXT) | instid1(VALU_DEP_1)
	v_mov_b32_e32 v69, v72
	v_mul_u64_e32 v[70:71], v[70:71], v[68:69]
	s_delay_alu instid0(VALU_DEP_1) | instskip(NEXT) | instid1(VALU_DEP_2)
	v_dual_mov_b32 v69, v4 :: v_dual_mov_b32 v74, v71
	v_dual_mov_b32 v78, v70 :: v_dual_mov_b32 v71, v4
	v_mul_hi_u32 v70, v68, v70
	s_delay_alu instid0(VALU_DEP_3) | instskip(NEXT) | instid1(VALU_DEP_3)
	v_mul_u64_e32 v[76:77], v[68:69], v[74:75]
	v_mul_u64_e32 v[78:79], v[72:73], v[78:79]
	;; [unrolled: 1-line block ×3, first 2 shown]
	s_delay_alu instid0(VALU_DEP_3) | instskip(SKIP_1) | instid1(VALU_DEP_2)
	v_add_nc_u64_e32 v[70:71], v[70:71], v[76:77]
	v_dual_mov_b32 v77, v4 :: v_dual_mov_b32 v81, v80
	v_add_co_u32 v5, vcc_lo, v70, v78
	s_delay_alu instid0(VALU_DEP_3) | instskip(SKIP_1) | instid1(VALU_DEP_1)
	v_add_co_ci_u32_e32 v76, vcc_lo, v71, v79, vcc_lo
	v_add_co_ci_u32_e32 v75, vcc_lo, 0, v75, vcc_lo
	v_add_nc_u64_e32 v[70:71], v[76:77], v[74:75]
	v_mov_b32_e32 v75, v4
	v_add_nc_u64_e32 v[60:61], v[60:61], v[80:81]
	s_delay_alu instid0(VALU_DEP_3) | instskip(NEXT) | instid1(VALU_DEP_2)
	v_add_co_u32 v70, vcc_lo, v68, v70
	v_xor_b32_e32 v74, v60, v80
	v_add_co_ci_u32_e64 v68, null, v72, v71, vcc_lo
	s_delay_alu instid0(VALU_DEP_4) | instskip(NEXT) | instid1(VALU_DEP_2)
	v_dual_mov_b32 v71, v4 :: v_dual_bitop2_b32 v72, v61, v80 bitop3:0x14
	v_mul_u64_e32 v[76:77], v[74:75], v[68:69]
	s_delay_alu instid0(VALU_DEP_2) | instskip(SKIP_2) | instid1(VALU_DEP_1)
	v_mul_u64_e32 v[60:61], v[72:73], v[70:71]
	v_mul_u64_e32 v[68:69], v[72:73], v[68:69]
	v_mul_hi_u32 v70, v74, v70
	v_add_nc_u64_e32 v[70:71], v[70:71], v[76:77]
	v_mov_b32_e32 v77, v4
	s_delay_alu instid0(VALU_DEP_2) | instskip(NEXT) | instid1(VALU_DEP_3)
	v_add_co_u32 v5, vcc_lo, v70, v60
	v_add_co_ci_u32_e32 v76, vcc_lo, v71, v61, vcc_lo
	v_add_co_ci_u32_e32 v69, vcc_lo, 0, v69, vcc_lo
	s_delay_alu instid0(VALU_DEP_1) | instskip(NEXT) | instid1(VALU_DEP_1)
	v_add_nc_u64_e32 v[60:61], v[76:77], v[68:69]
	v_mul_u64_e32 v[68:69], v[64:65], v[60:61]
	v_add_nc_u64_e32 v[70:71], 1, v[60:61]
	s_delay_alu instid0(VALU_DEP_2) | instskip(NEXT) | instid1(VALU_DEP_3)
	v_sub_nc_u32_e32 v5, v72, v69
	v_sub_co_u32 v67, vcc_lo, v74, v68
	s_delay_alu instid0(VALU_DEP_1) | instskip(NEXT) | instid1(VALU_DEP_3)
	v_sub_co_ci_u32_e64 v72, null, v72, v69, vcc_lo
	v_sub_co_ci_u32_e64 v5, null, v5, v65, vcc_lo
	s_delay_alu instid0(VALU_DEP_3) | instskip(NEXT) | instid1(VALU_DEP_1)
	v_sub_co_u32 v68, s2, v67, v64
	v_subrev_co_ci_u32_e64 v5, null, 0, v5, s2
	s_delay_alu instid0(VALU_DEP_2) | instskip(SKIP_1) | instid1(VALU_DEP_3)
	v_cmp_ge_u32_e32 vcc_lo, v68, v64
	v_cndmask_b32_e64 v68, 0, -1, vcc_lo
	v_cmp_ge_u32_e32 vcc_lo, v5, v65
	v_cndmask_b32_e64 v69, 0, -1, vcc_lo
	v_cmp_ge_u32_e32 vcc_lo, v67, v64
	v_cndmask_b32_e64 v64, 0, -1, vcc_lo
	v_cmp_ge_u32_e32 vcc_lo, v72, v65
	v_cndmask_b32_e64 v67, 0, -1, vcc_lo
	v_cmp_eq_u32_e32 vcc_lo, v5, v65
	v_cndmask_b32_e32 v5, v69, v68, vcc_lo
	v_cmp_eq_u32_e32 vcc_lo, v72, v65
	v_add_nc_u64_e32 v[68:69], 2, v[60:61]
	v_cndmask_b32_e32 v64, v67, v64, vcc_lo
	s_delay_alu instid0(VALU_DEP_4) | instskip(NEXT) | instid1(VALU_DEP_2)
	v_cmp_ne_u32_e32 vcc_lo, 0, v5
	v_cmp_ne_u32_e64 s2, 0, v64
	s_delay_alu instid0(VALU_DEP_4) | instskip(NEXT) | instid1(VALU_DEP_1)
	v_dual_cndmask_b32 v5, v71, v69, vcc_lo :: v_dual_cndmask_b32 v65, v70, v68, vcc_lo
	v_dual_cndmask_b32 v5, v61, v5, s2 :: v_dual_bitop2_b32 v64, v80, v66 bitop3:0x14
	s_delay_alu instid0(VALU_DEP_2) | instskip(NEXT) | instid1(VALU_DEP_2)
	v_cndmask_b32_e64 v60, v60, v65, s2
	v_dual_mov_b32 v65, v64 :: v_dual_bitop2_b32 v61, v5, v64 bitop3:0x14
	s_delay_alu instid0(VALU_DEP_2) | instskip(NEXT) | instid1(VALU_DEP_1)
	v_xor_b32_e32 v60, v60, v64
	v_sub_nc_u64_e32 v[66:67], v[60:61], v[64:65]
                                        ; implicit-def: $vgpr64_vgpr65
                                        ; implicit-def: $vgpr60_vgpr61
.LBB124_28:                             ;   in Loop: Header=BB124_4 Depth=1
	s_and_not1_saveexec_b32 s2, s3
	s_cbranch_execz .LBB124_30
; %bb.29:                               ;   in Loop: Header=BB124_4 Depth=1
	v_cvt_f32_u32_e32 v5, v64
	v_dual_sub_nc_u32 v61, 0, v64 :: v_dual_mov_b32 v67, v4
	s_delay_alu instid0(VALU_DEP_2) | instskip(SKIP_1) | instid1(TRANS32_DEP_1)
	v_rcp_iflag_f32_e32 v5, v5
	v_nop
	v_mul_f32_e32 v5, 0x4f7ffffe, v5
	s_delay_alu instid0(VALU_DEP_1) | instskip(NEXT) | instid1(VALU_DEP_1)
	v_cvt_u32_f32_e32 v5, v5
	v_mul_lo_u32 v61, v61, v5
	s_delay_alu instid0(VALU_DEP_1) | instskip(NEXT) | instid1(VALU_DEP_1)
	v_mul_hi_u32 v61, v5, v61
	v_add_nc_u32_e32 v5, v5, v61
	s_delay_alu instid0(VALU_DEP_1) | instskip(NEXT) | instid1(VALU_DEP_1)
	v_mul_hi_u32 v5, v60, v5
	v_mul_lo_u32 v61, v5, v64
	s_delay_alu instid0(VALU_DEP_1) | instskip(NEXT) | instid1(VALU_DEP_1)
	v_sub_nc_u32_e32 v60, v60, v61
	v_dual_add_nc_u32 v61, 1, v5 :: v_dual_sub_nc_u32 v65, v60, v64
	v_cmp_ge_u32_e32 vcc_lo, v60, v64
	s_delay_alu instid0(VALU_DEP_2) | instskip(NEXT) | instid1(VALU_DEP_3)
	v_cndmask_b32_e32 v60, v60, v65, vcc_lo
	v_cndmask_b32_e32 v5, v5, v61, vcc_lo
	s_delay_alu instid0(VALU_DEP_2) | instskip(NEXT) | instid1(VALU_DEP_2)
	v_cmp_ge_u32_e32 vcc_lo, v60, v64
	v_add_nc_u32_e32 v61, 1, v5
	s_delay_alu instid0(VALU_DEP_1)
	v_cndmask_b32_e32 v66, v5, v61, vcc_lo
.LBB124_30:                             ;   in Loop: Header=BB124_4 Depth=1
	s_or_b32 exec_lo, exec_lo, s2
	v_or_b32_e32 v5, v55, v57
                                        ; implicit-def: $vgpr60_vgpr61
	s_mov_b32 s2, exec_lo
	s_delay_alu instid0(VALU_DEP_1)
	v_cmpx_ne_u64_e32 0, v[4:5]
	s_xor_b32 s3, exec_lo, s2
	s_cbranch_execz .LBB124_32
; %bb.31:                               ;   in Loop: Header=BB124_4 Depth=1
	v_dual_mov_b32 v65, v4 :: v_dual_ashrrev_i32 v60, 31, v57
	v_dual_mov_b32 v75, v4 :: v_dual_mov_b32 v77, v4
	s_delay_alu instid0(VALU_DEP_2) | instskip(NEXT) | instid1(VALU_DEP_1)
	v_mov_b32_e32 v61, v60
	v_add_nc_u64_e32 v[56:57], v[56:57], v[60:61]
	s_delay_alu instid0(VALU_DEP_1) | instskip(NEXT) | instid1(VALU_DEP_2)
	v_xor_b32_e32 v56, v56, v60
	v_xor_b32_e32 v57, v57, v60
	s_delay_alu instid0(VALU_DEP_2) | instskip(NEXT) | instid1(VALU_DEP_2)
	v_cvt_f32_u32_e32 v5, v56
	v_cvt_f32_u32_e32 v61, v57
	v_sub_nc_u64_e32 v[68:69], 0, v[56:57]
	s_delay_alu instid0(VALU_DEP_2) | instskip(NEXT) | instid1(VALU_DEP_1)
	v_fmac_f32_e32 v5, 0x4f800000, v61
	v_rcp_f32_e32 v5, v5
	v_nop
	s_delay_alu instid0(TRANS32_DEP_1) | instskip(NEXT) | instid1(VALU_DEP_1)
	v_mul_f32_e32 v5, 0x5f7ffffc, v5
	v_mul_f32_e32 v61, 0x2f800000, v5
	s_delay_alu instid0(VALU_DEP_1) | instskip(NEXT) | instid1(VALU_DEP_1)
	v_trunc_f32_e32 v61, v61
	v_fmac_f32_e32 v5, 0xcf800000, v61
	v_cvt_u32_f32_e32 v71, v61
	s_delay_alu instid0(VALU_DEP_2) | instskip(NEXT) | instid1(VALU_DEP_1)
	v_cvt_u32_f32_e32 v64, v5
	v_dual_mov_b32 v76, v71 :: v_dual_mov_b32 v70, v64
	s_delay_alu instid0(VALU_DEP_1) | instskip(NEXT) | instid1(VALU_DEP_1)
	v_mul_u64_e32 v[72:73], v[68:69], v[70:71]
	v_dual_mov_b32 v74, v73 :: v_dual_mov_b32 v73, v4
	s_delay_alu instid0(VALU_DEP_1) | instskip(NEXT) | instid1(VALU_DEP_2)
	v_mul_u64_e32 v[78:79], v[64:65], v[74:75]
	v_mul_u64_e32 v[80:81], v[76:77], v[72:73]
	;; [unrolled: 1-line block ×3, first 2 shown]
	v_mul_hi_u32 v72, v64, v72
	s_delay_alu instid0(VALU_DEP_1) | instskip(SKIP_1) | instid1(VALU_DEP_1)
	v_add_nc_u64_e32 v[72:73], v[72:73], v[78:79]
	v_ashrrev_i32_e32 v78, 31, v55
	v_mov_b32_e32 v79, v78
	s_delay_alu instid0(VALU_DEP_3) | instskip(NEXT) | instid1(VALU_DEP_4)
	v_add_co_u32 v5, vcc_lo, v72, v80
	v_add_co_ci_u32_e32 v76, vcc_lo, v73, v81, vcc_lo
	v_add_co_ci_u32_e32 v75, vcc_lo, 0, v75, vcc_lo
	s_delay_alu instid0(VALU_DEP_1) | instskip(NEXT) | instid1(VALU_DEP_1)
	v_add_nc_u64_e32 v[72:73], v[76:77], v[74:75]
	v_add_co_u32 v64, vcc_lo, v64, v72
	s_delay_alu instid0(VALU_DEP_1) | instskip(SKIP_1) | instid1(VALU_DEP_2)
	v_add_co_ci_u32_e64 v70, null, v71, v73, vcc_lo
	v_dual_mov_b32 v73, v4 :: v_dual_mov_b32 v71, v4
	v_mov_b32_e32 v65, v70
	s_delay_alu instid0(VALU_DEP_1) | instskip(NEXT) | instid1(VALU_DEP_1)
	v_mul_u64_e32 v[68:69], v[68:69], v[64:65]
	v_dual_mov_b32 v65, v4 :: v_dual_mov_b32 v72, v69
	s_delay_alu instid0(VALU_DEP_2) | instskip(SKIP_2) | instid1(VALU_DEP_4)
	v_mov_b32_e32 v76, v68
	v_mul_hi_u32 v68, v64, v68
	v_mov_b32_e32 v69, v4
	v_mul_u64_e32 v[74:75], v[64:65], v[72:73]
	s_delay_alu instid0(VALU_DEP_4) | instskip(SKIP_1) | instid1(VALU_DEP_3)
	v_mul_u64_e32 v[76:77], v[70:71], v[76:77]
	v_mul_u64_e32 v[72:73], v[70:71], v[72:73]
	v_add_nc_u64_e32 v[68:69], v[68:69], v[74:75]
	v_mov_b32_e32 v75, v4
	s_delay_alu instid0(VALU_DEP_2) | instskip(NEXT) | instid1(VALU_DEP_3)
	v_add_co_u32 v5, vcc_lo, v68, v76
	v_add_co_ci_u32_e32 v74, vcc_lo, v69, v77, vcc_lo
	v_add_co_ci_u32_e32 v73, vcc_lo, 0, v73, vcc_lo
	s_delay_alu instid0(VALU_DEP_1) | instskip(SKIP_2) | instid1(VALU_DEP_3)
	v_add_nc_u64_e32 v[68:69], v[74:75], v[72:73]
	v_mov_b32_e32 v73, v4
	v_add_nc_u64_e32 v[54:55], v[54:55], v[78:79]
	v_add_co_u32 v68, vcc_lo, v64, v68
	s_delay_alu instid0(VALU_DEP_2) | instskip(SKIP_1) | instid1(VALU_DEP_4)
	v_xor_b32_e32 v72, v54, v78
	v_add_co_ci_u32_e64 v64, null, v70, v69, vcc_lo
	v_dual_mov_b32 v69, v4 :: v_dual_bitop2_b32 v70, v55, v78 bitop3:0x14
	s_delay_alu instid0(VALU_DEP_2) | instskip(NEXT) | instid1(VALU_DEP_2)
	v_mul_u64_e32 v[74:75], v[72:73], v[64:65]
	v_mul_u64_e32 v[54:55], v[70:71], v[68:69]
	v_mul_hi_u32 v68, v72, v68
	s_delay_alu instid0(VALU_DEP_1) | instskip(SKIP_2) | instid1(VALU_DEP_3)
	v_add_nc_u64_e32 v[68:69], v[68:69], v[74:75]
	v_mov_b32_e32 v75, v4
	v_mul_u64_e32 v[64:65], v[70:71], v[64:65]
	v_add_co_u32 v5, vcc_lo, v68, v54
	s_delay_alu instid0(VALU_DEP_4) | instskip(NEXT) | instid1(VALU_DEP_3)
	v_add_co_ci_u32_e32 v74, vcc_lo, v69, v55, vcc_lo
	v_add_co_ci_u32_e32 v65, vcc_lo, 0, v65, vcc_lo
	s_delay_alu instid0(VALU_DEP_1) | instskip(NEXT) | instid1(VALU_DEP_1)
	v_add_nc_u64_e32 v[54:55], v[74:75], v[64:65]
	v_mul_u64_e32 v[64:65], v[56:57], v[54:55]
	v_add_nc_u64_e32 v[68:69], 1, v[54:55]
	s_delay_alu instid0(VALU_DEP_2) | instskip(NEXT) | instid1(VALU_DEP_3)
	v_sub_nc_u32_e32 v5, v70, v65
	v_sub_co_u32 v61, vcc_lo, v72, v64
	s_delay_alu instid0(VALU_DEP_1) | instskip(NEXT) | instid1(VALU_DEP_3)
	v_sub_co_ci_u32_e64 v70, null, v70, v65, vcc_lo
	v_sub_co_ci_u32_e64 v5, null, v5, v57, vcc_lo
	s_delay_alu instid0(VALU_DEP_3) | instskip(NEXT) | instid1(VALU_DEP_1)
	v_sub_co_u32 v64, s2, v61, v56
	v_subrev_co_ci_u32_e64 v5, null, 0, v5, s2
	s_delay_alu instid0(VALU_DEP_2) | instskip(SKIP_1) | instid1(VALU_DEP_3)
	v_cmp_ge_u32_e32 vcc_lo, v64, v56
	v_cndmask_b32_e64 v64, 0, -1, vcc_lo
	v_cmp_ge_u32_e32 vcc_lo, v5, v57
	v_cndmask_b32_e64 v65, 0, -1, vcc_lo
	;; [unrolled: 2-line block ×4, first 2 shown]
	v_cmp_eq_u32_e32 vcc_lo, v5, v57
	v_cndmask_b32_e32 v5, v65, v64, vcc_lo
	v_cmp_eq_u32_e32 vcc_lo, v70, v57
	v_add_nc_u64_e32 v[64:65], 2, v[54:55]
	v_cndmask_b32_e32 v56, v61, v56, vcc_lo
	s_delay_alu instid0(VALU_DEP_4) | instskip(NEXT) | instid1(VALU_DEP_2)
	v_cmp_ne_u32_e32 vcc_lo, 0, v5
	v_cmp_ne_u32_e64 s2, 0, v56
	s_delay_alu instid0(VALU_DEP_4) | instskip(NEXT) | instid1(VALU_DEP_1)
	v_dual_cndmask_b32 v5, v69, v65, vcc_lo :: v_dual_bitop2_b32 v56, v78, v60 bitop3:0x14
	v_dual_cndmask_b32 v57, v68, v64, vcc_lo :: v_dual_cndmask_b32 v5, v55, v5, s2
	s_delay_alu instid0(VALU_DEP_1) | instskip(NEXT) | instid1(VALU_DEP_2)
	v_dual_cndmask_b32 v54, v54, v57, s2 :: v_dual_mov_b32 v57, v56
	v_xor_b32_e32 v55, v5, v56
	s_delay_alu instid0(VALU_DEP_2) | instskip(NEXT) | instid1(VALU_DEP_1)
	v_xor_b32_e32 v54, v54, v56
	v_sub_nc_u64_e32 v[60:61], v[54:55], v[56:57]
                                        ; implicit-def: $vgpr56_vgpr57
                                        ; implicit-def: $vgpr54_vgpr55
.LBB124_32:                             ;   in Loop: Header=BB124_4 Depth=1
	s_and_not1_saveexec_b32 s2, s3
	s_cbranch_execz .LBB124_3
; %bb.33:                               ;   in Loop: Header=BB124_4 Depth=1
	v_cvt_f32_u32_e32 v5, v56
	v_dual_sub_nc_u32 v55, 0, v56 :: v_dual_mov_b32 v61, v4
	s_delay_alu instid0(VALU_DEP_2) | instskip(SKIP_1) | instid1(TRANS32_DEP_1)
	v_rcp_iflag_f32_e32 v5, v5
	v_nop
	v_mul_f32_e32 v5, 0x4f7ffffe, v5
	s_delay_alu instid0(VALU_DEP_1) | instskip(NEXT) | instid1(VALU_DEP_1)
	v_cvt_u32_f32_e32 v5, v5
	v_mul_lo_u32 v55, v55, v5
	s_delay_alu instid0(VALU_DEP_1) | instskip(NEXT) | instid1(VALU_DEP_1)
	v_mul_hi_u32 v55, v5, v55
	v_add_nc_u32_e32 v5, v5, v55
	s_delay_alu instid0(VALU_DEP_1) | instskip(NEXT) | instid1(VALU_DEP_1)
	v_mul_hi_u32 v5, v54, v5
	v_mul_lo_u32 v55, v5, v56
	s_delay_alu instid0(VALU_DEP_1) | instskip(NEXT) | instid1(VALU_DEP_1)
	v_dual_sub_nc_u32 v54, v54, v55 :: v_dual_add_nc_u32 v55, 1, v5
	v_sub_nc_u32_e32 v57, v54, v56
	v_cmp_ge_u32_e32 vcc_lo, v54, v56
	s_delay_alu instid0(VALU_DEP_2) | instskip(NEXT) | instid1(VALU_DEP_1)
	v_dual_cndmask_b32 v54, v54, v57 :: v_dual_cndmask_b32 v5, v5, v55
	v_cmp_ge_u32_e32 vcc_lo, v54, v56
	s_delay_alu instid0(VALU_DEP_2) | instskip(NEXT) | instid1(VALU_DEP_1)
	v_add_nc_u32_e32 v55, 1, v5
	v_cndmask_b32_e32 v60, v5, v55, vcc_lo
	s_branch .LBB124_3
.LBB124_34:
	s_mov_b32 s20, 0
.LBB124_35:
	s_delay_alu instid0(SALU_CYCLE_1)
	s_and_not1_b32 vcc_lo, exec_lo, s20
	s_cbranch_vccnz .LBB124_55
; %bb.36:
	v_min_i64 v[26:27], 0x10000, s[14:15]
	v_dual_mov_b32 v28, 0 :: v_dual_lshlrev_b32 v2, 2, v0
	s_mov_b32 s2, exec_lo
	s_delay_alu instid0(VALU_DEP_1) | instskip(SKIP_1) | instid1(VALU_DEP_1)
	v_mov_b32_e32 v3, v28
	s_wait_xcnt 0x0
	v_cmpx_lt_i64_e64 v[2:3], v[26:27]
	s_cbranch_execz .LBB124_55
; %bb.37:
	s_load_b32 s0, s[0:1], 0xdd4
	v_dual_mov_b32 v1, v28 :: v_dual_lshlrev_b32 v30, 5, v0
	v_mov_b32_e32 v31, v28
	s_mov_b32 s3, 0
	s_delay_alu instid0(SALU_CYCLE_1) | instskip(SKIP_4) | instid1(SALU_CYCLE_1)
	s_mov_b32 s13, s3
	s_wait_xcnt 0x0
	s_mov_b32 s1, s3
	s_wait_kmcnt 0x0
	s_and_b32 s2, s0, 0xffff
	s_lshl_b32 s12, s2, 5
	s_branch .LBB124_39
.LBB124_38:                             ;   in Loop: Header=BB124_39 Depth=1
	s_or_b32 exec_lo, exec_lo, s0
	s_wait_loadcnt 0x0
	v_mad_nc_u64_u32 v[8:9], v18, s4, v[8:9]
	v_mad_nc_u64_u32 v[6:7], v34, s4, v[6:7]
	;; [unrolled: 1-line block ×4, first 2 shown]
	v_add_nc_u64_e32 v[0:1], s[2:3], v[0:1]
	s_add_nc_u64 s[8:9], s[8:9], s[12:13]
	s_add_nc_u64 s[10:11], s[10:11], s[12:13]
	;; [unrolled: 1-line block ×3, first 2 shown]
	s_delay_alu instid0(VALU_DEP_1)
	v_lshlrev_b64_e32 v[12:13], 2, v[0:1]
	v_mad_u32 v9, v19, s4, v9
	v_mad_u32 v7, v35, s4, v7
	;; [unrolled: 1-line block ×4, first 2 shown]
	v_cmp_ge_i64_e32 vcc_lo, v[12:13], v[26:27]
	v_mad_u32 v9, v18, s5, v9
	v_mad_u32 v7, v34, s5, v7
	;; [unrolled: 1-line block ×4, first 2 shown]
	s_or_b32 s1, vcc_lo, s1
	s_clause 0x1
	global_store_b128 v[32:33], v[6:9], off
	global_store_b128 v[32:33], v[2:5], off offset:16
	s_wait_xcnt 0x0
	s_and_not1_b32 exec_lo, exec_lo, s1
	s_cbranch_execz .LBB124_55
.LBB124_39:                             ; =>This Inner Loop Header: Depth=1
	v_add_nc_u64_e32 v[34:35], s[6:7], v[30:31]
	v_add_nc_u64_e32 v[36:37], s[8:9], v[30:31]
	;; [unrolled: 1-line block ×3, first 2 shown]
	s_mov_b32 s0, exec_lo
	global_load_b128 v[18:21], v[34:35], off
	global_load_b128 v[22:25], v[36:37], off
	global_load_b128 v[10:13], v[34:35], off offset:16
	global_load_b128 v[14:17], v[36:37], off offset:16
	s_clause 0x1
	global_load_b128 v[2:5], v[32:33], off offset:16
	global_load_b128 v[6:9], v[32:33], off
                                        ; implicit-def: $vgpr34_vgpr35
	s_wait_loadcnt 0x4
	v_or_b32_e32 v29, v19, v23
	s_wait_xcnt 0x0
	s_delay_alu instid0(VALU_DEP_1)
	v_cmpx_ne_u64_e32 0, v[28:29]
	s_xor_b32 s14, exec_lo, s0
	s_cbranch_execz .LBB124_41
; %bb.40:                               ;   in Loop: Header=BB124_39 Depth=1
	v_dual_mov_b32 v37, v28 :: v_dual_ashrrev_i32 v34, 31, v23
	v_dual_mov_b32 v45, v28 :: v_dual_mov_b32 v47, v28
	s_delay_alu instid0(VALU_DEP_2) | instskip(NEXT) | instid1(VALU_DEP_1)
	v_mov_b32_e32 v35, v34
	v_add_nc_u64_e32 v[22:23], v[22:23], v[34:35]
	s_delay_alu instid0(VALU_DEP_1) | instskip(NEXT) | instid1(VALU_DEP_2)
	v_xor_b32_e32 v22, v22, v34
	v_xor_b32_e32 v23, v23, v34
	s_delay_alu instid0(VALU_DEP_2) | instskip(NEXT) | instid1(VALU_DEP_2)
	v_cvt_f32_u32_e32 v29, v22
	v_cvt_f32_u32_e32 v35, v23
	s_delay_alu instid0(VALU_DEP_1) | instskip(NEXT) | instid1(VALU_DEP_1)
	v_fmac_f32_e32 v29, 0x4f800000, v35
	v_rcp_f32_e32 v29, v29
	v_nop
	s_delay_alu instid0(TRANS32_DEP_1) | instskip(NEXT) | instid1(VALU_DEP_1)
	v_mul_f32_e32 v29, 0x5f7ffffc, v29
	v_mul_f32_e32 v35, 0x2f800000, v29
	s_delay_alu instid0(VALU_DEP_1) | instskip(NEXT) | instid1(VALU_DEP_1)
	v_trunc_f32_e32 v35, v35
	v_fmac_f32_e32 v29, 0xcf800000, v35
	v_cvt_u32_f32_e32 v41, v35
	s_delay_alu instid0(VALU_DEP_2) | instskip(NEXT) | instid1(VALU_DEP_1)
	v_cvt_u32_f32_e32 v36, v29
	v_dual_mov_b32 v46, v41 :: v_dual_mov_b32 v40, v36
	v_sub_nc_u64_e32 v[38:39], 0, v[22:23]
	s_delay_alu instid0(VALU_DEP_1) | instskip(NEXT) | instid1(VALU_DEP_1)
	v_mul_u64_e32 v[42:43], v[38:39], v[40:41]
	v_dual_mov_b32 v44, v43 :: v_dual_mov_b32 v43, v28
	s_delay_alu instid0(VALU_DEP_1) | instskip(NEXT) | instid1(VALU_DEP_2)
	v_mul_u64_e32 v[48:49], v[36:37], v[44:45]
	v_mul_u64_e32 v[50:51], v[46:47], v[42:43]
	;; [unrolled: 1-line block ×3, first 2 shown]
	v_mul_hi_u32 v42, v36, v42
	s_delay_alu instid0(VALU_DEP_1) | instskip(SKIP_1) | instid1(VALU_DEP_2)
	v_add_nc_u64_e32 v[42:43], v[42:43], v[48:49]
	v_ashrrev_i32_e32 v48, 31, v19
	v_add_co_u32 v29, vcc_lo, v42, v50
	s_delay_alu instid0(VALU_DEP_3) | instskip(SKIP_1) | instid1(VALU_DEP_1)
	v_add_co_ci_u32_e32 v46, vcc_lo, v43, v51, vcc_lo
	v_add_co_ci_u32_e32 v45, vcc_lo, 0, v45, vcc_lo
	v_add_nc_u64_e32 v[42:43], v[46:47], v[44:45]
	s_delay_alu instid0(VALU_DEP_1) | instskip(NEXT) | instid1(VALU_DEP_1)
	v_add_co_u32 v36, vcc_lo, v36, v42
	v_add_co_ci_u32_e64 v40, null, v41, v43, vcc_lo
	v_dual_mov_b32 v43, v28 :: v_dual_mov_b32 v41, v28
	s_delay_alu instid0(VALU_DEP_2) | instskip(NEXT) | instid1(VALU_DEP_1)
	v_mov_b32_e32 v37, v40
	v_mul_u64_e32 v[38:39], v[38:39], v[36:37]
	s_delay_alu instid0(VALU_DEP_1) | instskip(NEXT) | instid1(VALU_DEP_2)
	v_dual_mov_b32 v37, v28 :: v_dual_mov_b32 v42, v39
	v_dual_mov_b32 v46, v38 :: v_dual_mov_b32 v39, v28
	v_mul_hi_u32 v38, v36, v38
	s_delay_alu instid0(VALU_DEP_3) | instskip(NEXT) | instid1(VALU_DEP_3)
	v_mul_u64_e32 v[44:45], v[36:37], v[42:43]
	v_mul_u64_e32 v[46:47], v[40:41], v[46:47]
	;; [unrolled: 1-line block ×3, first 2 shown]
	s_delay_alu instid0(VALU_DEP_3) | instskip(SKIP_1) | instid1(VALU_DEP_2)
	v_add_nc_u64_e32 v[38:39], v[38:39], v[44:45]
	v_dual_mov_b32 v45, v28 :: v_dual_mov_b32 v49, v48
	v_add_co_u32 v29, vcc_lo, v38, v46
	s_delay_alu instid0(VALU_DEP_3) | instskip(SKIP_1) | instid1(VALU_DEP_1)
	v_add_co_ci_u32_e32 v44, vcc_lo, v39, v47, vcc_lo
	v_add_co_ci_u32_e32 v43, vcc_lo, 0, v43, vcc_lo
	v_add_nc_u64_e32 v[38:39], v[44:45], v[42:43]
	v_mov_b32_e32 v43, v28
	v_add_nc_u64_e32 v[18:19], v[18:19], v[48:49]
	s_delay_alu instid0(VALU_DEP_3) | instskip(NEXT) | instid1(VALU_DEP_2)
	v_add_co_u32 v38, vcc_lo, v36, v38
	v_xor_b32_e32 v42, v18, v48
	v_add_co_ci_u32_e64 v36, null, v40, v39, vcc_lo
	s_delay_alu instid0(VALU_DEP_4) | instskip(NEXT) | instid1(VALU_DEP_2)
	v_dual_mov_b32 v39, v28 :: v_dual_bitop2_b32 v40, v19, v48 bitop3:0x14
	v_mul_u64_e32 v[44:45], v[42:43], v[36:37]
	s_delay_alu instid0(VALU_DEP_2) | instskip(SKIP_1) | instid1(VALU_DEP_1)
	v_mul_u64_e32 v[18:19], v[40:41], v[38:39]
	v_mul_hi_u32 v38, v42, v38
	v_add_nc_u64_e32 v[38:39], v[38:39], v[44:45]
	v_mov_b32_e32 v45, v28
	v_mul_u64_e32 v[36:37], v[40:41], v[36:37]
	s_delay_alu instid0(VALU_DEP_3) | instskip(NEXT) | instid1(VALU_DEP_4)
	v_add_co_u32 v18, vcc_lo, v38, v18
	v_add_co_ci_u32_e32 v44, vcc_lo, v39, v19, vcc_lo
	s_delay_alu instid0(VALU_DEP_3) | instskip(NEXT) | instid1(VALU_DEP_1)
	v_add_co_ci_u32_e32 v37, vcc_lo, 0, v37, vcc_lo
	v_add_nc_u64_e32 v[18:19], v[44:45], v[36:37]
	s_delay_alu instid0(VALU_DEP_1) | instskip(SKIP_1) | instid1(VALU_DEP_2)
	v_mul_u64_e32 v[36:37], v[22:23], v[18:19]
	v_add_nc_u64_e32 v[38:39], 1, v[18:19]
	v_sub_nc_u32_e32 v29, v40, v37
	s_delay_alu instid0(VALU_DEP_3) | instskip(NEXT) | instid1(VALU_DEP_1)
	v_sub_co_u32 v35, vcc_lo, v42, v36
	v_sub_co_ci_u32_e64 v40, null, v40, v37, vcc_lo
	s_delay_alu instid0(VALU_DEP_3) | instskip(NEXT) | instid1(VALU_DEP_3)
	v_sub_co_ci_u32_e64 v29, null, v29, v23, vcc_lo
	v_sub_co_u32 v36, s0, v35, v22
	s_delay_alu instid0(VALU_DEP_1) | instskip(NEXT) | instid1(VALU_DEP_2)
	v_subrev_co_ci_u32_e64 v29, null, 0, v29, s0
	v_cmp_ge_u32_e32 vcc_lo, v36, v22
	v_cndmask_b32_e64 v36, 0, -1, vcc_lo
	s_delay_alu instid0(VALU_DEP_3)
	v_cmp_ge_u32_e32 vcc_lo, v29, v23
	v_cndmask_b32_e64 v37, 0, -1, vcc_lo
	v_cmp_ge_u32_e32 vcc_lo, v35, v22
	v_cndmask_b32_e64 v22, 0, -1, vcc_lo
	;; [unrolled: 2-line block ×3, first 2 shown]
	v_cmp_eq_u32_e32 vcc_lo, v29, v23
	v_cndmask_b32_e32 v29, v37, v36, vcc_lo
	v_cmp_eq_u32_e32 vcc_lo, v40, v23
	v_add_nc_u64_e32 v[36:37], 2, v[18:19]
	v_cndmask_b32_e32 v22, v35, v22, vcc_lo
	s_delay_alu instid0(VALU_DEP_4) | instskip(NEXT) | instid1(VALU_DEP_2)
	v_cmp_ne_u32_e32 vcc_lo, 0, v29
	v_cmp_ne_u32_e64 s0, 0, v22
	s_delay_alu instid0(VALU_DEP_4) | instskip(NEXT) | instid1(VALU_DEP_1)
	v_dual_cndmask_b32 v23, v39, v37, vcc_lo :: v_dual_cndmask_b32 v29, v38, v36, vcc_lo
	v_dual_cndmask_b32 v19, v19, v23, s0 :: v_dual_bitop2_b32 v22, v48, v34 bitop3:0x14
	s_delay_alu instid0(VALU_DEP_2) | instskip(NEXT) | instid1(VALU_DEP_2)
	v_cndmask_b32_e64 v18, v18, v29, s0
	v_dual_mov_b32 v23, v22 :: v_dual_bitop2_b32 v19, v19, v22 bitop3:0x14
	s_delay_alu instid0(VALU_DEP_2) | instskip(NEXT) | instid1(VALU_DEP_1)
	v_xor_b32_e32 v18, v18, v22
	v_sub_nc_u64_e32 v[34:35], v[18:19], v[22:23]
.LBB124_41:                             ;   in Loop: Header=BB124_39 Depth=1
	s_and_not1_saveexec_b32 s0, s14
	s_cbranch_execz .LBB124_43
; %bb.42:                               ;   in Loop: Header=BB124_39 Depth=1
	v_cvt_f32_u32_e32 v19, v22
	v_dual_sub_nc_u32 v23, 0, v22 :: v_dual_mov_b32 v35, v28
	s_delay_alu instid0(VALU_DEP_2) | instskip(SKIP_1) | instid1(TRANS32_DEP_1)
	v_rcp_iflag_f32_e32 v19, v19
	v_nop
	v_mul_f32_e32 v19, 0x4f7ffffe, v19
	s_delay_alu instid0(VALU_DEP_1) | instskip(NEXT) | instid1(VALU_DEP_1)
	v_cvt_u32_f32_e32 v19, v19
	v_mul_lo_u32 v23, v23, v19
	s_delay_alu instid0(VALU_DEP_1) | instskip(NEXT) | instid1(VALU_DEP_1)
	v_mul_hi_u32 v23, v19, v23
	v_add_nc_u32_e32 v19, v19, v23
	s_delay_alu instid0(VALU_DEP_1) | instskip(NEXT) | instid1(VALU_DEP_1)
	v_mul_hi_u32 v19, v18, v19
	v_mul_lo_u32 v23, v19, v22
	s_delay_alu instid0(VALU_DEP_1) | instskip(NEXT) | instid1(VALU_DEP_1)
	v_sub_nc_u32_e32 v18, v18, v23
	v_dual_add_nc_u32 v23, 1, v19 :: v_dual_sub_nc_u32 v29, v18, v22
	v_cmp_ge_u32_e32 vcc_lo, v18, v22
	s_delay_alu instid0(VALU_DEP_2) | instskip(NEXT) | instid1(VALU_DEP_1)
	v_dual_cndmask_b32 v18, v18, v29 :: v_dual_cndmask_b32 v19, v19, v23
	v_cmp_ge_u32_e32 vcc_lo, v18, v22
	s_delay_alu instid0(VALU_DEP_2) | instskip(NEXT) | instid1(VALU_DEP_1)
	v_add_nc_u32_e32 v23, 1, v19
	v_cndmask_b32_e32 v34, v19, v23, vcc_lo
.LBB124_43:                             ;   in Loop: Header=BB124_39 Depth=1
	s_or_b32 exec_lo, exec_lo, s0
	v_or_b32_e32 v29, v21, v25
                                        ; implicit-def: $vgpr18_vgpr19
	s_mov_b32 s0, exec_lo
	s_delay_alu instid0(VALU_DEP_1)
	v_cmpx_ne_u64_e32 0, v[28:29]
	s_xor_b32 s14, exec_lo, s0
	s_cbranch_execz .LBB124_45
; %bb.44:                               ;   in Loop: Header=BB124_39 Depth=1
	v_dual_mov_b32 v43, v28 :: v_dual_ashrrev_i32 v18, 31, v25
	s_delay_alu instid0(VALU_DEP_1) | instskip(NEXT) | instid1(VALU_DEP_1)
	v_dual_mov_b32 v45, v28 :: v_dual_mov_b32 v19, v18
	v_add_nc_u64_e32 v[22:23], v[24:25], v[18:19]
	s_delay_alu instid0(VALU_DEP_1) | instskip(NEXT) | instid1(VALU_DEP_2)
	v_xor_b32_e32 v22, v22, v18
	v_xor_b32_e32 v23, v23, v18
	s_delay_alu instid0(VALU_DEP_2) | instskip(NEXT) | instid1(VALU_DEP_2)
	v_cvt_f32_u32_e32 v19, v22
	v_cvt_f32_u32_e32 v24, v23
	s_delay_alu instid0(VALU_DEP_1) | instskip(NEXT) | instid1(VALU_DEP_1)
	v_fmac_f32_e32 v19, 0x4f800000, v24
	v_rcp_f32_e32 v19, v19
	v_nop
	s_delay_alu instid0(TRANS32_DEP_1) | instskip(NEXT) | instid1(VALU_DEP_1)
	v_mul_f32_e32 v19, 0x5f7ffffc, v19
	v_mul_f32_e32 v24, 0x2f800000, v19
	s_delay_alu instid0(VALU_DEP_1) | instskip(NEXT) | instid1(VALU_DEP_1)
	v_trunc_f32_e32 v25, v24
	v_cvt_u32_f32_e32 v39, v25
	v_fmac_f32_e32 v19, 0xcf800000, v25
	s_delay_alu instid0(VALU_DEP_2) | instskip(NEXT) | instid1(VALU_DEP_2)
	v_dual_mov_b32 v25, v28 :: v_dual_mov_b32 v44, v39
	v_cvt_u32_f32_e32 v24, v19
	s_delay_alu instid0(VALU_DEP_1) | instskip(SKIP_1) | instid1(VALU_DEP_1)
	v_mov_b32_e32 v38, v24
	v_sub_nc_u64_e32 v[36:37], 0, v[22:23]
	v_mul_u64_e32 v[40:41], v[36:37], v[38:39]
	s_delay_alu instid0(VALU_DEP_1) | instskip(NEXT) | instid1(VALU_DEP_1)
	v_dual_mov_b32 v42, v41 :: v_dual_mov_b32 v41, v28
	v_mul_u64_e32 v[46:47], v[24:25], v[42:43]
	s_delay_alu instid0(VALU_DEP_2) | instskip(SKIP_2) | instid1(VALU_DEP_1)
	v_mul_u64_e32 v[48:49], v[44:45], v[40:41]
	v_mul_u64_e32 v[42:43], v[44:45], v[42:43]
	v_mul_hi_u32 v40, v24, v40
	v_add_nc_u64_e32 v[40:41], v[40:41], v[46:47]
	v_ashrrev_i32_e32 v46, 31, v21
	s_delay_alu instid0(VALU_DEP_2) | instskip(NEXT) | instid1(VALU_DEP_3)
	v_add_co_u32 v19, vcc_lo, v40, v48
	v_add_co_ci_u32_e32 v44, vcc_lo, v41, v49, vcc_lo
	v_add_co_ci_u32_e32 v43, vcc_lo, 0, v43, vcc_lo
	s_delay_alu instid0(VALU_DEP_1) | instskip(NEXT) | instid1(VALU_DEP_1)
	v_add_nc_u64_e32 v[40:41], v[44:45], v[42:43]
	v_add_co_u32 v24, vcc_lo, v24, v40
	s_delay_alu instid0(VALU_DEP_1) | instskip(SKIP_1) | instid1(VALU_DEP_2)
	v_add_co_ci_u32_e64 v38, null, v39, v41, vcc_lo
	v_dual_mov_b32 v41, v28 :: v_dual_mov_b32 v39, v28
	v_mov_b32_e32 v25, v38
	s_delay_alu instid0(VALU_DEP_1) | instskip(NEXT) | instid1(VALU_DEP_1)
	v_mul_u64_e32 v[36:37], v[36:37], v[24:25]
	v_dual_mov_b32 v25, v28 :: v_dual_mov_b32 v40, v37
	s_delay_alu instid0(VALU_DEP_2) | instskip(SKIP_1) | instid1(VALU_DEP_3)
	v_dual_mov_b32 v44, v36 :: v_dual_mov_b32 v37, v28
	v_mul_hi_u32 v36, v24, v36
	v_mul_u64_e32 v[42:43], v[24:25], v[40:41]
	s_delay_alu instid0(VALU_DEP_3) | instskip(SKIP_1) | instid1(VALU_DEP_3)
	v_mul_u64_e32 v[44:45], v[38:39], v[44:45]
	v_mul_u64_e32 v[40:41], v[38:39], v[40:41]
	v_add_nc_u64_e32 v[36:37], v[36:37], v[42:43]
	v_dual_mov_b32 v43, v28 :: v_dual_mov_b32 v47, v46
	v_xor_b32_e32 v18, v46, v18
	s_delay_alu instid0(VALU_DEP_3) | instskip(NEXT) | instid1(VALU_DEP_4)
	v_add_co_u32 v19, vcc_lo, v36, v44
	v_add_co_ci_u32_e32 v42, vcc_lo, v37, v45, vcc_lo
	v_add_co_ci_u32_e32 v41, vcc_lo, 0, v41, vcc_lo
	s_delay_alu instid0(VALU_DEP_1) | instskip(SKIP_2) | instid1(VALU_DEP_3)
	v_add_nc_u64_e32 v[36:37], v[42:43], v[40:41]
	v_mov_b32_e32 v41, v28
	v_add_nc_u64_e32 v[20:21], v[20:21], v[46:47]
	v_add_co_u32 v36, vcc_lo, v24, v36
	s_delay_alu instid0(VALU_DEP_1) | instskip(NEXT) | instid1(VALU_DEP_3)
	v_add_co_ci_u32_e64 v24, null, v38, v37, vcc_lo
	v_dual_mov_b32 v37, v28 :: v_dual_bitop2_b32 v38, v21, v46 bitop3:0x14
	s_delay_alu instid0(VALU_DEP_4) | instskip(NEXT) | instid1(VALU_DEP_2)
	v_xor_b32_e32 v40, v20, v46
	v_mul_u64_e32 v[20:21], v[38:39], v[36:37]
	s_delay_alu instid0(VALU_DEP_2) | instskip(SKIP_2) | instid1(VALU_DEP_1)
	v_mul_u64_e32 v[42:43], v[40:41], v[24:25]
	v_mul_u64_e32 v[24:25], v[38:39], v[24:25]
	v_mul_hi_u32 v36, v40, v36
	v_add_nc_u64_e32 v[36:37], v[36:37], v[42:43]
	v_mov_b32_e32 v43, v28
	s_delay_alu instid0(VALU_DEP_2) | instskip(NEXT) | instid1(VALU_DEP_3)
	v_add_co_u32 v19, vcc_lo, v36, v20
	v_add_co_ci_u32_e32 v42, vcc_lo, v37, v21, vcc_lo
	v_add_co_ci_u32_e32 v25, vcc_lo, 0, v25, vcc_lo
	s_delay_alu instid0(VALU_DEP_1) | instskip(NEXT) | instid1(VALU_DEP_1)
	v_add_nc_u64_e32 v[20:21], v[42:43], v[24:25]
	v_mul_u64_e32 v[24:25], v[22:23], v[20:21]
	v_add_nc_u64_e32 v[36:37], 1, v[20:21]
	s_delay_alu instid0(VALU_DEP_2) | instskip(NEXT) | instid1(VALU_DEP_3)
	v_sub_nc_u32_e32 v19, v38, v25
	v_sub_co_u32 v24, vcc_lo, v40, v24
	s_delay_alu instid0(VALU_DEP_1) | instskip(NEXT) | instid1(VALU_DEP_3)
	v_sub_co_ci_u32_e64 v38, null, v38, v25, vcc_lo
	v_sub_co_ci_u32_e64 v19, null, v19, v23, vcc_lo
	s_delay_alu instid0(VALU_DEP_3) | instskip(NEXT) | instid1(VALU_DEP_1)
	v_sub_co_u32 v29, s0, v24, v22
	v_subrev_co_ci_u32_e64 v19, null, 0, v19, s0
	s_delay_alu instid0(VALU_DEP_2) | instskip(SKIP_1) | instid1(VALU_DEP_3)
	v_cmp_ge_u32_e32 vcc_lo, v29, v22
	v_cndmask_b32_e64 v25, 0, -1, vcc_lo
	v_cmp_ge_u32_e32 vcc_lo, v19, v23
	v_cndmask_b32_e64 v29, 0, -1, vcc_lo
	;; [unrolled: 2-line block ×4, first 2 shown]
	v_cmp_eq_u32_e32 vcc_lo, v19, v23
	v_cndmask_b32_e32 v19, v29, v25, vcc_lo
	v_cmp_eq_u32_e32 vcc_lo, v38, v23
	v_add_nc_u64_e32 v[24:25], 2, v[20:21]
	v_cndmask_b32_e32 v22, v39, v22, vcc_lo
	s_delay_alu instid0(VALU_DEP_4) | instskip(NEXT) | instid1(VALU_DEP_3)
	v_cmp_ne_u32_e32 vcc_lo, 0, v19
	v_cndmask_b32_e32 v19, v37, v25, vcc_lo
	s_delay_alu instid0(VALU_DEP_3) | instskip(SKIP_1) | instid1(VALU_DEP_1)
	v_cmp_ne_u32_e64 s0, 0, v22
	v_cndmask_b32_e32 v22, v36, v24, vcc_lo
                                        ; implicit-def: $vgpr24_vgpr25
	v_dual_cndmask_b32 v21, v21, v19, s0 :: v_dual_cndmask_b32 v20, v20, v22, s0
	s_delay_alu instid0(VALU_DEP_1) | instskip(NEXT) | instid1(VALU_DEP_2)
	v_dual_mov_b32 v19, v18 :: v_dual_bitop2_b32 v21, v21, v18 bitop3:0x14
	v_xor_b32_e32 v20, v20, v18
	s_delay_alu instid0(VALU_DEP_1)
	v_sub_nc_u64_e32 v[18:19], v[20:21], v[18:19]
                                        ; implicit-def: $vgpr20_vgpr21
.LBB124_45:                             ;   in Loop: Header=BB124_39 Depth=1
	s_and_not1_saveexec_b32 s0, s14
	s_cbranch_execz .LBB124_47
; %bb.46:                               ;   in Loop: Header=BB124_39 Depth=1
	v_cvt_f32_u32_e32 v18, v24
	v_sub_nc_u32_e32 v19, 0, v24
	s_delay_alu instid0(VALU_DEP_2) | instskip(SKIP_1) | instid1(TRANS32_DEP_1)
	v_rcp_iflag_f32_e32 v18, v18
	v_nop
	v_mul_f32_e32 v18, 0x4f7ffffe, v18
	s_delay_alu instid0(VALU_DEP_1) | instskip(NEXT) | instid1(VALU_DEP_1)
	v_cvt_u32_f32_e32 v18, v18
	v_mul_lo_u32 v19, v19, v18
	s_delay_alu instid0(VALU_DEP_1) | instskip(NEXT) | instid1(VALU_DEP_1)
	v_mul_hi_u32 v19, v18, v19
	v_add_nc_u32_e32 v18, v18, v19
	s_delay_alu instid0(VALU_DEP_1) | instskip(NEXT) | instid1(VALU_DEP_1)
	v_mul_hi_u32 v18, v20, v18
	v_mul_lo_u32 v19, v18, v24
	s_delay_alu instid0(VALU_DEP_1) | instskip(NEXT) | instid1(VALU_DEP_1)
	v_dual_sub_nc_u32 v19, v20, v19 :: v_dual_add_nc_u32 v20, 1, v18
	v_sub_nc_u32_e32 v21, v19, v24
	v_cmp_ge_u32_e32 vcc_lo, v19, v24
	s_delay_alu instid0(VALU_DEP_2) | instskip(NEXT) | instid1(VALU_DEP_1)
	v_dual_cndmask_b32 v19, v19, v21 :: v_dual_cndmask_b32 v18, v18, v20
	v_cmp_ge_u32_e32 vcc_lo, v19, v24
	s_delay_alu instid0(VALU_DEP_2) | instskip(NEXT) | instid1(VALU_DEP_1)
	v_dual_mov_b32 v19, v28 :: v_dual_add_nc_u32 v20, 1, v18
	v_cndmask_b32_e32 v18, v18, v20, vcc_lo
.LBB124_47:                             ;   in Loop: Header=BB124_39 Depth=1
	s_or_b32 exec_lo, exec_lo, s0
	s_wait_loadcnt 0x2
	v_or_b32_e32 v29, v11, v15
                                        ; implicit-def: $vgpr20_vgpr21
	s_mov_b32 s0, exec_lo
	s_delay_alu instid0(VALU_DEP_1)
	v_cmpx_ne_u64_e32 0, v[28:29]
	s_xor_b32 s14, exec_lo, s0
	s_cbranch_execz .LBB124_49
; %bb.48:                               ;   in Loop: Header=BB124_39 Depth=1
	v_dual_mov_b32 v25, v28 :: v_dual_ashrrev_i32 v20, 31, v15
	v_dual_mov_b32 v43, v28 :: v_dual_mov_b32 v45, v28
	s_delay_alu instid0(VALU_DEP_2) | instskip(NEXT) | instid1(VALU_DEP_1)
	v_mov_b32_e32 v21, v20
	v_add_nc_u64_e32 v[22:23], v[14:15], v[20:21]
	s_delay_alu instid0(VALU_DEP_1) | instskip(NEXT) | instid1(VALU_DEP_2)
	v_xor_b32_e32 v22, v22, v20
	v_xor_b32_e32 v23, v23, v20
	s_delay_alu instid0(VALU_DEP_2) | instskip(NEXT) | instid1(VALU_DEP_2)
	v_cvt_f32_u32_e32 v15, v22
	v_cvt_f32_u32_e32 v21, v23
	s_delay_alu instid0(VALU_DEP_1) | instskip(NEXT) | instid1(VALU_DEP_1)
	v_fmac_f32_e32 v15, 0x4f800000, v21
	v_rcp_f32_e32 v15, v15
	v_nop
	s_delay_alu instid0(TRANS32_DEP_1) | instskip(NEXT) | instid1(VALU_DEP_1)
	v_mul_f32_e32 v15, 0x5f7ffffc, v15
	v_mul_f32_e32 v21, 0x2f800000, v15
	s_delay_alu instid0(VALU_DEP_1) | instskip(NEXT) | instid1(VALU_DEP_1)
	v_trunc_f32_e32 v21, v21
	v_fmac_f32_e32 v15, 0xcf800000, v21
	v_cvt_u32_f32_e32 v39, v21
	s_delay_alu instid0(VALU_DEP_2) | instskip(NEXT) | instid1(VALU_DEP_1)
	v_cvt_u32_f32_e32 v24, v15
	v_dual_mov_b32 v44, v39 :: v_dual_mov_b32 v38, v24
	v_sub_nc_u64_e32 v[36:37], 0, v[22:23]
	s_delay_alu instid0(VALU_DEP_1) | instskip(NEXT) | instid1(VALU_DEP_1)
	v_mul_u64_e32 v[40:41], v[36:37], v[38:39]
	v_dual_mov_b32 v42, v41 :: v_dual_mov_b32 v41, v28
	s_delay_alu instid0(VALU_DEP_1) | instskip(NEXT) | instid1(VALU_DEP_2)
	v_mul_u64_e32 v[46:47], v[24:25], v[42:43]
	v_mul_u64_e32 v[48:49], v[44:45], v[40:41]
	;; [unrolled: 1-line block ×3, first 2 shown]
	v_mul_hi_u32 v40, v24, v40
	s_delay_alu instid0(VALU_DEP_1) | instskip(SKIP_1) | instid1(VALU_DEP_2)
	v_add_nc_u64_e32 v[40:41], v[40:41], v[46:47]
	v_ashrrev_i32_e32 v46, 31, v11
	v_add_co_u32 v15, vcc_lo, v40, v48
	s_delay_alu instid0(VALU_DEP_3) | instskip(SKIP_1) | instid1(VALU_DEP_1)
	v_add_co_ci_u32_e32 v44, vcc_lo, v41, v49, vcc_lo
	v_add_co_ci_u32_e32 v43, vcc_lo, 0, v43, vcc_lo
	v_add_nc_u64_e32 v[40:41], v[44:45], v[42:43]
	s_delay_alu instid0(VALU_DEP_1) | instskip(NEXT) | instid1(VALU_DEP_1)
	v_add_co_u32 v24, vcc_lo, v24, v40
	v_add_co_ci_u32_e64 v38, null, v39, v41, vcc_lo
	v_dual_mov_b32 v41, v28 :: v_dual_mov_b32 v39, v28
	s_delay_alu instid0(VALU_DEP_2) | instskip(NEXT) | instid1(VALU_DEP_1)
	v_mov_b32_e32 v25, v38
	v_mul_u64_e32 v[36:37], v[36:37], v[24:25]
	s_delay_alu instid0(VALU_DEP_1) | instskip(NEXT) | instid1(VALU_DEP_2)
	v_dual_mov_b32 v25, v28 :: v_dual_mov_b32 v40, v37
	v_dual_mov_b32 v44, v36 :: v_dual_mov_b32 v37, v28
	v_mul_hi_u32 v36, v24, v36
	s_delay_alu instid0(VALU_DEP_3) | instskip(NEXT) | instid1(VALU_DEP_3)
	v_mul_u64_e32 v[42:43], v[24:25], v[40:41]
	v_mul_u64_e32 v[44:45], v[38:39], v[44:45]
	;; [unrolled: 1-line block ×3, first 2 shown]
	s_delay_alu instid0(VALU_DEP_3) | instskip(SKIP_1) | instid1(VALU_DEP_2)
	v_add_nc_u64_e32 v[36:37], v[36:37], v[42:43]
	v_dual_mov_b32 v43, v28 :: v_dual_mov_b32 v47, v46
	v_add_co_u32 v15, vcc_lo, v36, v44
	s_delay_alu instid0(VALU_DEP_3) | instskip(SKIP_1) | instid1(VALU_DEP_4)
	v_add_co_ci_u32_e32 v42, vcc_lo, v37, v45, vcc_lo
	v_add_co_ci_u32_e32 v41, vcc_lo, 0, v41, vcc_lo
	v_add_nc_u64_e32 v[36:37], v[10:11], v[46:47]
	s_delay_alu instid0(VALU_DEP_2) | instskip(NEXT) | instid1(VALU_DEP_2)
	v_add_nc_u64_e32 v[40:41], v[42:43], v[40:41]
	v_xor_b32_e32 v42, v36, v46
	s_delay_alu instid0(VALU_DEP_2) | instskip(NEXT) | instid1(VALU_DEP_1)
	v_add_co_u32 v40, vcc_lo, v24, v40
	v_add_co_ci_u32_e64 v24, null, v38, v41, vcc_lo
	v_dual_mov_b32 v41, v28 :: v_dual_bitop2_b32 v38, v37, v46 bitop3:0x14
	s_delay_alu instid0(VALU_DEP_2) | instskip(NEXT) | instid1(VALU_DEP_2)
	v_mul_u64_e32 v[44:45], v[42:43], v[24:25]
	v_mul_u64_e32 v[36:37], v[38:39], v[40:41]
	v_mul_u64_e32 v[24:25], v[38:39], v[24:25]
	v_mul_hi_u32 v40, v42, v40
	s_delay_alu instid0(VALU_DEP_1) | instskip(SKIP_1) | instid1(VALU_DEP_2)
	v_add_nc_u64_e32 v[40:41], v[40:41], v[44:45]
	v_mov_b32_e32 v45, v28
	v_add_co_u32 v11, vcc_lo, v40, v36
	s_delay_alu instid0(VALU_DEP_3) | instskip(SKIP_1) | instid1(VALU_DEP_1)
	v_add_co_ci_u32_e32 v44, vcc_lo, v41, v37, vcc_lo
	v_add_co_ci_u32_e32 v25, vcc_lo, 0, v25, vcc_lo
	v_add_nc_u64_e32 v[24:25], v[44:45], v[24:25]
	s_delay_alu instid0(VALU_DEP_1) | instskip(NEXT) | instid1(VALU_DEP_1)
	v_mul_u64_e32 v[36:37], v[22:23], v[24:25]
	v_sub_nc_u32_e32 v11, v38, v37
	s_delay_alu instid0(VALU_DEP_2) | instskip(NEXT) | instid1(VALU_DEP_1)
	v_sub_co_u32 v15, vcc_lo, v42, v36
	v_sub_co_ci_u32_e64 v29, null, v38, v37, vcc_lo
	s_delay_alu instid0(VALU_DEP_3) | instskip(NEXT) | instid1(VALU_DEP_3)
	v_sub_co_ci_u32_e64 v11, null, v11, v23, vcc_lo
	v_sub_co_u32 v21, s0, v15, v22
	v_add_nc_u64_e32 v[38:39], 1, v[24:25]
	s_delay_alu instid0(VALU_DEP_3) | instskip(NEXT) | instid1(VALU_DEP_3)
	v_subrev_co_ci_u32_e64 v11, null, 0, v11, s0
	v_cmp_ge_u32_e32 vcc_lo, v21, v22
	v_cndmask_b32_e64 v21, 0, -1, vcc_lo
	s_delay_alu instid0(VALU_DEP_3)
	v_cmp_ge_u32_e32 vcc_lo, v11, v23
	v_cndmask_b32_e64 v36, 0, -1, vcc_lo
	v_cmp_ge_u32_e32 vcc_lo, v15, v22
	v_cndmask_b32_e64 v15, 0, -1, vcc_lo
	;; [unrolled: 2-line block ×3, first 2 shown]
	v_cmp_eq_u32_e32 vcc_lo, v11, v23
	v_cndmask_b32_e32 v11, v36, v21, vcc_lo
	v_cmp_eq_u32_e32 vcc_lo, v29, v23
	v_add_nc_u64_e32 v[36:37], 2, v[24:25]
	v_cndmask_b32_e32 v15, v22, v15, vcc_lo
	s_delay_alu instid0(VALU_DEP_4) | instskip(NEXT) | instid1(VALU_DEP_2)
	v_cmp_ne_u32_e32 vcc_lo, 0, v11
	v_cmp_ne_u32_e64 s0, 0, v15
	s_delay_alu instid0(VALU_DEP_4) | instskip(NEXT) | instid1(VALU_DEP_1)
	v_dual_cndmask_b32 v11, v39, v37, vcc_lo :: v_dual_cndmask_b32 v15, v38, v36, vcc_lo
	v_dual_cndmask_b32 v11, v25, v11, s0 :: v_dual_bitop2_b32 v20, v46, v20 bitop3:0x14
	s_delay_alu instid0(VALU_DEP_1) | instskip(NEXT) | instid1(VALU_DEP_1)
	v_dual_cndmask_b32 v15, v24, v15, s0 :: v_dual_bitop2_b32 v23, v11, v20 bitop3:0x14
	v_dual_mov_b32 v21, v20 :: v_dual_bitop2_b32 v22, v15, v20 bitop3:0x14
	s_delay_alu instid0(VALU_DEP_1)
	v_sub_nc_u64_e32 v[20:21], v[22:23], v[20:21]
.LBB124_49:                             ;   in Loop: Header=BB124_39 Depth=1
	s_and_not1_saveexec_b32 s0, s14
	s_cbranch_execz .LBB124_51
; %bb.50:                               ;   in Loop: Header=BB124_39 Depth=1
	v_cvt_f32_u32_e32 v11, v14
	v_dual_sub_nc_u32 v15, 0, v14 :: v_dual_mov_b32 v21, v28
	s_delay_alu instid0(VALU_DEP_2) | instskip(SKIP_1) | instid1(TRANS32_DEP_1)
	v_rcp_iflag_f32_e32 v11, v11
	v_nop
	v_mul_f32_e32 v11, 0x4f7ffffe, v11
	s_delay_alu instid0(VALU_DEP_1) | instskip(NEXT) | instid1(VALU_DEP_1)
	v_cvt_u32_f32_e32 v11, v11
	v_mul_lo_u32 v15, v15, v11
	s_delay_alu instid0(VALU_DEP_1) | instskip(NEXT) | instid1(VALU_DEP_1)
	v_mul_hi_u32 v15, v11, v15
	v_add_nc_u32_e32 v11, v11, v15
	s_delay_alu instid0(VALU_DEP_1) | instskip(NEXT) | instid1(VALU_DEP_1)
	v_mul_hi_u32 v11, v10, v11
	v_mul_lo_u32 v15, v11, v14
	s_delay_alu instid0(VALU_DEP_1) | instskip(NEXT) | instid1(VALU_DEP_1)
	v_sub_nc_u32_e32 v10, v10, v15
	v_dual_add_nc_u32 v15, 1, v11 :: v_dual_sub_nc_u32 v20, v10, v14
	v_cmp_ge_u32_e32 vcc_lo, v10, v14
	s_delay_alu instid0(VALU_DEP_2) | instskip(NEXT) | instid1(VALU_DEP_1)
	v_dual_cndmask_b32 v10, v10, v20 :: v_dual_cndmask_b32 v11, v11, v15
	v_cmp_ge_u32_e32 vcc_lo, v10, v14
	s_delay_alu instid0(VALU_DEP_2) | instskip(NEXT) | instid1(VALU_DEP_1)
	v_add_nc_u32_e32 v15, 1, v11
	v_cndmask_b32_e32 v20, v11, v15, vcc_lo
.LBB124_51:                             ;   in Loop: Header=BB124_39 Depth=1
	s_or_b32 exec_lo, exec_lo, s0
	v_or_b32_e32 v29, v13, v17
                                        ; implicit-def: $vgpr10_vgpr11
	s_mov_b32 s0, exec_lo
	s_delay_alu instid0(VALU_DEP_1)
	v_cmpx_ne_u64_e32 0, v[28:29]
	s_xor_b32 s14, exec_lo, s0
	s_cbranch_execz .LBB124_53
; %bb.52:                               ;   in Loop: Header=BB124_39 Depth=1
	v_dual_mov_b32 v39, v28 :: v_dual_ashrrev_i32 v10, 31, v17
	s_delay_alu instid0(VALU_DEP_1) | instskip(NEXT) | instid1(VALU_DEP_1)
	v_dual_mov_b32 v41, v28 :: v_dual_mov_b32 v11, v10
	v_add_nc_u64_e32 v[14:15], v[16:17], v[10:11]
	s_delay_alu instid0(VALU_DEP_1) | instskip(NEXT) | instid1(VALU_DEP_2)
	v_xor_b32_e32 v14, v14, v10
	v_xor_b32_e32 v15, v15, v10
	s_delay_alu instid0(VALU_DEP_2) | instskip(NEXT) | instid1(VALU_DEP_2)
	v_cvt_f32_u32_e32 v11, v14
	v_cvt_f32_u32_e32 v16, v15
	s_delay_alu instid0(VALU_DEP_1) | instskip(NEXT) | instid1(VALU_DEP_1)
	v_fmac_f32_e32 v11, 0x4f800000, v16
	v_rcp_f32_e32 v11, v11
	v_nop
	s_delay_alu instid0(TRANS32_DEP_1) | instskip(NEXT) | instid1(VALU_DEP_1)
	v_mul_f32_e32 v11, 0x5f7ffffc, v11
	v_mul_f32_e32 v16, 0x2f800000, v11
	s_delay_alu instid0(VALU_DEP_1) | instskip(NEXT) | instid1(VALU_DEP_1)
	v_trunc_f32_e32 v17, v16
	v_cvt_u32_f32_e32 v25, v17
	v_fmac_f32_e32 v11, 0xcf800000, v17
	s_delay_alu instid0(VALU_DEP_2) | instskip(NEXT) | instid1(VALU_DEP_2)
	v_dual_mov_b32 v17, v28 :: v_dual_mov_b32 v40, v25
	v_cvt_u32_f32_e32 v16, v11
	s_delay_alu instid0(VALU_DEP_1) | instskip(SKIP_1) | instid1(VALU_DEP_1)
	v_mov_b32_e32 v24, v16
	v_sub_nc_u64_e32 v[22:23], 0, v[14:15]
	v_mul_u64_e32 v[36:37], v[22:23], v[24:25]
	s_delay_alu instid0(VALU_DEP_1) | instskip(NEXT) | instid1(VALU_DEP_1)
	v_dual_mov_b32 v38, v37 :: v_dual_mov_b32 v37, v28
	v_mul_u64_e32 v[42:43], v[16:17], v[38:39]
	s_delay_alu instid0(VALU_DEP_2) | instskip(SKIP_2) | instid1(VALU_DEP_1)
	v_mul_u64_e32 v[44:45], v[40:41], v[36:37]
	v_mul_u64_e32 v[38:39], v[40:41], v[38:39]
	v_mul_hi_u32 v36, v16, v36
	v_add_nc_u64_e32 v[36:37], v[36:37], v[42:43]
	v_ashrrev_i32_e32 v42, 31, v13
	s_delay_alu instid0(VALU_DEP_2) | instskip(NEXT) | instid1(VALU_DEP_3)
	v_add_co_u32 v11, vcc_lo, v36, v44
	v_add_co_ci_u32_e32 v40, vcc_lo, v37, v45, vcc_lo
	v_add_co_ci_u32_e32 v39, vcc_lo, 0, v39, vcc_lo
	s_delay_alu instid0(VALU_DEP_1) | instskip(NEXT) | instid1(VALU_DEP_1)
	v_add_nc_u64_e32 v[36:37], v[40:41], v[38:39]
	v_add_co_u32 v16, vcc_lo, v16, v36
	s_delay_alu instid0(VALU_DEP_1) | instskip(SKIP_1) | instid1(VALU_DEP_2)
	v_add_co_ci_u32_e64 v24, null, v25, v37, vcc_lo
	v_dual_mov_b32 v37, v28 :: v_dual_mov_b32 v25, v28
	v_mov_b32_e32 v17, v24
	s_delay_alu instid0(VALU_DEP_1) | instskip(NEXT) | instid1(VALU_DEP_1)
	v_mul_u64_e32 v[22:23], v[22:23], v[16:17]
	v_dual_mov_b32 v17, v28 :: v_dual_mov_b32 v36, v23
	s_delay_alu instid0(VALU_DEP_2) | instskip(SKIP_1) | instid1(VALU_DEP_3)
	v_dual_mov_b32 v40, v22 :: v_dual_mov_b32 v23, v28
	v_mul_hi_u32 v22, v16, v22
	v_mul_u64_e32 v[38:39], v[16:17], v[36:37]
	s_delay_alu instid0(VALU_DEP_3) | instskip(SKIP_1) | instid1(VALU_DEP_3)
	v_mul_u64_e32 v[40:41], v[24:25], v[40:41]
	v_mul_u64_e32 v[36:37], v[24:25], v[36:37]
	v_add_nc_u64_e32 v[22:23], v[22:23], v[38:39]
	v_dual_mov_b32 v39, v28 :: v_dual_mov_b32 v43, v42
	v_xor_b32_e32 v10, v42, v10
	s_delay_alu instid0(VALU_DEP_3) | instskip(NEXT) | instid1(VALU_DEP_4)
	v_add_co_u32 v11, vcc_lo, v22, v40
	v_add_co_ci_u32_e32 v38, vcc_lo, v23, v41, vcc_lo
	v_add_co_ci_u32_e32 v37, vcc_lo, 0, v37, vcc_lo
	s_delay_alu instid0(VALU_DEP_1) | instskip(SKIP_2) | instid1(VALU_DEP_3)
	v_add_nc_u64_e32 v[22:23], v[38:39], v[36:37]
	v_mov_b32_e32 v37, v28
	v_add_nc_u64_e32 v[12:13], v[12:13], v[42:43]
	v_add_co_u32 v22, vcc_lo, v16, v22
	s_delay_alu instid0(VALU_DEP_2) | instskip(SKIP_1) | instid1(VALU_DEP_4)
	v_xor_b32_e32 v36, v12, v42
	v_add_co_ci_u32_e64 v16, null, v24, v23, vcc_lo
	v_dual_mov_b32 v23, v28 :: v_dual_bitop2_b32 v24, v13, v42 bitop3:0x14
	s_delay_alu instid0(VALU_DEP_2) | instskip(NEXT) | instid1(VALU_DEP_2)
	v_mul_u64_e32 v[38:39], v[36:37], v[16:17]
	v_mul_u64_e32 v[12:13], v[24:25], v[22:23]
	;; [unrolled: 1-line block ×3, first 2 shown]
	v_mul_hi_u32 v22, v36, v22
	s_delay_alu instid0(VALU_DEP_1) | instskip(SKIP_1) | instid1(VALU_DEP_2)
	v_add_nc_u64_e32 v[22:23], v[22:23], v[38:39]
	v_mov_b32_e32 v39, v28
	v_add_co_u32 v11, vcc_lo, v22, v12
	s_delay_alu instid0(VALU_DEP_3) | instskip(SKIP_1) | instid1(VALU_DEP_1)
	v_add_co_ci_u32_e32 v38, vcc_lo, v23, v13, vcc_lo
	v_add_co_ci_u32_e32 v17, vcc_lo, 0, v17, vcc_lo
	v_add_nc_u64_e32 v[12:13], v[38:39], v[16:17]
	s_delay_alu instid0(VALU_DEP_1) | instskip(NEXT) | instid1(VALU_DEP_1)
	v_mul_u64_e32 v[16:17], v[14:15], v[12:13]
	v_sub_nc_u32_e32 v11, v24, v17
	s_delay_alu instid0(VALU_DEP_2) | instskip(NEXT) | instid1(VALU_DEP_1)
	v_sub_co_u32 v16, vcc_lo, v36, v16
	v_sub_co_ci_u32_e64 v24, null, v24, v17, vcc_lo
	s_delay_alu instid0(VALU_DEP_3) | instskip(NEXT) | instid1(VALU_DEP_3)
	v_sub_co_ci_u32_e64 v11, null, v11, v15, vcc_lo
	v_sub_co_u32 v22, s0, v16, v14
	s_delay_alu instid0(VALU_DEP_1) | instskip(NEXT) | instid1(VALU_DEP_2)
	v_subrev_co_ci_u32_e64 v11, null, 0, v11, s0
	v_cmp_ge_u32_e32 vcc_lo, v22, v14
	v_cndmask_b32_e64 v17, 0, -1, vcc_lo
	s_delay_alu instid0(VALU_DEP_3)
	v_cmp_ge_u32_e32 vcc_lo, v11, v15
	v_cndmask_b32_e64 v22, 0, -1, vcc_lo
	v_cmp_ge_u32_e32 vcc_lo, v16, v14
	v_cndmask_b32_e64 v14, 0, -1, vcc_lo
	;; [unrolled: 2-line block ×3, first 2 shown]
	v_cmp_eq_u32_e32 vcc_lo, v11, v15
	v_cndmask_b32_e32 v11, v22, v17, vcc_lo
	v_cmp_eq_u32_e32 vcc_lo, v24, v15
	v_add_nc_u64_e32 v[16:17], 2, v[12:13]
	v_add_nc_u64_e32 v[22:23], 1, v[12:13]
	v_cndmask_b32_e32 v14, v25, v14, vcc_lo
	v_cmp_ne_u32_e32 vcc_lo, 0, v11
	s_delay_alu instid0(VALU_DEP_2) | instskip(NEXT) | instid1(VALU_DEP_4)
	v_cmp_ne_u32_e64 s0, 0, v14
	v_dual_cndmask_b32 v11, v23, v17 :: v_dual_cndmask_b32 v14, v22, v16
                                        ; implicit-def: $vgpr16_vgpr17
	s_delay_alu instid0(VALU_DEP_1) | instskip(NEXT) | instid1(VALU_DEP_1)
	v_dual_cndmask_b32 v13, v13, v11, s0 :: v_dual_cndmask_b32 v12, v12, v14, s0
	v_dual_mov_b32 v11, v10 :: v_dual_bitop2_b32 v13, v13, v10 bitop3:0x14
	s_delay_alu instid0(VALU_DEP_2) | instskip(NEXT) | instid1(VALU_DEP_1)
	v_xor_b32_e32 v12, v12, v10
	v_sub_nc_u64_e32 v[10:11], v[12:13], v[10:11]
                                        ; implicit-def: $vgpr12_vgpr13
.LBB124_53:                             ;   in Loop: Header=BB124_39 Depth=1
	s_and_not1_saveexec_b32 s0, s14
	s_cbranch_execz .LBB124_38
; %bb.54:                               ;   in Loop: Header=BB124_39 Depth=1
	v_cvt_f32_u32_e32 v10, v16
	v_sub_nc_u32_e32 v11, 0, v16
	s_delay_alu instid0(VALU_DEP_2) | instskip(SKIP_1) | instid1(TRANS32_DEP_1)
	v_rcp_iflag_f32_e32 v10, v10
	v_nop
	v_mul_f32_e32 v10, 0x4f7ffffe, v10
	s_delay_alu instid0(VALU_DEP_1) | instskip(NEXT) | instid1(VALU_DEP_1)
	v_cvt_u32_f32_e32 v10, v10
	v_mul_lo_u32 v11, v11, v10
	s_delay_alu instid0(VALU_DEP_1) | instskip(NEXT) | instid1(VALU_DEP_1)
	v_mul_hi_u32 v11, v10, v11
	v_add_nc_u32_e32 v10, v10, v11
	s_delay_alu instid0(VALU_DEP_1) | instskip(NEXT) | instid1(VALU_DEP_1)
	v_mul_hi_u32 v10, v12, v10
	v_mul_lo_u32 v11, v10, v16
	s_delay_alu instid0(VALU_DEP_1) | instskip(NEXT) | instid1(VALU_DEP_1)
	v_dual_sub_nc_u32 v11, v12, v11 :: v_dual_add_nc_u32 v12, 1, v10
	v_sub_nc_u32_e32 v13, v11, v16
	v_cmp_ge_u32_e32 vcc_lo, v11, v16
	s_delay_alu instid0(VALU_DEP_2) | instskip(NEXT) | instid1(VALU_DEP_1)
	v_dual_cndmask_b32 v11, v11, v13 :: v_dual_cndmask_b32 v10, v10, v12
	v_cmp_ge_u32_e32 vcc_lo, v11, v16
	s_delay_alu instid0(VALU_DEP_2) | instskip(NEXT) | instid1(VALU_DEP_1)
	v_dual_mov_b32 v11, v28 :: v_dual_add_nc_u32 v12, 1, v10
	v_cndmask_b32_e32 v10, v10, v12, vcc_lo
	s_branch .LBB124_38
.LBB124_55:
	s_sendmsg sendmsg(MSG_DEALLOC_VGPRS)
	s_endpgm
	.section	.rodata,"a",@progbits
	.p2align	6, 0x0
	.amdhsa_kernel _ZN2at6native12_GLOBAL__N_125multi_tensor_apply_kernelINS1_28TensorListScalarListMetadataIlLi3EEENS1_28PointwiseOpScalarListFunctorIlLi3ELi3ELi0EEEJSt7dividesIlEEEEvT_T0_DpT1_
		.amdhsa_group_segment_fixed_size 0
		.amdhsa_private_segment_fixed_size 0
		.amdhsa_kernarg_size 3784
		.amdhsa_user_sgpr_count 2
		.amdhsa_user_sgpr_dispatch_ptr 0
		.amdhsa_user_sgpr_queue_ptr 0
		.amdhsa_user_sgpr_kernarg_segment_ptr 1
		.amdhsa_user_sgpr_dispatch_id 0
		.amdhsa_user_sgpr_kernarg_preload_length 0
		.amdhsa_user_sgpr_kernarg_preload_offset 0
		.amdhsa_user_sgpr_private_segment_size 0
		.amdhsa_wavefront_size32 1
		.amdhsa_uses_dynamic_stack 0
		.amdhsa_enable_private_segment 0
		.amdhsa_system_sgpr_workgroup_id_x 1
		.amdhsa_system_sgpr_workgroup_id_y 0
		.amdhsa_system_sgpr_workgroup_id_z 0
		.amdhsa_system_sgpr_workgroup_info 0
		.amdhsa_system_vgpr_workitem_id 0
		.amdhsa_next_free_vgpr 88
		.amdhsa_next_free_sgpr 30
		.amdhsa_named_barrier_count 0
		.amdhsa_reserve_vcc 1
		.amdhsa_float_round_mode_32 0
		.amdhsa_float_round_mode_16_64 0
		.amdhsa_float_denorm_mode_32 3
		.amdhsa_float_denorm_mode_16_64 3
		.amdhsa_fp16_overflow 0
		.amdhsa_memory_ordered 1
		.amdhsa_forward_progress 1
		.amdhsa_inst_pref_size 65
		.amdhsa_round_robin_scheduling 0
		.amdhsa_exception_fp_ieee_invalid_op 0
		.amdhsa_exception_fp_denorm_src 0
		.amdhsa_exception_fp_ieee_div_zero 0
		.amdhsa_exception_fp_ieee_overflow 0
		.amdhsa_exception_fp_ieee_underflow 0
		.amdhsa_exception_fp_ieee_inexact 0
		.amdhsa_exception_int_div_zero 0
	.end_amdhsa_kernel
	.section	.text._ZN2at6native12_GLOBAL__N_125multi_tensor_apply_kernelINS1_28TensorListScalarListMetadataIlLi3EEENS1_28PointwiseOpScalarListFunctorIlLi3ELi3ELi0EEEJSt7dividesIlEEEEvT_T0_DpT1_,"axG",@progbits,_ZN2at6native12_GLOBAL__N_125multi_tensor_apply_kernelINS1_28TensorListScalarListMetadataIlLi3EEENS1_28PointwiseOpScalarListFunctorIlLi3ELi3ELi0EEEJSt7dividesIlEEEEvT_T0_DpT1_,comdat
.Lfunc_end124:
	.size	_ZN2at6native12_GLOBAL__N_125multi_tensor_apply_kernelINS1_28TensorListScalarListMetadataIlLi3EEENS1_28PointwiseOpScalarListFunctorIlLi3ELi3ELi0EEEJSt7dividesIlEEEEvT_T0_DpT1_, .Lfunc_end124-_ZN2at6native12_GLOBAL__N_125multi_tensor_apply_kernelINS1_28TensorListScalarListMetadataIlLi3EEENS1_28PointwiseOpScalarListFunctorIlLi3ELi3ELi0EEEJSt7dividesIlEEEEvT_T0_DpT1_
                                        ; -- End function
	.set _ZN2at6native12_GLOBAL__N_125multi_tensor_apply_kernelINS1_28TensorListScalarListMetadataIlLi3EEENS1_28PointwiseOpScalarListFunctorIlLi3ELi3ELi0EEEJSt7dividesIlEEEEvT_T0_DpT1_.num_vgpr, 88
	.set _ZN2at6native12_GLOBAL__N_125multi_tensor_apply_kernelINS1_28TensorListScalarListMetadataIlLi3EEENS1_28PointwiseOpScalarListFunctorIlLi3ELi3ELi0EEEJSt7dividesIlEEEEvT_T0_DpT1_.num_agpr, 0
	.set _ZN2at6native12_GLOBAL__N_125multi_tensor_apply_kernelINS1_28TensorListScalarListMetadataIlLi3EEENS1_28PointwiseOpScalarListFunctorIlLi3ELi3ELi0EEEJSt7dividesIlEEEEvT_T0_DpT1_.numbered_sgpr, 30
	.set _ZN2at6native12_GLOBAL__N_125multi_tensor_apply_kernelINS1_28TensorListScalarListMetadataIlLi3EEENS1_28PointwiseOpScalarListFunctorIlLi3ELi3ELi0EEEJSt7dividesIlEEEEvT_T0_DpT1_.num_named_barrier, 0
	.set _ZN2at6native12_GLOBAL__N_125multi_tensor_apply_kernelINS1_28TensorListScalarListMetadataIlLi3EEENS1_28PointwiseOpScalarListFunctorIlLi3ELi3ELi0EEEJSt7dividesIlEEEEvT_T0_DpT1_.private_seg_size, 0
	.set _ZN2at6native12_GLOBAL__N_125multi_tensor_apply_kernelINS1_28TensorListScalarListMetadataIlLi3EEENS1_28PointwiseOpScalarListFunctorIlLi3ELi3ELi0EEEJSt7dividesIlEEEEvT_T0_DpT1_.uses_vcc, 1
	.set _ZN2at6native12_GLOBAL__N_125multi_tensor_apply_kernelINS1_28TensorListScalarListMetadataIlLi3EEENS1_28PointwiseOpScalarListFunctorIlLi3ELi3ELi0EEEJSt7dividesIlEEEEvT_T0_DpT1_.uses_flat_scratch, 0
	.set _ZN2at6native12_GLOBAL__N_125multi_tensor_apply_kernelINS1_28TensorListScalarListMetadataIlLi3EEENS1_28PointwiseOpScalarListFunctorIlLi3ELi3ELi0EEEJSt7dividesIlEEEEvT_T0_DpT1_.has_dyn_sized_stack, 0
	.set _ZN2at6native12_GLOBAL__N_125multi_tensor_apply_kernelINS1_28TensorListScalarListMetadataIlLi3EEENS1_28PointwiseOpScalarListFunctorIlLi3ELi3ELi0EEEJSt7dividesIlEEEEvT_T0_DpT1_.has_recursion, 0
	.set _ZN2at6native12_GLOBAL__N_125multi_tensor_apply_kernelINS1_28TensorListScalarListMetadataIlLi3EEENS1_28PointwiseOpScalarListFunctorIlLi3ELi3ELi0EEEJSt7dividesIlEEEEvT_T0_DpT1_.has_indirect_call, 0
	.section	.AMDGPU.csdata,"",@progbits
; Kernel info:
; codeLenInByte = 8256
; TotalNumSgprs: 32
; NumVgprs: 88
; ScratchSize: 0
; MemoryBound: 1
; FloatMode: 240
; IeeeMode: 1
; LDSByteSize: 0 bytes/workgroup (compile time only)
; SGPRBlocks: 0
; VGPRBlocks: 5
; NumSGPRsForWavesPerEU: 32
; NumVGPRsForWavesPerEU: 88
; NamedBarCnt: 0
; Occupancy: 10
; WaveLimiterHint : 1
; COMPUTE_PGM_RSRC2:SCRATCH_EN: 0
; COMPUTE_PGM_RSRC2:USER_SGPR: 2
; COMPUTE_PGM_RSRC2:TRAP_HANDLER: 0
; COMPUTE_PGM_RSRC2:TGID_X_EN: 1
; COMPUTE_PGM_RSRC2:TGID_Y_EN: 0
; COMPUTE_PGM_RSRC2:TGID_Z_EN: 0
; COMPUTE_PGM_RSRC2:TIDIG_COMP_CNT: 0
	.section	.text._ZN2at6native12_GLOBAL__N_125multi_tensor_apply_kernelINS1_28TensorListScalarListMetadataIsLi3EEENS1_28PointwiseOpScalarListFunctorIsLi3ELi3ELi0EEEJSt7dividesIsEEEEvT_T0_DpT1_,"axG",@progbits,_ZN2at6native12_GLOBAL__N_125multi_tensor_apply_kernelINS1_28TensorListScalarListMetadataIsLi3EEENS1_28PointwiseOpScalarListFunctorIsLi3ELi3ELi0EEEJSt7dividesIsEEEEvT_T0_DpT1_,comdat
	.globl	_ZN2at6native12_GLOBAL__N_125multi_tensor_apply_kernelINS1_28TensorListScalarListMetadataIsLi3EEENS1_28PointwiseOpScalarListFunctorIsLi3ELi3ELi0EEEJSt7dividesIsEEEEvT_T0_DpT1_ ; -- Begin function _ZN2at6native12_GLOBAL__N_125multi_tensor_apply_kernelINS1_28TensorListScalarListMetadataIsLi3EEENS1_28PointwiseOpScalarListFunctorIsLi3ELi3ELi0EEEJSt7dividesIsEEEEvT_T0_DpT1_
	.p2align	8
	.type	_ZN2at6native12_GLOBAL__N_125multi_tensor_apply_kernelINS1_28TensorListScalarListMetadataIsLi3EEENS1_28PointwiseOpScalarListFunctorIsLi3ELi3ELi0EEEJSt7dividesIsEEEEvT_T0_DpT1_,@function
_ZN2at6native12_GLOBAL__N_125multi_tensor_apply_kernelINS1_28TensorListScalarListMetadataIsLi3EEENS1_28PointwiseOpScalarListFunctorIsLi3ELi3ELi0EEEJSt7dividesIsEEEEvT_T0_DpT1_: ; @_ZN2at6native12_GLOBAL__N_125multi_tensor_apply_kernelINS1_28TensorListScalarListMetadataIsLi3EEENS1_28PointwiseOpScalarListFunctorIsLi3ELi3ELi0EEEJSt7dividesIsEEEEvT_T0_DpT1_
; %bb.0:
	s_bfe_u32 s2, ttmp6, 0x4000c
	s_and_b32 s3, ttmp6, 15
	s_add_co_i32 s2, s2, 1
	s_getreg_b32 s4, hwreg(HW_REG_IB_STS2, 6, 4)
	s_mul_i32 s2, ttmp9, s2
	v_mov_b32_e32 v3, 0
	s_add_co_i32 s3, s3, s2
	s_cmp_eq_u32 s4, 0
	s_cselect_b32 s2, ttmp9, s3
	s_mov_b32 s3, 0
	v_mov_b32_e32 v1, s2
	s_add_nc_u64 s[4:5], s[0:1], s[2:3]
	s_mul_u64 s[6:7], s[2:3], 3
	s_delay_alu instid0(SALU_CYCLE_1) | instskip(SKIP_4) | instid1(VALU_DEP_1)
	s_add_nc_u64 s[4:5], s[4:5], s[6:7]
	global_load_u8 v1, v1, s[0:1] offset:1632
	s_load_b32 s4, s[4:5], 0x7a0
	s_wait_loadcnt 0x0
	v_readfirstlane_b32 s2, v1
	v_mov_b32_e32 v2, s2
	s_wait_xcnt 0x0
	s_and_b32 s5, s2, 0xff
	s_delay_alu instid0(SALU_CYCLE_1) | instskip(NEXT) | instid1(SALU_CYCLE_1)
	s_lshl_b32 s2, s5, 3
	s_add_nc_u64 s[6:7], s[0:1], s[2:3]
	v_and_b32_e32 v2, 0xff, v2
	s_delay_alu instid0(VALU_DEP_1) | instskip(NEXT) | instid1(VALU_DEP_1)
	v_mul_u64_e32 v[2:3], -6, v[2:3]
	v_add_nc_u64_e32 v[2:3], s[6:7], v[2:3]
	global_load_u16 v36, v[2:3], off offset:1536
	s_clause 0x3
	s_load_b64 s[8:9], s[0:1], s5 offset:0x180 scale_offset
	s_load_b64 s[10:11], s[0:1], s5 offset:0x300 scale_offset
	s_load_b64 s[12:13], s[0:1], s5 offset:0x0 scale_offset
	s_load_b64 s[6:7], s[0:1], s5 offset:0x480 scale_offset
	s_wait_kmcnt 0x0
	s_ashr_i32 s5, s4, 31
	s_delay_alu instid0(SALU_CYCLE_1) | instskip(NEXT) | instid1(SALU_CYCLE_1)
	s_lshl_b64 s[14:15], s[4:5], 17
	s_add_nc_u64 s[16:17], s[8:9], s[14:15]
	s_delay_alu instid0(SALU_CYCLE_1) | instskip(SKIP_2) | instid1(SALU_CYCLE_1)
	s_or_b32 s2, s10, s16
	s_and_b64 s[16:17], s[12:13], 7
	s_and_b32 s2, s2, 7
	s_cmp_eq_u32 s2, 0
	s_cselect_b32 s18, -1, 0
	s_and_b32 s2, s6, 3
	s_lshl_b64 s[4:5], s[4:5], 16
	s_or_b64 s[2:3], s[16:17], s[2:3]
	s_sub_nc_u64 s[16:17], s[6:7], s[4:5]
	s_cmp_eq_u64 s[2:3], 0
	s_cselect_b32 s2, -1, 0
	s_delay_alu instid0(SALU_CYCLE_1) | instskip(NEXT) | instid1(SALU_CYCLE_1)
	s_and_b32 s2, s18, s2
	s_and_b32 vcc_lo, exec_lo, s2
	s_mov_b32 s2, -1
	s_cbranch_vccnz .LBB125_45
; %bb.1:
	v_cmp_lt_i64_e64 s2, s[16:17], 1
	s_and_b32 vcc_lo, exec_lo, s2
	s_cbranch_vccnz .LBB125_44
; %bb.2:
	s_load_b32 s2, s[0:1], 0xcb4
	v_min_i64 v[2:3], 0x10000, s[16:17]
	v_min_u64 v[4:5], 0x10000, s[16:17]
	v_dual_mov_b32 v1, 0 :: v_dual_lshlrev_b32 v12, 1, v0
	s_mov_b32 s21, 0
	s_wait_loadcnt 0x0
	v_and_b32_e32 v37, 0xffff, v36
	s_mov_b32 s19, s21
	v_dual_mov_b32 v13, v1 :: v_dual_mov_b32 v35, v1
	s_mov_b32 s3, s21
	s_mov_b32 s5, s21
	s_mov_b64 s[22:23], 0
	s_delay_alu instid0(VALU_DEP_1) | instskip(SKIP_3) | instid1(SALU_CYCLE_1)
	v_add_nc_u64_e32 v[6:7], s[12:13], v[12:13]
	v_add_nc_u64_e32 v[8:9], s[8:9], v[12:13]
	s_wait_kmcnt 0x0
	s_and_b32 s20, s2, 0xffff
	v_add_nc_u64_e32 v[10:11], s[20:21], v[0:1]
	v_mad_nc_u64_u32 v[28:29], s20, 6, v[12:13]
	s_lshl_b32 s18, s20, 2
	s_mul_i32 s4, s20, 3
	v_add_nc_u64_e32 v[22:23], s[18:19], v[12:13]
	s_lshl_b32 s2, s20, 1
	v_add_nc_u64_e32 v[12:13], s[10:11], v[12:13]
	v_lshlrev_b32_e32 v34, 1, v10
	v_add_nc_u64_e32 v[14:15], s[4:5], v[0:1]
	v_add_nc_u64_e32 v[16:17], s[2:3], v[0:1]
	v_cmp_ne_u32_e64 s2, 1, v37
	v_add_nc_u64_e32 v[18:19], s[12:13], v[22:23]
	v_add_nc_u64_e32 v[20:21], s[8:9], v[22:23]
	;; [unrolled: 1-line block ×9, first 2 shown]
	s_lshl_b32 s20, s20, 3
	s_branch .LBB125_4
.LBB125_3:                              ;   in Loop: Header=BB125_4 Depth=1
	s_wait_xcnt 0x0
	s_or_b32 exec_lo, exec_lo, s3
	s_add_nc_u64 s[22:23], s[22:23], s[18:19]
	v_add_nc_u64_e32 v[6:7], s[20:21], v[6:7]
	v_cmp_ge_i64_e32 vcc_lo, s[22:23], v[2:3]
	v_add_nc_u64_e32 v[8:9], s[20:21], v[8:9]
	v_add_nc_u64_e32 v[12:13], s[20:21], v[12:13]
	;; [unrolled: 1-line block ×11, first 2 shown]
	s_cbranch_vccnz .LBB125_44
.LBB125_4:                              ; =>This Inner Loop Header: Depth=1
	v_add_nc_u64_e32 v[38:39], s[22:23], v[0:1]
	v_dual_mov_b32 v45, 0 :: v_dual_mov_b32 v48, 0
	v_mov_b32_e32 v40, 0
	s_delay_alu instid0(VALU_DEP_3)
	v_cmp_lt_u64_e64 s3, v[38:39], v[4:5]
	s_and_saveexec_b32 s4, s3
	s_cbranch_execz .LBB125_6
; %bb.5:                                ;   in Loop: Header=BB125_4 Depth=1
	v_add_nc_u64_e32 v[38:39], s[14:15], v[6:7]
	v_add_nc_u64_e32 v[42:43], s[14:15], v[8:9]
	global_load_u16 v40, v[38:39], off
	global_load_i16 v48, v[42:43], off
.LBB125_6:                              ;   in Loop: Header=BB125_4 Depth=1
	s_wait_xcnt 0x0
	s_or_b32 exec_lo, exec_lo, s4
	s_and_saveexec_b32 s4, s3
	s_cbranch_execz .LBB125_8
; %bb.7:                                ;   in Loop: Header=BB125_4 Depth=1
	v_add_nc_u64_e32 v[38:39], s[14:15], v[12:13]
	global_load_i16 v45, v[38:39], off
.LBB125_8:                              ;   in Loop: Header=BB125_4 Depth=1
	s_wait_xcnt 0x0
	s_or_b32 exec_lo, exec_lo, s4
	v_add_nc_u64_e32 v[38:39], s[22:23], v[10:11]
	v_dual_mov_b32 v47, 0 :: v_dual_mov_b32 v46, 0
	s_delay_alu instid0(VALU_DEP_2)
	v_cmp_lt_u64_e64 s4, v[38:39], v[4:5]
	v_mov_b32_e32 v39, 0
	s_and_saveexec_b32 s5, s4
	s_cbranch_execz .LBB125_10
; %bb.9:                                ;   in Loop: Header=BB125_4 Depth=1
	v_add_nc_u64_e32 v[42:43], s[14:15], v[30:31]
	v_add_nc_u64_e32 v[50:51], s[14:15], v[32:33]
	global_load_u16 v39, v[42:43], off
	global_load_i16 v47, v[50:51], off
.LBB125_10:                             ;   in Loop: Header=BB125_4 Depth=1
	s_wait_xcnt 0x0
	s_or_b32 exec_lo, exec_lo, s5
	s_and_saveexec_b32 s5, s4
	s_cbranch_execz .LBB125_12
; %bb.11:                               ;   in Loop: Header=BB125_4 Depth=1
	v_add_nc_u64_e32 v[42:43], s[14:15], v[34:35]
	global_load_i16 v46, v[42:43], off
.LBB125_12:                             ;   in Loop: Header=BB125_4 Depth=1
	s_wait_xcnt 0x0
	s_or_b32 exec_lo, exec_lo, s5
	v_add_nc_u64_e32 v[42:43], s[22:23], v[16:17]
	v_dual_mov_b32 v38, 0 :: v_dual_mov_b32 v44, 0
	s_delay_alu instid0(VALU_DEP_2)
	v_cmp_lt_u64_e64 s5, v[42:43], v[4:5]
	v_mov_b32_e32 v43, 0
	s_and_saveexec_b32 s6, s5
	s_cbranch_execz .LBB125_14
; %bb.13:                               ;   in Loop: Header=BB125_4 Depth=1
	v_add_nc_u64_e32 v[50:51], s[14:15], v[18:19]
	v_add_nc_u64_e32 v[52:53], s[14:15], v[20:21]
	global_load_u16 v38, v[50:51], off
	global_load_i16 v44, v[52:53], off
.LBB125_14:                             ;   in Loop: Header=BB125_4 Depth=1
	s_wait_xcnt 0x0
	s_or_b32 exec_lo, exec_lo, s6
	s_and_saveexec_b32 s6, s5
	s_cbranch_execz .LBB125_16
; %bb.15:                               ;   in Loop: Header=BB125_4 Depth=1
	v_add_nc_u64_e32 v[42:43], s[14:15], v[22:23]
	global_load_i16 v43, v[42:43], off
.LBB125_16:                             ;   in Loop: Header=BB125_4 Depth=1
	s_wait_xcnt 0x0
	s_or_b32 exec_lo, exec_lo, s6
	v_add_nc_u64_e32 v[50:51], s[22:23], v[14:15]
	v_dual_mov_b32 v37, 0 :: v_dual_mov_b32 v41, 0
	v_mov_b32_e32 v42, 0
	s_delay_alu instid0(VALU_DEP_3)
	v_cmp_lt_u64_e64 s6, v[50:51], v[4:5]
	s_and_saveexec_b32 s7, s6
	s_cbranch_execz .LBB125_18
; %bb.17:                               ;   in Loop: Header=BB125_4 Depth=1
	v_add_nc_u64_e32 v[50:51], s[14:15], v[24:25]
	v_add_nc_u64_e32 v[52:53], s[14:15], v[26:27]
	global_load_u16 v37, v[50:51], off
	global_load_i16 v42, v[52:53], off
.LBB125_18:                             ;   in Loop: Header=BB125_4 Depth=1
	s_wait_xcnt 0x0
	s_or_b32 exec_lo, exec_lo, s7
	s_and_saveexec_b32 s7, s6
	s_cbranch_execz .LBB125_20
; %bb.19:                               ;   in Loop: Header=BB125_4 Depth=1
	v_add_nc_u64_e32 v[50:51], s[14:15], v[28:29]
	global_load_i16 v41, v[50:51], off
.LBB125_20:                             ;   in Loop: Header=BB125_4 Depth=1
	s_wait_xcnt 0x0
	s_or_b32 exec_lo, exec_lo, s7
	s_wait_loadcnt 0x0
	v_cvt_f32_i32_e32 v49, v45
	v_cvt_f32_i32_e32 v51, v48
	s_mov_b32 s7, -1
	v_xor_b32_e32 v45, v48, v45
	s_delay_alu instid0(VALU_DEP_3) | instskip(SKIP_1) | instid1(TRANS32_DEP_1)
	v_rcp_iflag_f32_e32 v50, v49
	v_nop
	v_dual_mul_f32 v50, v51, v50 :: v_dual_ashrrev_i32 v45, 30, v45
	s_delay_alu instid0(VALU_DEP_1) | instskip(NEXT) | instid1(VALU_DEP_2)
	v_or_b32_e32 v45, 1, v45
	v_trunc_f32_e32 v48, v50
	s_delay_alu instid0(VALU_DEP_1) | instskip(SKIP_1) | instid1(VALU_DEP_2)
	v_fma_f32 v50, -v48, v49, v51
	v_cvt_i32_f32_e32 v48, v48
	v_cmp_ge_f32_e64 vcc_lo, |v50|, |v49|
	v_cndmask_b32_e32 v45, 0, v45, vcc_lo
	s_and_b32 vcc_lo, exec_lo, s2
	s_delay_alu instid0(VALU_DEP_1)
	v_add_nc_u32_e32 v48, v48, v45
                                        ; implicit-def: $vgpr45
	s_cbranch_vccz .LBB125_22
; %bb.21:                               ;   in Loop: Header=BB125_4 Depth=1
	s_delay_alu instid0(VALU_DEP_1)
	v_mad_u16 v45, v36, v48, v40
	s_mov_b32 s7, 0
.LBB125_22:                             ;   in Loop: Header=BB125_4 Depth=1
	s_delay_alu instid0(SALU_CYCLE_1)
	s_and_not1_b32 vcc_lo, exec_lo, s7
	s_cbranch_vccnz .LBB125_24
; %bb.23:                               ;   in Loop: Header=BB125_4 Depth=1
	s_delay_alu instid0(VALU_DEP_1)
	v_add_nc_u16 v45, v40, v48
.LBB125_24:                             ;   in Loop: Header=BB125_4 Depth=1
	v_cvt_f32_i32_e32 v40, v46
	v_cvt_f32_i32_e32 v49, v47
	s_mov_b32 s7, -1
	v_xor_b32_e32 v46, v47, v46
	s_delay_alu instid0(VALU_DEP_3) | instskip(SKIP_1) | instid1(TRANS32_DEP_1)
	v_rcp_iflag_f32_e32 v48, v40
	v_nop
	v_mul_f32_e32 v48, v49, v48
	s_delay_alu instid0(VALU_DEP_1) | instskip(NEXT) | instid1(VALU_DEP_1)
	v_trunc_f32_e32 v47, v48
	v_dual_ashrrev_i32 v46, 30, v46 :: v_dual_fma_f32 v48, -v47, v40, v49
	s_delay_alu instid0(VALU_DEP_1) | instskip(SKIP_1) | instid1(VALU_DEP_3)
	v_or_b32_e32 v46, 1, v46
	v_cvt_i32_f32_e32 v47, v47
	v_cmp_ge_f32_e64 vcc_lo, |v48|, |v40|
	s_delay_alu instid0(VALU_DEP_3) | instskip(SKIP_1) | instid1(VALU_DEP_1)
	v_cndmask_b32_e32 v40, 0, v46, vcc_lo
	s_and_not1_b32 vcc_lo, exec_lo, s2
	v_add_nc_u32_e32 v46, v47, v40
                                        ; implicit-def: $vgpr40
	s_cbranch_vccnz .LBB125_26
; %bb.25:                               ;   in Loop: Header=BB125_4 Depth=1
	s_delay_alu instid0(VALU_DEP_1)
	v_mad_u16 v40, v36, v46, v39
	s_mov_b32 s7, 0
.LBB125_26:                             ;   in Loop: Header=BB125_4 Depth=1
	s_delay_alu instid0(SALU_CYCLE_1)
	s_and_not1_b32 vcc_lo, exec_lo, s7
	s_cbranch_vccnz .LBB125_28
; %bb.27:                               ;   in Loop: Header=BB125_4 Depth=1
	s_delay_alu instid0(VALU_DEP_1)
	v_add_nc_u16 v40, v39, v46
.LBB125_28:                             ;   in Loop: Header=BB125_4 Depth=1
	v_cvt_f32_i32_e32 v39, v43
	v_cvt_f32_i32_e32 v47, v44
	s_mov_b32 s7, -1
	v_xor_b32_e32 v43, v44, v43
	s_delay_alu instid0(VALU_DEP_3) | instskip(SKIP_1) | instid1(TRANS32_DEP_1)
	v_rcp_iflag_f32_e32 v46, v39
	v_nop
	v_dual_mul_f32 v46, v47, v46 :: v_dual_ashrrev_i32 v43, 30, v43
	s_delay_alu instid0(VALU_DEP_1) | instskip(NEXT) | instid1(VALU_DEP_2)
	v_or_b32_e32 v43, 1, v43
	v_trunc_f32_e32 v44, v46
	s_delay_alu instid0(VALU_DEP_1) | instskip(SKIP_1) | instid1(VALU_DEP_2)
	v_fma_f32 v46, -v44, v39, v47
	v_cvt_i32_f32_e32 v44, v44
	v_cmp_ge_f32_e64 vcc_lo, |v46|, |v39|
	v_cndmask_b32_e32 v39, 0, v43, vcc_lo
	s_and_not1_b32 vcc_lo, exec_lo, s2
	s_delay_alu instid0(VALU_DEP_1)
	v_add_nc_u32_e32 v43, v44, v39
                                        ; implicit-def: $vgpr39
	s_cbranch_vccnz .LBB125_30
; %bb.29:                               ;   in Loop: Header=BB125_4 Depth=1
	s_delay_alu instid0(VALU_DEP_1)
	v_mad_u16 v39, v36, v43, v38
	s_mov_b32 s7, 0
.LBB125_30:                             ;   in Loop: Header=BB125_4 Depth=1
	s_delay_alu instid0(SALU_CYCLE_1)
	s_and_not1_b32 vcc_lo, exec_lo, s7
	s_cbranch_vccnz .LBB125_32
; %bb.31:                               ;   in Loop: Header=BB125_4 Depth=1
	s_delay_alu instid0(VALU_DEP_1)
	v_add_nc_u16 v39, v38, v43
.LBB125_32:                             ;   in Loop: Header=BB125_4 Depth=1
	v_cvt_f32_i32_e32 v38, v41
	v_cvt_f32_i32_e32 v44, v42
	s_mov_b32 s7, -1
	v_xor_b32_e32 v41, v42, v41
	s_delay_alu instid0(VALU_DEP_3) | instskip(SKIP_1) | instid1(TRANS32_DEP_1)
	v_rcp_iflag_f32_e32 v43, v38
	v_nop
	v_mul_f32_e32 v43, v44, v43
	s_delay_alu instid0(VALU_DEP_1) | instskip(NEXT) | instid1(VALU_DEP_1)
	v_trunc_f32_e32 v42, v43
	v_dual_ashrrev_i32 v41, 30, v41 :: v_dual_fma_f32 v43, -v42, v38, v44
	s_delay_alu instid0(VALU_DEP_1) | instskip(SKIP_1) | instid1(VALU_DEP_3)
	v_or_b32_e32 v41, 1, v41
	v_cvt_i32_f32_e32 v42, v42
	v_cmp_ge_f32_e64 vcc_lo, |v43|, |v38|
	s_delay_alu instid0(VALU_DEP_3) | instskip(SKIP_1) | instid1(VALU_DEP_1)
	v_cndmask_b32_e32 v38, 0, v41, vcc_lo
	s_and_not1_b32 vcc_lo, exec_lo, s2
	v_add_nc_u32_e32 v41, v42, v38
                                        ; implicit-def: $vgpr38
	s_cbranch_vccz .LBB125_38
; %bb.33:                               ;   in Loop: Header=BB125_4 Depth=1
	s_and_not1_b32 vcc_lo, exec_lo, s7
	s_cbranch_vccz .LBB125_39
.LBB125_34:                             ;   in Loop: Header=BB125_4 Depth=1
	s_and_saveexec_b32 s7, s3
	s_delay_alu instid0(SALU_CYCLE_1)
	s_xor_b32 s3, exec_lo, s7
	s_cbranch_execnz .LBB125_40
.LBB125_35:                             ;   in Loop: Header=BB125_4 Depth=1
	s_or_b32 exec_lo, exec_lo, s3
	s_and_saveexec_b32 s3, s4
	s_cbranch_execnz .LBB125_41
.LBB125_36:                             ;   in Loop: Header=BB125_4 Depth=1
	s_or_b32 exec_lo, exec_lo, s3
	s_and_saveexec_b32 s3, s5
	s_cbranch_execnz .LBB125_42
.LBB125_37:                             ;   in Loop: Header=BB125_4 Depth=1
	s_or_b32 exec_lo, exec_lo, s3
	s_and_saveexec_b32 s3, s6
	s_cbranch_execz .LBB125_3
	s_branch .LBB125_43
.LBB125_38:                             ;   in Loop: Header=BB125_4 Depth=1
	s_delay_alu instid0(VALU_DEP_1)
	v_mad_u16 v38, v36, v41, v37
	s_cbranch_execnz .LBB125_34
.LBB125_39:                             ;   in Loop: Header=BB125_4 Depth=1
	s_delay_alu instid0(VALU_DEP_1) | instskip(SKIP_1) | instid1(SALU_CYCLE_1)
	v_add_nc_u16 v38, v37, v41
	s_and_saveexec_b32 s7, s3
	s_xor_b32 s3, exec_lo, s7
	s_cbranch_execz .LBB125_35
.LBB125_40:                             ;   in Loop: Header=BB125_4 Depth=1
	v_add_nc_u64_e32 v[42:43], s[14:15], v[6:7]
	global_store_b16 v[42:43], v45, off
	s_wait_xcnt 0x0
	s_or_b32 exec_lo, exec_lo, s3
	s_and_saveexec_b32 s3, s4
	s_cbranch_execz .LBB125_36
.LBB125_41:                             ;   in Loop: Header=BB125_4 Depth=1
	v_add_nc_u64_e32 v[42:43], s[14:15], v[30:31]
	global_store_b16 v[42:43], v40, off
	s_wait_xcnt 0x0
	s_or_b32 exec_lo, exec_lo, s3
	s_and_saveexec_b32 s3, s5
	s_cbranch_execz .LBB125_37
.LBB125_42:                             ;   in Loop: Header=BB125_4 Depth=1
	v_add_nc_u64_e32 v[40:41], s[14:15], v[18:19]
	global_store_b16 v[40:41], v39, off
	s_wait_xcnt 0x0
	s_or_b32 exec_lo, exec_lo, s3
	s_and_saveexec_b32 s3, s6
	s_cbranch_execz .LBB125_3
.LBB125_43:                             ;   in Loop: Header=BB125_4 Depth=1
	v_add_nc_u64_e32 v[40:41], s[14:15], v[24:25]
	global_store_b16 v[40:41], v38, off
	s_branch .LBB125_3
.LBB125_44:
	s_mov_b32 s2, 0
.LBB125_45:
	s_delay_alu instid0(SALU_CYCLE_1)
	s_and_not1_b32 vcc_lo, exec_lo, s2
	s_cbranch_vccnz .LBB125_49
; %bb.46:
	v_min_i64 v[2:3], 0x10000, s[16:17]
	v_dual_mov_b32 v5, 0 :: v_dual_lshlrev_b32 v4, 2, v0
	s_mov_b32 s2, exec_lo
	s_delay_alu instid0(VALU_DEP_1)
	v_cmpx_lt_i64_e64 v[4:5], v[2:3]
	s_cbranch_execz .LBB125_49
; %bb.47:
	s_load_b32 s0, s[0:1], 0xcb4
	v_dual_mov_b32 v1, v5 :: v_dual_lshlrev_b32 v4, 3, v0
	s_wait_xcnt 0x0
	s_mov_b32 s1, 0
	s_delay_alu instid0(SALU_CYCLE_1) | instskip(NEXT) | instid1(VALU_DEP_1)
	s_mov_b32 s3, s1
	v_add_nc_u64_e32 v[4:5], s[14:15], v[4:5]
	s_mov_b32 s4, s1
	s_wait_kmcnt 0x0
	s_and_b32 s0, s0, 0xffff
	s_delay_alu instid0(SALU_CYCLE_1)
	s_lshl_b32 s2, s0, 3
.LBB125_48:                             ; =>This Inner Loop Header: Depth=1
	s_delay_alu instid0(VALU_DEP_1)
	v_add_nc_u64_e32 v[6:7], s[8:9], v[4:5]
	v_add_nc_u64_e32 v[8:9], s[10:11], v[4:5]
	;; [unrolled: 1-line block ×5, first 2 shown]
	global_load_b64 v[12:13], v[6:7], off
	global_load_b64 v[14:15], v[8:9], off
	;; [unrolled: 1-line block ×3, first 2 shown]
	s_wait_loadcnt 0x2
	s_wait_xcnt 0x2
	v_bfe_i32 v6, v12, 0, 16
	s_wait_loadcnt 0x1
	v_bfe_i32 v7, v14, 0, 16
	s_wait_loadcnt 0x0
	s_wait_xcnt 0x1
	v_dual_lshrrev_b32 v8, 16, v16 :: v_dual_ashrrev_i32 v18, 16, v14
	v_ashrrev_i32_e32 v9, 16, v12
	v_alignbit_b32 v12, v13, v12, 16
	v_alignbit_b32 v14, v15, v14, 16
	v_xor_b32_e32 v19, v6, v7
	v_cvt_f32_i32_e32 v7, v7
	v_dual_ashrrev_i32 v13, 16, v13 :: v_dual_ashrrev_i32 v15, 16, v15
	v_xor_b32_e32 v20, v9, v18
	v_cvt_f32_i32_e32 v18, v18
	v_dual_ashrrev_i32 v12, 16, v12 :: v_dual_ashrrev_i32 v14, 16, v14
	s_delay_alu instid0(VALU_DEP_4)
	v_xor_b32_e32 v21, v13, v15
	v_rcp_iflag_f32_e32 v22, v7
	v_cvt_f32_i32_e32 v6, v6
	v_dual_ashrrev_i32 v19, 30, v19 :: v_dual_ashrrev_i32 v20, 30, v20
	v_cvt_f32_i32_e32 v15, v15
	v_rcp_iflag_f32_e32 v23, v18
	v_dual_ashrrev_i32 v21, 30, v21 :: v_dual_bitop2_b32 v24, v12, v14 bitop3:0x14
	v_cvt_f32_i32_e32 v14, v14
	v_cvt_f32_i32_e32 v9, v9
	v_dual_mul_f32 v22, v6, v22 :: v_dual_bitop2_b32 v20, 1, v20 bitop3:0x54
	v_rcp_iflag_f32_e32 v25, v15
	s_delay_alu instid0(VALU_DEP_3)
	v_rcp_iflag_f32_e32 v26, v14
	v_cvt_f32_i32_e32 v13, v13
	v_cvt_f32_i32_e32 v12, v12
	v_dual_mul_f32 v23, v9, v23 :: v_dual_bitop2_b32 v21, 1, v21 bitop3:0x54
	v_trunc_f32_e32 v22, v22
	v_dual_ashrrev_i32 v24, 30, v24 :: v_dual_bitop2_b32 v19, 1, v19 bitop3:0x54
	v_mul_f32_e32 v25, v13, v25
	s_delay_alu instid0(VALU_DEP_4) | instskip(NEXT) | instid1(VALU_DEP_4)
	v_trunc_f32_e32 v23, v23
	v_dual_mul_f32 v26, v12, v26 :: v_dual_fma_f32 v6, -v22, v7, v6
	s_delay_alu instid0(VALU_DEP_4) | instskip(NEXT) | instid1(VALU_DEP_4)
	v_or_b32_e32 v24, 1, v24
	v_trunc_f32_e32 v25, v25
	v_cvt_i32_f32_e32 v22, v22
	s_delay_alu instid0(VALU_DEP_4) | instskip(SKIP_4) | instid1(VALU_DEP_3)
	v_trunc_f32_e32 v26, v26
	v_cmp_ge_f32_e64 vcc_lo, |v6|, |v7|
	v_fma_f32 v9, -v23, v18, v9
	v_cvt_i32_f32_e32 v23, v23
	v_cndmask_b32_e32 v6, 0, v19, vcc_lo
	v_cmp_ge_f32_e64 vcc_lo, |v9|, |v18|
	v_fma_f32 v13, -v25, v15, v13
	v_cvt_i32_f32_e32 v25, v25
	v_cndmask_b32_e32 v7, 0, v20, vcc_lo
	s_delay_alu instid0(VALU_DEP_3) | instskip(SKIP_2) | instid1(VALU_DEP_3)
	v_cmp_ge_f32_e64 vcc_lo, |v13|, |v15|
	v_fma_f32 v9, -v26, v14, v12
	v_cvt_i32_f32_e32 v12, v26
	v_dual_add_nc_u32 v7, v23, v7 :: v_dual_cndmask_b32 v13, 0, v21, vcc_lo
	s_delay_alu instid0(VALU_DEP_3) | instskip(SKIP_1) | instid1(VALU_DEP_3)
	v_cmp_ge_f32_e64 vcc_lo, |v9|, |v14|
	v_dual_add_nc_u32 v6, v22, v6 :: v_dual_lshrrev_b32 v14, 16, v17
	v_mad_u16 v8, v36, v7, v8
	s_delay_alu instid0(VALU_DEP_3) | instskip(NEXT) | instid1(VALU_DEP_3)
	v_dual_add_nc_u32 v13, v25, v13 :: v_dual_cndmask_b32 v9, 0, v24, vcc_lo
	v_mad_u16 v15, v36, v6, v16
	v_lshlrev_b64_e32 v[6:7], 2, v[0:1]
	s_delay_alu instid0(VALU_DEP_3) | instskip(NEXT) | instid1(VALU_DEP_4)
	v_dual_lshlrev_b32 v8, 16, v8 :: v_dual_add_nc_u32 v9, v12, v9
	v_mad_u16 v12, v36, v13, v14
	s_delay_alu instid0(VALU_DEP_4) | instskip(NEXT) | instid1(VALU_DEP_4)
	v_and_b32_e32 v13, 0xffff, v15
	v_cmp_ge_i64_e32 vcc_lo, v[6:7], v[2:3]
	s_delay_alu instid0(VALU_DEP_3) | instskip(SKIP_1) | instid1(VALU_DEP_4)
	v_lshlrev_b32_e32 v12, 16, v12
	v_mad_u16 v9, v36, v9, v17
	v_or_b32_e32 v8, v8, v13
	s_or_b32 s4, vcc_lo, s4
	s_delay_alu instid0(VALU_DEP_2) | instskip(NEXT) | instid1(VALU_DEP_2)
	v_and_b32_e32 v9, 0xffff, v9
	v_or3_b32 v6, 0, v8, 0
	s_delay_alu instid0(VALU_DEP_2)
	v_or3_b32 v7, v9, 0, v12
	global_store_b64 v[10:11], v[6:7], off
	s_wait_xcnt 0x0
	s_and_not1_b32 exec_lo, exec_lo, s4
	s_cbranch_execnz .LBB125_48
.LBB125_49:
	s_endpgm
	.section	.rodata,"a",@progbits
	.p2align	6, 0x0
	.amdhsa_kernel _ZN2at6native12_GLOBAL__N_125multi_tensor_apply_kernelINS1_28TensorListScalarListMetadataIsLi3EEENS1_28PointwiseOpScalarListFunctorIsLi3ELi3ELi0EEEJSt7dividesIsEEEEvT_T0_DpT1_
		.amdhsa_group_segment_fixed_size 0
		.amdhsa_private_segment_fixed_size 0
		.amdhsa_kernarg_size 3496
		.amdhsa_user_sgpr_count 2
		.amdhsa_user_sgpr_dispatch_ptr 0
		.amdhsa_user_sgpr_queue_ptr 0
		.amdhsa_user_sgpr_kernarg_segment_ptr 1
		.amdhsa_user_sgpr_dispatch_id 0
		.amdhsa_user_sgpr_kernarg_preload_length 0
		.amdhsa_user_sgpr_kernarg_preload_offset 0
		.amdhsa_user_sgpr_private_segment_size 0
		.amdhsa_wavefront_size32 1
		.amdhsa_uses_dynamic_stack 0
		.amdhsa_enable_private_segment 0
		.amdhsa_system_sgpr_workgroup_id_x 1
		.amdhsa_system_sgpr_workgroup_id_y 0
		.amdhsa_system_sgpr_workgroup_id_z 0
		.amdhsa_system_sgpr_workgroup_info 0
		.amdhsa_system_vgpr_workitem_id 0
		.amdhsa_next_free_vgpr 54
		.amdhsa_next_free_sgpr 24
		.amdhsa_named_barrier_count 0
		.amdhsa_reserve_vcc 1
		.amdhsa_float_round_mode_32 0
		.amdhsa_float_round_mode_16_64 0
		.amdhsa_float_denorm_mode_32 3
		.amdhsa_float_denorm_mode_16_64 3
		.amdhsa_fp16_overflow 0
		.amdhsa_memory_ordered 1
		.amdhsa_forward_progress 1
		.amdhsa_inst_pref_size 19
		.amdhsa_round_robin_scheduling 0
		.amdhsa_exception_fp_ieee_invalid_op 0
		.amdhsa_exception_fp_denorm_src 0
		.amdhsa_exception_fp_ieee_div_zero 0
		.amdhsa_exception_fp_ieee_overflow 0
		.amdhsa_exception_fp_ieee_underflow 0
		.amdhsa_exception_fp_ieee_inexact 0
		.amdhsa_exception_int_div_zero 0
	.end_amdhsa_kernel
	.section	.text._ZN2at6native12_GLOBAL__N_125multi_tensor_apply_kernelINS1_28TensorListScalarListMetadataIsLi3EEENS1_28PointwiseOpScalarListFunctorIsLi3ELi3ELi0EEEJSt7dividesIsEEEEvT_T0_DpT1_,"axG",@progbits,_ZN2at6native12_GLOBAL__N_125multi_tensor_apply_kernelINS1_28TensorListScalarListMetadataIsLi3EEENS1_28PointwiseOpScalarListFunctorIsLi3ELi3ELi0EEEJSt7dividesIsEEEEvT_T0_DpT1_,comdat
.Lfunc_end125:
	.size	_ZN2at6native12_GLOBAL__N_125multi_tensor_apply_kernelINS1_28TensorListScalarListMetadataIsLi3EEENS1_28PointwiseOpScalarListFunctorIsLi3ELi3ELi0EEEJSt7dividesIsEEEEvT_T0_DpT1_, .Lfunc_end125-_ZN2at6native12_GLOBAL__N_125multi_tensor_apply_kernelINS1_28TensorListScalarListMetadataIsLi3EEENS1_28PointwiseOpScalarListFunctorIsLi3ELi3ELi0EEEJSt7dividesIsEEEEvT_T0_DpT1_
                                        ; -- End function
	.set _ZN2at6native12_GLOBAL__N_125multi_tensor_apply_kernelINS1_28TensorListScalarListMetadataIsLi3EEENS1_28PointwiseOpScalarListFunctorIsLi3ELi3ELi0EEEJSt7dividesIsEEEEvT_T0_DpT1_.num_vgpr, 54
	.set _ZN2at6native12_GLOBAL__N_125multi_tensor_apply_kernelINS1_28TensorListScalarListMetadataIsLi3EEENS1_28PointwiseOpScalarListFunctorIsLi3ELi3ELi0EEEJSt7dividesIsEEEEvT_T0_DpT1_.num_agpr, 0
	.set _ZN2at6native12_GLOBAL__N_125multi_tensor_apply_kernelINS1_28TensorListScalarListMetadataIsLi3EEENS1_28PointwiseOpScalarListFunctorIsLi3ELi3ELi0EEEJSt7dividesIsEEEEvT_T0_DpT1_.numbered_sgpr, 24
	.set _ZN2at6native12_GLOBAL__N_125multi_tensor_apply_kernelINS1_28TensorListScalarListMetadataIsLi3EEENS1_28PointwiseOpScalarListFunctorIsLi3ELi3ELi0EEEJSt7dividesIsEEEEvT_T0_DpT1_.num_named_barrier, 0
	.set _ZN2at6native12_GLOBAL__N_125multi_tensor_apply_kernelINS1_28TensorListScalarListMetadataIsLi3EEENS1_28PointwiseOpScalarListFunctorIsLi3ELi3ELi0EEEJSt7dividesIsEEEEvT_T0_DpT1_.private_seg_size, 0
	.set _ZN2at6native12_GLOBAL__N_125multi_tensor_apply_kernelINS1_28TensorListScalarListMetadataIsLi3EEENS1_28PointwiseOpScalarListFunctorIsLi3ELi3ELi0EEEJSt7dividesIsEEEEvT_T0_DpT1_.uses_vcc, 1
	.set _ZN2at6native12_GLOBAL__N_125multi_tensor_apply_kernelINS1_28TensorListScalarListMetadataIsLi3EEENS1_28PointwiseOpScalarListFunctorIsLi3ELi3ELi0EEEJSt7dividesIsEEEEvT_T0_DpT1_.uses_flat_scratch, 0
	.set _ZN2at6native12_GLOBAL__N_125multi_tensor_apply_kernelINS1_28TensorListScalarListMetadataIsLi3EEENS1_28PointwiseOpScalarListFunctorIsLi3ELi3ELi0EEEJSt7dividesIsEEEEvT_T0_DpT1_.has_dyn_sized_stack, 0
	.set _ZN2at6native12_GLOBAL__N_125multi_tensor_apply_kernelINS1_28TensorListScalarListMetadataIsLi3EEENS1_28PointwiseOpScalarListFunctorIsLi3ELi3ELi0EEEJSt7dividesIsEEEEvT_T0_DpT1_.has_recursion, 0
	.set _ZN2at6native12_GLOBAL__N_125multi_tensor_apply_kernelINS1_28TensorListScalarListMetadataIsLi3EEENS1_28PointwiseOpScalarListFunctorIsLi3ELi3ELi0EEEJSt7dividesIsEEEEvT_T0_DpT1_.has_indirect_call, 0
	.section	.AMDGPU.csdata,"",@progbits
; Kernel info:
; codeLenInByte = 2432
; TotalNumSgprs: 26
; NumVgprs: 54
; ScratchSize: 0
; MemoryBound: 0
; FloatMode: 240
; IeeeMode: 1
; LDSByteSize: 0 bytes/workgroup (compile time only)
; SGPRBlocks: 0
; VGPRBlocks: 3
; NumSGPRsForWavesPerEU: 26
; NumVGPRsForWavesPerEU: 54
; NamedBarCnt: 0
; Occupancy: 16
; WaveLimiterHint : 0
; COMPUTE_PGM_RSRC2:SCRATCH_EN: 0
; COMPUTE_PGM_RSRC2:USER_SGPR: 2
; COMPUTE_PGM_RSRC2:TRAP_HANDLER: 0
; COMPUTE_PGM_RSRC2:TGID_X_EN: 1
; COMPUTE_PGM_RSRC2:TGID_Y_EN: 0
; COMPUTE_PGM_RSRC2:TGID_Z_EN: 0
; COMPUTE_PGM_RSRC2:TIDIG_COMP_CNT: 0
	.section	.text._ZN2at6native12_GLOBAL__N_125multi_tensor_apply_kernelINS1_28TensorListScalarListMetadataIdLi3EEENS1_28PointwiseOpScalarListFunctorIdLi3ELi3ELi0EEEJSt7dividesIdEEEEvT_T0_DpT1_,"axG",@progbits,_ZN2at6native12_GLOBAL__N_125multi_tensor_apply_kernelINS1_28TensorListScalarListMetadataIdLi3EEENS1_28PointwiseOpScalarListFunctorIdLi3ELi3ELi0EEEJSt7dividesIdEEEEvT_T0_DpT1_,comdat
	.globl	_ZN2at6native12_GLOBAL__N_125multi_tensor_apply_kernelINS1_28TensorListScalarListMetadataIdLi3EEENS1_28PointwiseOpScalarListFunctorIdLi3ELi3ELi0EEEJSt7dividesIdEEEEvT_T0_DpT1_ ; -- Begin function _ZN2at6native12_GLOBAL__N_125multi_tensor_apply_kernelINS1_28TensorListScalarListMetadataIdLi3EEENS1_28PointwiseOpScalarListFunctorIdLi3ELi3ELi0EEEJSt7dividesIdEEEEvT_T0_DpT1_
	.p2align	8
	.type	_ZN2at6native12_GLOBAL__N_125multi_tensor_apply_kernelINS1_28TensorListScalarListMetadataIdLi3EEENS1_28PointwiseOpScalarListFunctorIdLi3ELi3ELi0EEEJSt7dividesIdEEEEvT_T0_DpT1_,@function
_ZN2at6native12_GLOBAL__N_125multi_tensor_apply_kernelINS1_28TensorListScalarListMetadataIdLi3EEENS1_28PointwiseOpScalarListFunctorIdLi3ELi3ELi0EEEJSt7dividesIdEEEEvT_T0_DpT1_: ; @_ZN2at6native12_GLOBAL__N_125multi_tensor_apply_kernelINS1_28TensorListScalarListMetadataIdLi3EEENS1_28PointwiseOpScalarListFunctorIdLi3ELi3ELi0EEEJSt7dividesIdEEEEvT_T0_DpT1_
; %bb.0:
	s_bfe_u32 s2, ttmp6, 0x4000c
	s_and_b32 s3, ttmp6, 15
	s_add_co_i32 s2, s2, 1
	s_getreg_b32 s4, hwreg(HW_REG_IB_STS2, 6, 4)
	s_mul_i32 s2, ttmp9, s2
	s_mov_b32 s17, 0
	s_add_co_i32 s3, s3, s2
	s_cmp_eq_u32 s4, 0
	s_cselect_b32 s16, ttmp9, s3
	s_load_u8 s10, s[0:1], s16 offset:0x780
	s_add_nc_u64 s[2:3], s[0:1], s[16:17]
	s_mul_u64 s[4:5], s[16:17], 3
	s_delay_alu instid0(SALU_CYCLE_1)
	s_add_nc_u64 s[8:9], s[2:3], s[4:5]
	s_load_b32 s20, s[8:9], 0x8c0
	s_wait_kmcnt 0x0
	s_clause 0x4
	s_load_b64 s[2:3], s[0:1], s10 offset:0x180 scale_offset
	s_load_b64 s[4:5], s[0:1], s10 offset:0x300 scale_offset
	;; [unrolled: 1-line block ×5, first 2 shown]
	s_ashr_i32 s21, s20, 31
	s_delay_alu instid0(SALU_CYCLE_1)
	s_lshl_b64 s[14:15], s[20:21], 19
	s_wait_kmcnt 0x0
	s_add_nc_u64 s[8:9], s[2:3], s[14:15]
	s_add_nc_u64 s[10:11], s[4:5], s[14:15]
	;; [unrolled: 1-line block ×3, first 2 shown]
	s_or_b32 s16, s10, s8
	s_and_b64 s[24:25], s[12:13], 31
	s_and_b32 s16, s16, 31
	s_delay_alu instid0(SALU_CYCLE_1) | instskip(SKIP_4) | instid1(SALU_CYCLE_1)
	s_cmp_eq_u32 s16, 0
	s_cselect_b32 s26, -1, 0
	s_and_b32 s16, s22, 3
	s_lshl_b64 s[20:21], s[20:21], 16
	s_or_b64 s[16:17], s[24:25], s[16:17]
	s_cmp_eq_u64 s[16:17], 0
	s_cselect_b32 s16, -1, 0
	s_delay_alu instid0(SALU_CYCLE_1)
	s_and_b32 s24, s26, s16
	s_sub_nc_u64 s[16:17], s[22:23], s[20:21]
	s_and_b32 vcc_lo, exec_lo, s24
	s_mov_b32 s20, -1
	s_cbranch_vccnz .LBB126_45
; %bb.1:
	v_cmp_lt_i64_e64 s20, s[16:17], 1
	s_and_b32 vcc_lo, exec_lo, s20
	s_cbranch_vccnz .LBB126_44
; %bb.2:
	s_load_b32 s20, s[0:1], 0xdd4
	v_min_i64 v[2:3], 0x10000, s[16:17]
	v_min_u64 v[4:5], 0x10000, s[16:17]
	v_cmp_neq_f64_e64 s24, s[6:7], 1.0
	v_dual_mov_b32 v1, 0 :: v_dual_lshlrev_b32 v12, 3, v0
	s_mov_b32 s21, 0
	s_delay_alu instid0(SALU_CYCLE_1) | instskip(NEXT) | instid1(VALU_DEP_1)
	s_mov_b32 s29, s21
	v_dual_mov_b32 v13, v1 :: v_dual_mov_b32 v35, v1
	s_mov_b32 s23, s21
	s_mov_b32 s27, s21
	s_delay_alu instid0(VALU_DEP_1) | instskip(SKIP_3) | instid1(SALU_CYCLE_1)
	v_add_nc_u64_e32 v[6:7], s[18:19], v[12:13]
	v_add_nc_u64_e32 v[8:9], s[2:3], v[12:13]
	s_wait_kmcnt 0x0
	s_and_b32 s20, s20, 0xffff
	v_add_nc_u64_e32 v[10:11], s[20:21], v[0:1]
	v_mad_nc_u64_u32 v[28:29], s20, 24, v[12:13]
	s_lshl_b32 s28, s20, 4
	s_mul_i32 s26, s20, 3
	v_add_nc_u64_e32 v[22:23], s[28:29], v[12:13]
	s_lshl_b32 s22, s20, 1
	v_add_nc_u64_e32 v[12:13], s[4:5], v[12:13]
	v_lshlrev_b32_e32 v34, 3, v10
	v_add_nc_u64_e32 v[14:15], s[26:27], v[0:1]
	v_add_nc_u64_e32 v[16:17], s[22:23], v[0:1]
	s_mov_b64 s[22:23], 0
	v_add_nc_u64_e32 v[18:19], s[18:19], v[22:23]
	v_add_nc_u64_e32 v[20:21], s[2:3], v[22:23]
	;; [unrolled: 1-line block ×9, first 2 shown]
	s_lshl_b32 s18, s20, 2
	s_mov_b32 s19, s21
	s_lshl_b32 s20, s20, 5
	s_branch .LBB126_4
.LBB126_3:                              ;   in Loop: Header=BB126_4 Depth=1
	s_wait_xcnt 0x0
	s_or_b32 exec_lo, exec_lo, s2
	s_add_nc_u64 s[22:23], s[22:23], s[18:19]
	v_add_nc_u64_e32 v[6:7], s[20:21], v[6:7]
	v_cmp_ge_i64_e32 vcc_lo, s[22:23], v[2:3]
	v_add_nc_u64_e32 v[8:9], s[20:21], v[8:9]
	v_add_nc_u64_e32 v[12:13], s[20:21], v[12:13]
	v_add_nc_u64_e32 v[24:25], s[20:21], v[24:25]
	v_add_nc_u64_e32 v[26:27], s[20:21], v[26:27]
	v_add_nc_u64_e32 v[28:29], s[20:21], v[28:29]
	v_add_nc_u64_e32 v[18:19], s[20:21], v[18:19]
	v_add_nc_u64_e32 v[20:21], s[20:21], v[20:21]
	v_add_nc_u64_e32 v[22:23], s[20:21], v[22:23]
	v_add_nc_u64_e32 v[30:31], s[20:21], v[30:31]
	v_add_nc_u64_e32 v[32:33], s[20:21], v[32:33]
	v_add_nc_u64_e32 v[34:35], s[20:21], v[34:35]
	s_cbranch_vccnz .LBB126_44
.LBB126_4:                              ; =>This Inner Loop Header: Depth=1
	v_add_nc_u64_e32 v[36:37], s[22:23], v[0:1]
	v_mov_b64_e32 v[56:57], 0
	v_mov_b64_e32 v[58:59], 0
	;; [unrolled: 1-line block ×3, first 2 shown]
	s_delay_alu instid0(VALU_DEP_4)
	v_cmp_lt_u64_e64 s2, v[36:37], v[4:5]
	s_and_saveexec_b32 s3, s2
	s_cbranch_execz .LBB126_6
; %bb.5:                                ;   in Loop: Header=BB126_4 Depth=1
	v_add_nc_u64_e32 v[36:37], s[14:15], v[6:7]
	v_add_nc_u64_e32 v[38:39], s[14:15], v[8:9]
	global_load_b64 v[42:43], v[36:37], off
	global_load_b64 v[58:59], v[38:39], off
.LBB126_6:                              ;   in Loop: Header=BB126_4 Depth=1
	s_wait_xcnt 0x0
	s_or_b32 exec_lo, exec_lo, s3
	s_and_saveexec_b32 s3, s2
	s_cbranch_execz .LBB126_8
; %bb.7:                                ;   in Loop: Header=BB126_4 Depth=1
	v_add_nc_u64_e32 v[36:37], s[14:15], v[12:13]
	global_load_b64 v[56:57], v[36:37], off
.LBB126_8:                              ;   in Loop: Header=BB126_4 Depth=1
	s_wait_xcnt 0x0
	s_or_b32 exec_lo, exec_lo, s3
	v_add_nc_u64_e32 v[36:37], s[22:23], v[10:11]
	v_mov_b64_e32 v[52:53], 0
	v_mov_b64_e32 v[54:55], 0
	;; [unrolled: 1-line block ×3, first 2 shown]
	s_delay_alu instid0(VALU_DEP_4)
	v_cmp_lt_u64_e64 s3, v[36:37], v[4:5]
	s_and_saveexec_b32 s4, s3
	s_cbranch_execz .LBB126_10
; %bb.9:                                ;   in Loop: Header=BB126_4 Depth=1
	v_add_nc_u64_e32 v[36:37], s[14:15], v[30:31]
	v_add_nc_u64_e32 v[38:39], s[14:15], v[32:33]
	global_load_b64 v[40:41], v[36:37], off
	global_load_b64 v[54:55], v[38:39], off
.LBB126_10:                             ;   in Loop: Header=BB126_4 Depth=1
	s_wait_xcnt 0x0
	s_or_b32 exec_lo, exec_lo, s4
	s_and_saveexec_b32 s4, s3
	s_cbranch_execz .LBB126_12
; %bb.11:                               ;   in Loop: Header=BB126_4 Depth=1
	v_add_nc_u64_e32 v[36:37], s[14:15], v[34:35]
	global_load_b64 v[52:53], v[36:37], off
.LBB126_12:                             ;   in Loop: Header=BB126_4 Depth=1
	s_wait_xcnt 0x0
	s_or_b32 exec_lo, exec_lo, s4
	v_add_nc_u64_e32 v[36:37], s[22:23], v[16:17]
	v_mov_b64_e32 v[48:49], 0
	v_mov_b64_e32 v[50:51], 0
	;; [unrolled: 1-line block ×3, first 2 shown]
	s_delay_alu instid0(VALU_DEP_4)
	v_cmp_lt_u64_e64 s4, v[36:37], v[4:5]
	s_and_saveexec_b32 s5, s4
	s_cbranch_execz .LBB126_14
; %bb.13:                               ;   in Loop: Header=BB126_4 Depth=1
	v_add_nc_u64_e32 v[36:37], s[14:15], v[18:19]
	v_add_nc_u64_e32 v[44:45], s[14:15], v[20:21]
	global_load_b64 v[38:39], v[36:37], off
	global_load_b64 v[50:51], v[44:45], off
.LBB126_14:                             ;   in Loop: Header=BB126_4 Depth=1
	s_wait_xcnt 0x0
	s_or_b32 exec_lo, exec_lo, s5
	s_and_saveexec_b32 s5, s4
	s_cbranch_execz .LBB126_16
; %bb.15:                               ;   in Loop: Header=BB126_4 Depth=1
	v_add_nc_u64_e32 v[36:37], s[14:15], v[22:23]
	global_load_b64 v[48:49], v[36:37], off
.LBB126_16:                             ;   in Loop: Header=BB126_4 Depth=1
	s_wait_xcnt 0x0
	s_or_b32 exec_lo, exec_lo, s5
	v_add_nc_u64_e32 v[36:37], s[22:23], v[14:15]
	v_mov_b64_e32 v[44:45], 0
	v_mov_b64_e32 v[46:47], 0
	s_delay_alu instid0(VALU_DEP_3)
	v_cmp_lt_u64_e64 s5, v[36:37], v[4:5]
	v_mov_b64_e32 v[36:37], 0
	s_and_saveexec_b32 s25, s5
	s_cbranch_execz .LBB126_18
; %bb.17:                               ;   in Loop: Header=BB126_4 Depth=1
	v_add_nc_u64_e32 v[60:61], s[14:15], v[24:25]
	v_add_nc_u64_e32 v[62:63], s[14:15], v[26:27]
	global_load_b64 v[36:37], v[60:61], off
	global_load_b64 v[46:47], v[62:63], off
.LBB126_18:                             ;   in Loop: Header=BB126_4 Depth=1
	s_wait_xcnt 0x0
	s_or_b32 exec_lo, exec_lo, s25
	s_and_saveexec_b32 s25, s5
	s_cbranch_execz .LBB126_20
; %bb.19:                               ;   in Loop: Header=BB126_4 Depth=1
	v_add_nc_u64_e32 v[44:45], s[14:15], v[28:29]
	global_load_b64 v[44:45], v[44:45], off
.LBB126_20:                             ;   in Loop: Header=BB126_4 Depth=1
	s_wait_xcnt 0x0
	s_or_b32 exec_lo, exec_lo, s25
	s_wait_loadcnt 0x0
	v_div_scale_f64 v[60:61], null, v[56:57], v[56:57], v[58:59]
	s_delay_alu instid0(VALU_DEP_1) | instskip(SKIP_1) | instid1(TRANS32_DEP_1)
	v_rcp_f64_e32 v[62:63], v[60:61]
	v_nop
	v_fma_f64 v[64:65], -v[60:61], v[62:63], 1.0
	s_delay_alu instid0(VALU_DEP_1) | instskip(NEXT) | instid1(VALU_DEP_1)
	v_fmac_f64_e32 v[62:63], v[62:63], v[64:65]
	v_fma_f64 v[64:65], -v[60:61], v[62:63], 1.0
	s_delay_alu instid0(VALU_DEP_1) | instskip(SKIP_1) | instid1(VALU_DEP_1)
	v_fmac_f64_e32 v[62:63], v[62:63], v[64:65]
	v_div_scale_f64 v[64:65], vcc_lo, v[58:59], v[56:57], v[58:59]
	v_mul_f64_e32 v[66:67], v[64:65], v[62:63]
	s_delay_alu instid0(VALU_DEP_1) | instskip(NEXT) | instid1(VALU_DEP_1)
	v_fma_f64 v[60:61], -v[60:61], v[66:67], v[64:65]
	v_div_fmas_f64 v[60:61], v[60:61], v[62:63], v[66:67]
	s_and_b32 vcc_lo, exec_lo, s24
	s_delay_alu instid0(VALU_DEP_1)
	v_div_fixup_f64 v[58:59], v[60:61], v[56:57], v[58:59]
	s_cbranch_vccz .LBB126_40
; %bb.21:                               ;   in Loop: Header=BB126_4 Depth=1
	s_delay_alu instid0(VALU_DEP_1)
	v_fma_f64 v[56:57], s[6:7], v[58:59], v[42:43]
	s_cbranch_execnz .LBB126_23
.LBB126_22:                             ;   in Loop: Header=BB126_4 Depth=1
	s_delay_alu instid0(VALU_DEP_1)
	v_add_f64_e32 v[56:57], v[42:43], v[58:59]
.LBB126_23:                             ;   in Loop: Header=BB126_4 Depth=1
	v_div_scale_f64 v[42:43], null, v[52:53], v[52:53], v[54:55]
	s_delay_alu instid0(VALU_DEP_1) | instskip(SKIP_1) | instid1(TRANS32_DEP_1)
	v_rcp_f64_e32 v[58:59], v[42:43]
	v_nop
	v_fma_f64 v[60:61], -v[42:43], v[58:59], 1.0
	s_delay_alu instid0(VALU_DEP_1) | instskip(NEXT) | instid1(VALU_DEP_1)
	v_fmac_f64_e32 v[58:59], v[58:59], v[60:61]
	v_fma_f64 v[60:61], -v[42:43], v[58:59], 1.0
	s_delay_alu instid0(VALU_DEP_1) | instskip(SKIP_1) | instid1(VALU_DEP_1)
	v_fmac_f64_e32 v[58:59], v[58:59], v[60:61]
	v_div_scale_f64 v[60:61], vcc_lo, v[54:55], v[52:53], v[54:55]
	v_mul_f64_e32 v[62:63], v[60:61], v[58:59]
	s_delay_alu instid0(VALU_DEP_1) | instskip(NEXT) | instid1(VALU_DEP_1)
	v_fma_f64 v[42:43], -v[42:43], v[62:63], v[60:61]
	v_div_fmas_f64 v[42:43], v[42:43], v[58:59], v[62:63]
	s_and_not1_b32 vcc_lo, exec_lo, s24
	s_delay_alu instid0(VALU_DEP_1)
	v_div_fixup_f64 v[52:53], v[42:43], v[52:53], v[54:55]
	s_cbranch_vccnz .LBB126_41
; %bb.24:                               ;   in Loop: Header=BB126_4 Depth=1
	s_delay_alu instid0(VALU_DEP_1)
	v_fma_f64 v[42:43], s[6:7], v[52:53], v[40:41]
	s_cbranch_execnz .LBB126_26
.LBB126_25:                             ;   in Loop: Header=BB126_4 Depth=1
	s_delay_alu instid0(VALU_DEP_1)
	v_add_f64_e32 v[42:43], v[40:41], v[52:53]
.LBB126_26:                             ;   in Loop: Header=BB126_4 Depth=1
	v_div_scale_f64 v[40:41], null, v[48:49], v[48:49], v[50:51]
	s_delay_alu instid0(VALU_DEP_1) | instskip(SKIP_1) | instid1(TRANS32_DEP_1)
	v_rcp_f64_e32 v[52:53], v[40:41]
	v_nop
	v_fma_f64 v[54:55], -v[40:41], v[52:53], 1.0
	s_delay_alu instid0(VALU_DEP_1) | instskip(NEXT) | instid1(VALU_DEP_1)
	v_fmac_f64_e32 v[52:53], v[52:53], v[54:55]
	v_fma_f64 v[54:55], -v[40:41], v[52:53], 1.0
	s_delay_alu instid0(VALU_DEP_1) | instskip(SKIP_1) | instid1(VALU_DEP_1)
	v_fmac_f64_e32 v[52:53], v[52:53], v[54:55]
	v_div_scale_f64 v[54:55], vcc_lo, v[50:51], v[48:49], v[50:51]
	v_mul_f64_e32 v[58:59], v[54:55], v[52:53]
	s_delay_alu instid0(VALU_DEP_1) | instskip(NEXT) | instid1(VALU_DEP_1)
	v_fma_f64 v[40:41], -v[40:41], v[58:59], v[54:55]
	v_div_fmas_f64 v[40:41], v[40:41], v[52:53], v[58:59]
	s_and_not1_b32 vcc_lo, exec_lo, s24
	s_delay_alu instid0(VALU_DEP_1)
	v_div_fixup_f64 v[48:49], v[40:41], v[48:49], v[50:51]
	s_cbranch_vccnz .LBB126_42
; %bb.27:                               ;   in Loop: Header=BB126_4 Depth=1
	s_delay_alu instid0(VALU_DEP_1)
	v_fma_f64 v[40:41], s[6:7], v[48:49], v[38:39]
	s_cbranch_execnz .LBB126_29
.LBB126_28:                             ;   in Loop: Header=BB126_4 Depth=1
	s_delay_alu instid0(VALU_DEP_1)
	v_add_f64_e32 v[40:41], v[38:39], v[48:49]
.LBB126_29:                             ;   in Loop: Header=BB126_4 Depth=1
	v_div_scale_f64 v[38:39], null, v[44:45], v[44:45], v[46:47]
	s_delay_alu instid0(VALU_DEP_1) | instskip(SKIP_1) | instid1(TRANS32_DEP_1)
	v_rcp_f64_e32 v[48:49], v[38:39]
	v_nop
	v_fma_f64 v[50:51], -v[38:39], v[48:49], 1.0
	s_delay_alu instid0(VALU_DEP_1) | instskip(NEXT) | instid1(VALU_DEP_1)
	v_fmac_f64_e32 v[48:49], v[48:49], v[50:51]
	v_fma_f64 v[50:51], -v[38:39], v[48:49], 1.0
	s_delay_alu instid0(VALU_DEP_1) | instskip(SKIP_1) | instid1(VALU_DEP_1)
	v_fmac_f64_e32 v[48:49], v[48:49], v[50:51]
	v_div_scale_f64 v[50:51], vcc_lo, v[46:47], v[44:45], v[46:47]
	v_mul_f64_e32 v[52:53], v[50:51], v[48:49]
	s_delay_alu instid0(VALU_DEP_1) | instskip(NEXT) | instid1(VALU_DEP_1)
	v_fma_f64 v[38:39], -v[38:39], v[52:53], v[50:51]
	v_div_fmas_f64 v[38:39], v[38:39], v[48:49], v[52:53]
	s_and_not1_b32 vcc_lo, exec_lo, s24
	s_delay_alu instid0(VALU_DEP_1)
	v_div_fixup_f64 v[44:45], v[38:39], v[44:45], v[46:47]
	s_cbranch_vccnz .LBB126_43
; %bb.30:                               ;   in Loop: Header=BB126_4 Depth=1
	s_delay_alu instid0(VALU_DEP_1)
	v_fma_f64 v[38:39], s[6:7], v[44:45], v[36:37]
	s_cbranch_execnz .LBB126_32
.LBB126_31:                             ;   in Loop: Header=BB126_4 Depth=1
	s_delay_alu instid0(VALU_DEP_1)
	v_add_f64_e32 v[38:39], v[36:37], v[44:45]
.LBB126_32:                             ;   in Loop: Header=BB126_4 Depth=1
	s_and_saveexec_b32 s25, s2
	s_delay_alu instid0(SALU_CYCLE_1)
	s_xor_b32 s2, exec_lo, s25
	s_cbranch_execnz .LBB126_36
; %bb.33:                               ;   in Loop: Header=BB126_4 Depth=1
	s_or_b32 exec_lo, exec_lo, s2
	s_and_saveexec_b32 s2, s3
	s_cbranch_execnz .LBB126_37
.LBB126_34:                             ;   in Loop: Header=BB126_4 Depth=1
	s_or_b32 exec_lo, exec_lo, s2
	s_and_saveexec_b32 s2, s4
	s_cbranch_execnz .LBB126_38
.LBB126_35:                             ;   in Loop: Header=BB126_4 Depth=1
	s_or_b32 exec_lo, exec_lo, s2
	s_and_saveexec_b32 s2, s5
	s_cbranch_execz .LBB126_3
	s_branch .LBB126_39
.LBB126_36:                             ;   in Loop: Header=BB126_4 Depth=1
	v_add_nc_u64_e32 v[36:37], s[14:15], v[6:7]
	global_store_b64 v[36:37], v[56:57], off
	s_wait_xcnt 0x0
	s_or_b32 exec_lo, exec_lo, s2
	s_and_saveexec_b32 s2, s3
	s_cbranch_execz .LBB126_34
.LBB126_37:                             ;   in Loop: Header=BB126_4 Depth=1
	v_add_nc_u64_e32 v[36:37], s[14:15], v[30:31]
	global_store_b64 v[36:37], v[42:43], off
	s_wait_xcnt 0x0
	s_or_b32 exec_lo, exec_lo, s2
	s_and_saveexec_b32 s2, s4
	s_cbranch_execz .LBB126_35
.LBB126_38:                             ;   in Loop: Header=BB126_4 Depth=1
	v_add_nc_u64_e32 v[36:37], s[14:15], v[18:19]
	global_store_b64 v[36:37], v[40:41], off
	s_wait_xcnt 0x0
	s_or_b32 exec_lo, exec_lo, s2
	s_and_saveexec_b32 s2, s5
	s_cbranch_execz .LBB126_3
.LBB126_39:                             ;   in Loop: Header=BB126_4 Depth=1
	v_add_nc_u64_e32 v[36:37], s[14:15], v[24:25]
	global_store_b64 v[36:37], v[38:39], off
	s_branch .LBB126_3
.LBB126_40:                             ;   in Loop: Header=BB126_4 Depth=1
                                        ; implicit-def: $vgpr56_vgpr57
	s_branch .LBB126_22
.LBB126_41:                             ;   in Loop: Header=BB126_4 Depth=1
                                        ; implicit-def: $vgpr42_vgpr43
	s_branch .LBB126_25
.LBB126_42:                             ;   in Loop: Header=BB126_4 Depth=1
                                        ; implicit-def: $vgpr40_vgpr41
	s_branch .LBB126_28
.LBB126_43:                             ;   in Loop: Header=BB126_4 Depth=1
                                        ; implicit-def: $vgpr38_vgpr39
	s_branch .LBB126_31
.LBB126_44:
	s_mov_b32 s20, 0
.LBB126_45:
	s_delay_alu instid0(SALU_CYCLE_1)
	s_and_not1_b32 vcc_lo, exec_lo, s20
	s_cbranch_vccnz .LBB126_65
; %bb.46:
	v_min_i64 v[26:27], 0x10000, s[16:17]
	v_dual_mov_b32 v29, 0 :: v_dual_lshlrev_b32 v28, 2, v0
	s_mov_b32 s2, exec_lo
	s_delay_alu instid0(VALU_DEP_1)
	v_cmpx_lt_i64_e64 v[28:29], v[26:27]
	s_cbranch_execz .LBB126_65
; %bb.47:
	v_cmp_neq_f64_e64 s4, s[6:7], 1.0
	s_load_b32 s0, s[0:1], 0xdd4
	v_dual_mov_b32 v1, v29 :: v_dual_lshlrev_b32 v28, 5, v0
	s_wait_xcnt 0x0
	s_mov_b32 s1, 0
	s_delay_alu instid0(SALU_CYCLE_1) | instskip(SKIP_3) | instid1(SALU_CYCLE_1)
	s_mov_b32 s3, s1
	s_mov_b32 s5, s1
	s_wait_kmcnt 0x0
	s_and_b32 s0, s0, 0xffff
	s_lshl_b32 s2, s0, 5
	s_branch .LBB126_49
.LBB126_48:                             ;   in Loop: Header=BB126_49 Depth=1
	v_add_nc_u64_e32 v[0:1], s[0:1], v[0:1]
	s_add_nc_u64 s[10:11], s[10:11], s[2:3]
	s_add_nc_u64 s[12:13], s[12:13], s[2:3]
	;; [unrolled: 1-line block ×3, first 2 shown]
	s_clause 0x1
	global_store_b128 v[30:31], v[6:9], off
	global_store_b128 v[30:31], v[10:13], off offset:16
	v_lshlrev_b64_e32 v[2:3], 2, v[0:1]
	s_delay_alu instid0(VALU_DEP_1)
	v_cmp_ge_i64_e32 vcc_lo, v[2:3], v[26:27]
	s_or_b32 s5, vcc_lo, s5
	s_wait_xcnt 0x0
	s_and_not1_b32 exec_lo, exec_lo, s5
	s_cbranch_execz .LBB126_65
.LBB126_49:                             ; =>This Inner Loop Header: Depth=1
	v_add_nc_u64_e32 v[32:33], s[8:9], v[28:29]
	v_add_nc_u64_e32 v[34:35], s[10:11], v[28:29]
	v_add_nc_u64_e32 v[30:31], s[12:13], v[28:29]
	global_load_b128 v[6:9], v[32:33], off
	global_load_b128 v[22:25], v[34:35], off
	global_load_b128 v[10:13], v[32:33], off offset:16
	global_load_b128 v[14:17], v[34:35], off offset:16
	s_clause 0x1
	global_load_b128 v[2:5], v[30:31], off offset:16
	global_load_b128 v[18:21], v[30:31], off
	s_wait_loadcnt 0x4
	v_div_scale_f64 v[36:37], null, v[22:23], v[22:23], v[6:7]
	s_wait_xcnt 0x3
	s_delay_alu instid0(VALU_DEP_1) | instskip(SKIP_2) | instid1(TRANS32_DEP_1)
	v_rcp_f64_e32 v[32:33], v[36:37]
	s_wait_xcnt 0x2
	v_nop
	v_fma_f64 v[34:35], -v[36:37], v[32:33], 1.0
	s_delay_alu instid0(VALU_DEP_1) | instskip(NEXT) | instid1(VALU_DEP_1)
	v_fmac_f64_e32 v[32:33], v[32:33], v[34:35]
	v_fma_f64 v[34:35], -v[36:37], v[32:33], 1.0
	s_delay_alu instid0(VALU_DEP_1) | instskip(SKIP_1) | instid1(VALU_DEP_1)
	v_fmac_f64_e32 v[32:33], v[32:33], v[34:35]
	v_div_scale_f64 v[34:35], vcc_lo, v[6:7], v[22:23], v[6:7]
	v_mul_f64_e32 v[38:39], v[34:35], v[32:33]
	s_delay_alu instid0(VALU_DEP_1) | instskip(NEXT) | instid1(VALU_DEP_1)
	v_fma_f64 v[34:35], -v[36:37], v[38:39], v[34:35]
	v_div_fmas_f64 v[32:33], v[34:35], v[32:33], v[38:39]
	s_and_b32 vcc_lo, exec_lo, s4
	s_delay_alu instid0(VALU_DEP_1)
	v_div_fixup_f64 v[22:23], v[32:33], v[22:23], v[6:7]
	s_cbranch_vccz .LBB126_60
; %bb.50:                               ;   in Loop: Header=BB126_49 Depth=1
	s_wait_loadcnt 0x0
	s_delay_alu instid0(VALU_DEP_1)
	v_fma_f64 v[6:7], s[6:7], v[22:23], v[18:19]
	s_cbranch_execnz .LBB126_52
.LBB126_51:                             ;   in Loop: Header=BB126_49 Depth=1
	s_wait_loadcnt 0x0
	s_delay_alu instid0(VALU_DEP_1)
	v_add_f64_e32 v[6:7], v[18:19], v[22:23]
.LBB126_52:                             ;   in Loop: Header=BB126_49 Depth=1
	s_wait_loadcnt 0x0
	v_div_scale_f64 v[18:19], null, v[24:25], v[24:25], v[8:9]
	s_delay_alu instid0(VALU_DEP_1) | instskip(SKIP_1) | instid1(TRANS32_DEP_1)
	v_rcp_f64_e32 v[22:23], v[18:19]
	v_nop
	v_fma_f64 v[32:33], -v[18:19], v[22:23], 1.0
	s_delay_alu instid0(VALU_DEP_1) | instskip(NEXT) | instid1(VALU_DEP_1)
	v_fmac_f64_e32 v[22:23], v[22:23], v[32:33]
	v_fma_f64 v[32:33], -v[18:19], v[22:23], 1.0
	s_delay_alu instid0(VALU_DEP_1) | instskip(SKIP_1) | instid1(VALU_DEP_1)
	v_fmac_f64_e32 v[22:23], v[22:23], v[32:33]
	v_div_scale_f64 v[32:33], vcc_lo, v[8:9], v[24:25], v[8:9]
	v_mul_f64_e32 v[34:35], v[32:33], v[22:23]
	s_delay_alu instid0(VALU_DEP_1) | instskip(NEXT) | instid1(VALU_DEP_1)
	v_fma_f64 v[18:19], -v[18:19], v[34:35], v[32:33]
	v_div_fmas_f64 v[18:19], v[18:19], v[22:23], v[34:35]
	s_and_not1_b32 vcc_lo, exec_lo, s4
	s_delay_alu instid0(VALU_DEP_1)
	v_div_fixup_f64 v[18:19], v[18:19], v[24:25], v[8:9]
	s_cbranch_vccnz .LBB126_61
; %bb.53:                               ;   in Loop: Header=BB126_49 Depth=1
	s_delay_alu instid0(VALU_DEP_1)
	v_fma_f64 v[8:9], s[6:7], v[18:19], v[20:21]
	s_cbranch_execnz .LBB126_55
.LBB126_54:                             ;   in Loop: Header=BB126_49 Depth=1
	s_delay_alu instid0(VALU_DEP_1)
	v_add_f64_e32 v[8:9], v[20:21], v[18:19]
.LBB126_55:                             ;   in Loop: Header=BB126_49 Depth=1
	v_div_scale_f64 v[18:19], null, v[14:15], v[14:15], v[10:11]
	s_delay_alu instid0(VALU_DEP_1) | instskip(SKIP_1) | instid1(TRANS32_DEP_1)
	v_rcp_f64_e32 v[20:21], v[18:19]
	v_nop
	v_fma_f64 v[22:23], -v[18:19], v[20:21], 1.0
	s_delay_alu instid0(VALU_DEP_1) | instskip(NEXT) | instid1(VALU_DEP_1)
	v_fmac_f64_e32 v[20:21], v[20:21], v[22:23]
	v_fma_f64 v[22:23], -v[18:19], v[20:21], 1.0
	s_delay_alu instid0(VALU_DEP_1) | instskip(SKIP_1) | instid1(VALU_DEP_1)
	v_fmac_f64_e32 v[20:21], v[20:21], v[22:23]
	v_div_scale_f64 v[22:23], vcc_lo, v[10:11], v[14:15], v[10:11]
	v_mul_f64_e32 v[24:25], v[22:23], v[20:21]
	s_delay_alu instid0(VALU_DEP_1) | instskip(NEXT) | instid1(VALU_DEP_1)
	v_fma_f64 v[18:19], -v[18:19], v[24:25], v[22:23]
	v_div_fmas_f64 v[18:19], v[18:19], v[20:21], v[24:25]
	s_and_not1_b32 vcc_lo, exec_lo, s4
	s_delay_alu instid0(VALU_DEP_1)
	v_div_fixup_f64 v[14:15], v[18:19], v[14:15], v[10:11]
	s_cbranch_vccnz .LBB126_62
; %bb.56:                               ;   in Loop: Header=BB126_49 Depth=1
	s_delay_alu instid0(VALU_DEP_1)
	v_fma_f64 v[10:11], s[6:7], v[14:15], v[2:3]
	s_cbranch_execnz .LBB126_58
.LBB126_57:                             ;   in Loop: Header=BB126_49 Depth=1
	s_delay_alu instid0(VALU_DEP_1)
	v_add_f64_e32 v[10:11], v[2:3], v[14:15]
.LBB126_58:                             ;   in Loop: Header=BB126_49 Depth=1
	v_div_scale_f64 v[2:3], null, v[16:17], v[16:17], v[12:13]
	s_delay_alu instid0(VALU_DEP_1) | instskip(SKIP_1) | instid1(TRANS32_DEP_1)
	v_rcp_f64_e32 v[14:15], v[2:3]
	v_nop
	v_fma_f64 v[18:19], -v[2:3], v[14:15], 1.0
	s_delay_alu instid0(VALU_DEP_1) | instskip(NEXT) | instid1(VALU_DEP_1)
	v_fmac_f64_e32 v[14:15], v[14:15], v[18:19]
	v_fma_f64 v[18:19], -v[2:3], v[14:15], 1.0
	s_delay_alu instid0(VALU_DEP_1) | instskip(SKIP_1) | instid1(VALU_DEP_1)
	v_fmac_f64_e32 v[14:15], v[14:15], v[18:19]
	v_div_scale_f64 v[18:19], vcc_lo, v[12:13], v[16:17], v[12:13]
	v_mul_f64_e32 v[20:21], v[18:19], v[14:15]
	s_delay_alu instid0(VALU_DEP_1) | instskip(NEXT) | instid1(VALU_DEP_1)
	v_fma_f64 v[2:3], -v[2:3], v[20:21], v[18:19]
	v_div_fmas_f64 v[2:3], v[2:3], v[14:15], v[20:21]
	s_and_not1_b32 vcc_lo, exec_lo, s4
	s_delay_alu instid0(VALU_DEP_1)
	v_div_fixup_f64 v[2:3], v[2:3], v[16:17], v[12:13]
	s_cbranch_vccnz .LBB126_63
; %bb.59:                               ;   in Loop: Header=BB126_49 Depth=1
	s_delay_alu instid0(VALU_DEP_1)
	v_fma_f64 v[12:13], s[6:7], v[2:3], v[4:5]
	s_cbranch_execnz .LBB126_48
	s_branch .LBB126_64
.LBB126_60:                             ;   in Loop: Header=BB126_49 Depth=1
                                        ; implicit-def: $vgpr6_vgpr7
	s_branch .LBB126_51
.LBB126_61:                             ;   in Loop: Header=BB126_49 Depth=1
	s_branch .LBB126_54
.LBB126_62:                             ;   in Loop: Header=BB126_49 Depth=1
                                        ; implicit-def: $vgpr10_vgpr11
	s_branch .LBB126_57
.LBB126_63:                             ;   in Loop: Header=BB126_49 Depth=1
.LBB126_64:                             ;   in Loop: Header=BB126_49 Depth=1
	s_delay_alu instid0(VALU_DEP_1)
	v_add_f64_e32 v[12:13], v[4:5], v[2:3]
	s_branch .LBB126_48
.LBB126_65:
	s_sendmsg sendmsg(MSG_DEALLOC_VGPRS)
	s_endpgm
	.section	.rodata,"a",@progbits
	.p2align	6, 0x0
	.amdhsa_kernel _ZN2at6native12_GLOBAL__N_125multi_tensor_apply_kernelINS1_28TensorListScalarListMetadataIdLi3EEENS1_28PointwiseOpScalarListFunctorIdLi3ELi3ELi0EEEJSt7dividesIdEEEEvT_T0_DpT1_
		.amdhsa_group_segment_fixed_size 0
		.amdhsa_private_segment_fixed_size 0
		.amdhsa_kernarg_size 3784
		.amdhsa_user_sgpr_count 2
		.amdhsa_user_sgpr_dispatch_ptr 0
		.amdhsa_user_sgpr_queue_ptr 0
		.amdhsa_user_sgpr_kernarg_segment_ptr 1
		.amdhsa_user_sgpr_dispatch_id 0
		.amdhsa_user_sgpr_kernarg_preload_length 0
		.amdhsa_user_sgpr_kernarg_preload_offset 0
		.amdhsa_user_sgpr_private_segment_size 0
		.amdhsa_wavefront_size32 1
		.amdhsa_uses_dynamic_stack 0
		.amdhsa_enable_private_segment 0
		.amdhsa_system_sgpr_workgroup_id_x 1
		.amdhsa_system_sgpr_workgroup_id_y 0
		.amdhsa_system_sgpr_workgroup_id_z 0
		.amdhsa_system_sgpr_workgroup_info 0
		.amdhsa_system_vgpr_workitem_id 0
		.amdhsa_next_free_vgpr 68
		.amdhsa_next_free_sgpr 30
		.amdhsa_named_barrier_count 0
		.amdhsa_reserve_vcc 1
		.amdhsa_float_round_mode_32 0
		.amdhsa_float_round_mode_16_64 0
		.amdhsa_float_denorm_mode_32 3
		.amdhsa_float_denorm_mode_16_64 3
		.amdhsa_fp16_overflow 0
		.amdhsa_memory_ordered 1
		.amdhsa_forward_progress 1
		.amdhsa_inst_pref_size 20
		.amdhsa_round_robin_scheduling 0
		.amdhsa_exception_fp_ieee_invalid_op 0
		.amdhsa_exception_fp_denorm_src 0
		.amdhsa_exception_fp_ieee_div_zero 0
		.amdhsa_exception_fp_ieee_overflow 0
		.amdhsa_exception_fp_ieee_underflow 0
		.amdhsa_exception_fp_ieee_inexact 0
		.amdhsa_exception_int_div_zero 0
	.end_amdhsa_kernel
	.section	.text._ZN2at6native12_GLOBAL__N_125multi_tensor_apply_kernelINS1_28TensorListScalarListMetadataIdLi3EEENS1_28PointwiseOpScalarListFunctorIdLi3ELi3ELi0EEEJSt7dividesIdEEEEvT_T0_DpT1_,"axG",@progbits,_ZN2at6native12_GLOBAL__N_125multi_tensor_apply_kernelINS1_28TensorListScalarListMetadataIdLi3EEENS1_28PointwiseOpScalarListFunctorIdLi3ELi3ELi0EEEJSt7dividesIdEEEEvT_T0_DpT1_,comdat
.Lfunc_end126:
	.size	_ZN2at6native12_GLOBAL__N_125multi_tensor_apply_kernelINS1_28TensorListScalarListMetadataIdLi3EEENS1_28PointwiseOpScalarListFunctorIdLi3ELi3ELi0EEEJSt7dividesIdEEEEvT_T0_DpT1_, .Lfunc_end126-_ZN2at6native12_GLOBAL__N_125multi_tensor_apply_kernelINS1_28TensorListScalarListMetadataIdLi3EEENS1_28PointwiseOpScalarListFunctorIdLi3ELi3ELi0EEEJSt7dividesIdEEEEvT_T0_DpT1_
                                        ; -- End function
	.set _ZN2at6native12_GLOBAL__N_125multi_tensor_apply_kernelINS1_28TensorListScalarListMetadataIdLi3EEENS1_28PointwiseOpScalarListFunctorIdLi3ELi3ELi0EEEJSt7dividesIdEEEEvT_T0_DpT1_.num_vgpr, 68
	.set _ZN2at6native12_GLOBAL__N_125multi_tensor_apply_kernelINS1_28TensorListScalarListMetadataIdLi3EEENS1_28PointwiseOpScalarListFunctorIdLi3ELi3ELi0EEEJSt7dividesIdEEEEvT_T0_DpT1_.num_agpr, 0
	.set _ZN2at6native12_GLOBAL__N_125multi_tensor_apply_kernelINS1_28TensorListScalarListMetadataIdLi3EEENS1_28PointwiseOpScalarListFunctorIdLi3ELi3ELi0EEEJSt7dividesIdEEEEvT_T0_DpT1_.numbered_sgpr, 30
	.set _ZN2at6native12_GLOBAL__N_125multi_tensor_apply_kernelINS1_28TensorListScalarListMetadataIdLi3EEENS1_28PointwiseOpScalarListFunctorIdLi3ELi3ELi0EEEJSt7dividesIdEEEEvT_T0_DpT1_.num_named_barrier, 0
	.set _ZN2at6native12_GLOBAL__N_125multi_tensor_apply_kernelINS1_28TensorListScalarListMetadataIdLi3EEENS1_28PointwiseOpScalarListFunctorIdLi3ELi3ELi0EEEJSt7dividesIdEEEEvT_T0_DpT1_.private_seg_size, 0
	.set _ZN2at6native12_GLOBAL__N_125multi_tensor_apply_kernelINS1_28TensorListScalarListMetadataIdLi3EEENS1_28PointwiseOpScalarListFunctorIdLi3ELi3ELi0EEEJSt7dividesIdEEEEvT_T0_DpT1_.uses_vcc, 1
	.set _ZN2at6native12_GLOBAL__N_125multi_tensor_apply_kernelINS1_28TensorListScalarListMetadataIdLi3EEENS1_28PointwiseOpScalarListFunctorIdLi3ELi3ELi0EEEJSt7dividesIdEEEEvT_T0_DpT1_.uses_flat_scratch, 0
	.set _ZN2at6native12_GLOBAL__N_125multi_tensor_apply_kernelINS1_28TensorListScalarListMetadataIdLi3EEENS1_28PointwiseOpScalarListFunctorIdLi3ELi3ELi0EEEJSt7dividesIdEEEEvT_T0_DpT1_.has_dyn_sized_stack, 0
	.set _ZN2at6native12_GLOBAL__N_125multi_tensor_apply_kernelINS1_28TensorListScalarListMetadataIdLi3EEENS1_28PointwiseOpScalarListFunctorIdLi3ELi3ELi0EEEJSt7dividesIdEEEEvT_T0_DpT1_.has_recursion, 0
	.set _ZN2at6native12_GLOBAL__N_125multi_tensor_apply_kernelINS1_28TensorListScalarListMetadataIdLi3EEENS1_28PointwiseOpScalarListFunctorIdLi3ELi3ELi0EEEJSt7dividesIdEEEEvT_T0_DpT1_.has_indirect_call, 0
	.section	.AMDGPU.csdata,"",@progbits
; Kernel info:
; codeLenInByte = 2484
; TotalNumSgprs: 32
; NumVgprs: 68
; ScratchSize: 0
; MemoryBound: 1
; FloatMode: 240
; IeeeMode: 1
; LDSByteSize: 0 bytes/workgroup (compile time only)
; SGPRBlocks: 0
; VGPRBlocks: 4
; NumSGPRsForWavesPerEU: 32
; NumVGPRsForWavesPerEU: 68
; NamedBarCnt: 0
; Occupancy: 12
; WaveLimiterHint : 1
; COMPUTE_PGM_RSRC2:SCRATCH_EN: 0
; COMPUTE_PGM_RSRC2:USER_SGPR: 2
; COMPUTE_PGM_RSRC2:TRAP_HANDLER: 0
; COMPUTE_PGM_RSRC2:TGID_X_EN: 1
; COMPUTE_PGM_RSRC2:TGID_Y_EN: 0
; COMPUTE_PGM_RSRC2:TGID_Z_EN: 0
; COMPUTE_PGM_RSRC2:TIDIG_COMP_CNT: 0
	.section	.text._ZN2at6native12_GLOBAL__N_125multi_tensor_apply_kernelINS1_28TensorListScalarListMetadataIfLi3EEENS1_28PointwiseOpScalarListFunctorIfLi3ELi3ELi0EEEJSt7dividesIfEEEEvT_T0_DpT1_,"axG",@progbits,_ZN2at6native12_GLOBAL__N_125multi_tensor_apply_kernelINS1_28TensorListScalarListMetadataIfLi3EEENS1_28PointwiseOpScalarListFunctorIfLi3ELi3ELi0EEEJSt7dividesIfEEEEvT_T0_DpT1_,comdat
	.globl	_ZN2at6native12_GLOBAL__N_125multi_tensor_apply_kernelINS1_28TensorListScalarListMetadataIfLi3EEENS1_28PointwiseOpScalarListFunctorIfLi3ELi3ELi0EEEJSt7dividesIfEEEEvT_T0_DpT1_ ; -- Begin function _ZN2at6native12_GLOBAL__N_125multi_tensor_apply_kernelINS1_28TensorListScalarListMetadataIfLi3EEENS1_28PointwiseOpScalarListFunctorIfLi3ELi3ELi0EEEJSt7dividesIfEEEEvT_T0_DpT1_
	.p2align	8
	.type	_ZN2at6native12_GLOBAL__N_125multi_tensor_apply_kernelINS1_28TensorListScalarListMetadataIfLi3EEENS1_28PointwiseOpScalarListFunctorIfLi3ELi3ELi0EEEJSt7dividesIfEEEEvT_T0_DpT1_,@function
_ZN2at6native12_GLOBAL__N_125multi_tensor_apply_kernelINS1_28TensorListScalarListMetadataIfLi3EEENS1_28PointwiseOpScalarListFunctorIfLi3ELi3ELi0EEEJSt7dividesIfEEEEvT_T0_DpT1_: ; @_ZN2at6native12_GLOBAL__N_125multi_tensor_apply_kernelINS1_28TensorListScalarListMetadataIfLi3EEENS1_28PointwiseOpScalarListFunctorIfLi3ELi3ELi0EEEJSt7dividesIfEEEEvT_T0_DpT1_
; %bb.0:
	s_bfe_u32 s2, ttmp6, 0x4000c
	s_and_b32 s3, ttmp6, 15
	s_add_co_i32 s2, s2, 1
	s_getreg_b32 s4, hwreg(HW_REG_IB_STS2, 6, 4)
	s_mul_i32 s2, ttmp9, s2
	s_delay_alu instid0(SALU_CYCLE_1)
	s_add_co_i32 s3, s3, s2
	s_cmp_eq_u32 s4, 0
	s_cselect_b32 s2, ttmp9, s3
	s_mov_b32 s3, 0
	s_load_u8 s20, s[0:1], s2 offset:0x6c0
	s_add_nc_u64 s[4:5], s[0:1], s[2:3]
	s_mul_u64 s[6:7], s[2:3], 3
	s_delay_alu instid0(SALU_CYCLE_1)
	s_add_nc_u64 s[4:5], s[4:5], s[6:7]
	s_load_b32 s16, s[4:5], 0x800
	s_wait_kmcnt 0x0
	s_clause 0x3
	s_load_b64 s[8:9], s[0:1], s20 offset:0x180 scale_offset
	s_load_b64 s[6:7], s[0:1], s20 offset:0x300 scale_offset
	;; [unrolled: 1-line block ×4, first 2 shown]
	s_lshl_b32 s2, s20, 3
	s_ashr_i32 s17, s16, 31
	s_delay_alu instid0(SALU_CYCLE_1) | instskip(SKIP_3) | instid1(SALU_CYCLE_1)
	s_lshl_b64 s[10:11], s[16:17], 18
	s_wait_kmcnt 0x0
	s_and_b64 s[18:19], s[12:13], 15
	s_add_nc_u64 s[14:15], s[8:9], s[10:11]
	s_or_b32 s14, s6, s14
	s_delay_alu instid0(SALU_CYCLE_1) | instskip(NEXT) | instid1(SALU_CYCLE_1)
	s_and_b32 s14, s14, 15
	s_cmp_eq_u32 s14, 0
	s_add_nc_u64 s[14:15], s[0:1], s[2:3]
	s_cselect_b32 s22, -1, 0
	s_lshl_b32 s2, s20, 2
	s_lshl_b64 s[16:17], s[16:17], 16
	s_sub_nc_u64 s[20:21], 0, s[2:3]
	s_and_b32 s2, s4, 3
	s_add_nc_u64 s[14:15], s[14:15], s[20:21]
	s_or_b64 s[2:3], s[18:19], s[2:3]
	s_load_b32 s14, s[14:15], 0x600
	s_cmp_eq_u64 s[2:3], 0
	s_sub_nc_u64 s[16:17], s[4:5], s[16:17]
	s_cselect_b32 s2, -1, 0
	s_delay_alu instid0(SALU_CYCLE_1) | instskip(NEXT) | instid1(SALU_CYCLE_1)
	s_and_b32 s2, s22, s2
	s_and_b32 vcc_lo, exec_lo, s2
	s_mov_b32 s2, -1
	s_cbranch_vccnz .LBB127_29
; %bb.1:
	v_cmp_lt_i64_e64 s2, s[16:17], 1
	s_and_b32 vcc_lo, exec_lo, s2
	s_cbranch_vccnz .LBB127_28
; %bb.2:
	s_load_b32 s2, s[0:1], 0xd14
	v_min_i64 v[2:3], 0x10000, s[16:17]
	v_min_u64 v[4:5], 0x10000, s[16:17]
	v_dual_mov_b32 v1, 0 :: v_dual_lshlrev_b32 v16, 2, v0
	s_mov_b32 s21, 0
	s_delay_alu instid0(SALU_CYCLE_1) | instskip(NEXT) | instid1(VALU_DEP_1)
	s_mov_b32 s23, s21
	v_dual_mov_b32 v17, v1 :: v_dual_mov_b32 v35, v1
	s_mov_b32 s5, s21
	s_mov_b32 s19, s21
	s_delay_alu instid0(VALU_DEP_1) | instskip(SKIP_4) | instid1(SALU_CYCLE_1)
	v_add_nc_u64_e32 v[6:7], s[12:13], v[16:17]
	v_add_nc_u64_e32 v[8:9], s[8:9], v[16:17]
	;; [unrolled: 1-line block ×3, first 2 shown]
	s_wait_kmcnt 0x0
	s_and_b32 s20, s2, 0xffff
	s_lshl_b32 s4, s20, 1
	s_cmp_eq_f32 s14, 1.0
	v_add_nc_u64_e32 v[10:11], s[20:21], v[0:1]
	v_mad_nc_u64_u32 v[22:23], s20, 12, v[16:17]
	s_mul_i32 s18, s20, 3
	s_cselect_b32 s2, -1, 0
	s_lshl_b32 s22, s20, 3
	v_add_nc_u64_e32 v[14:15], s[18:19], v[0:1]
	v_add_nc_u64_e32 v[32:33], s[22:23], v[16:17]
	v_lshlrev_b32_e32 v34, 2, v10
	v_add_nc_u64_e32 v[16:17], s[4:5], v[0:1]
	s_lshl_b32 s18, s20, 2
	s_lshl_b32 s20, s20, 4
	s_mov_b64 s[22:23], 0
	v_add_nc_u64_e32 v[18:19], s[12:13], v[22:23]
	v_add_nc_u64_e32 v[20:21], s[8:9], v[22:23]
	;; [unrolled: 1-line block ×9, first 2 shown]
	s_branch .LBB127_4
.LBB127_3:                              ;   in Loop: Header=BB127_4 Depth=1
	s_wait_xcnt 0x0
	s_or_b32 exec_lo, exec_lo, s3
	s_add_nc_u64 s[22:23], s[22:23], s[18:19]
	v_add_nc_u64_e32 v[6:7], s[20:21], v[6:7]
	v_cmp_lt_i64_e32 vcc_lo, s[22:23], v[2:3]
	v_add_nc_u64_e32 v[8:9], s[20:21], v[8:9]
	v_add_nc_u64_e32 v[12:13], s[20:21], v[12:13]
	;; [unrolled: 1-line block ×11, first 2 shown]
	s_cbranch_vccz .LBB127_28
.LBB127_4:                              ; =>This Inner Loop Header: Depth=1
	s_wait_loadcnt 0x0
	v_add_nc_u64_e32 v[36:37], s[22:23], v[0:1]
	v_mov_b32_e32 v39, 0
	s_delay_alu instid0(VALU_DEP_2)
	v_cmp_lt_u64_e32 vcc_lo, v[36:37], v[4:5]
	v_mov_b32_e32 v37, 0
	s_and_saveexec_b32 s3, vcc_lo
	s_cbranch_execz .LBB127_6
; %bb.5:                                ;   in Loop: Header=BB127_4 Depth=1
	v_add_nc_u64_e32 v[40:41], s[10:11], v[6:7]
	v_add_nc_u64_e32 v[42:43], s[10:11], v[8:9]
	global_load_b32 v37, v[40:41], off
	global_load_b32 v39, v[42:43], off
.LBB127_6:                              ;   in Loop: Header=BB127_4 Depth=1
	s_wait_xcnt 0x0
	s_or_b32 exec_lo, exec_lo, s3
	v_dual_mov_b32 v36, 0 :: v_dual_mov_b32 v44, 0
	s_and_saveexec_b32 s3, vcc_lo
	s_cbranch_execz .LBB127_8
; %bb.7:                                ;   in Loop: Header=BB127_4 Depth=1
	v_add_nc_u64_e32 v[40:41], s[10:11], v[12:13]
	global_load_b32 v44, v[40:41], off
.LBB127_8:                              ;   in Loop: Header=BB127_4 Depth=1
	s_wait_xcnt 0x0
	s_or_b32 exec_lo, exec_lo, s3
	v_add_nc_u64_e32 v[40:41], s[22:23], v[10:11]
	s_delay_alu instid0(VALU_DEP_1)
	v_cmp_lt_u64_e64 s3, v[40:41], v[4:5]
	v_mov_b32_e32 v40, 0
	s_and_saveexec_b32 s4, s3
	s_cbranch_execz .LBB127_10
; %bb.9:                                ;   in Loop: Header=BB127_4 Depth=1
	v_add_nc_u64_e32 v[42:43], s[10:11], v[24:25]
	v_add_nc_u64_e32 v[46:47], s[10:11], v[26:27]
	global_load_b32 v40, v[42:43], off
	global_load_b32 v36, v[46:47], off
.LBB127_10:                             ;   in Loop: Header=BB127_4 Depth=1
	s_wait_xcnt 0x0
	s_or_b32 exec_lo, exec_lo, s4
	v_dual_mov_b32 v38, 0 :: v_dual_mov_b32 v45, 0
	s_and_saveexec_b32 s4, s3
	s_cbranch_execz .LBB127_12
; %bb.11:                               ;   in Loop: Header=BB127_4 Depth=1
	v_add_nc_u64_e32 v[42:43], s[10:11], v[34:35]
	global_load_b32 v45, v[42:43], off
.LBB127_12:                             ;   in Loop: Header=BB127_4 Depth=1
	s_wait_xcnt 0x0
	s_or_b32 exec_lo, exec_lo, s4
	v_add_nc_u64_e32 v[42:43], s[22:23], v[16:17]
	s_delay_alu instid0(VALU_DEP_1)
	v_cmp_lt_u64_e64 s4, v[42:43], v[4:5]
	v_mov_b32_e32 v42, 0
	s_and_saveexec_b32 s5, s4
	s_cbranch_execz .LBB127_14
; %bb.13:                               ;   in Loop: Header=BB127_4 Depth=1
	v_add_nc_u64_e32 v[46:47], s[10:11], v[28:29]
	v_add_nc_u64_e32 v[48:49], s[10:11], v[30:31]
	global_load_b32 v42, v[46:47], off
	global_load_b32 v38, v[48:49], off
.LBB127_14:                             ;   in Loop: Header=BB127_4 Depth=1
	s_wait_xcnt 0x0
	s_or_b32 exec_lo, exec_lo, s5
	v_dual_mov_b32 v41, 0 :: v_dual_mov_b32 v46, 0
	s_and_saveexec_b32 s5, s4
	s_cbranch_execz .LBB127_16
; %bb.15:                               ;   in Loop: Header=BB127_4 Depth=1
	v_add_nc_u64_e32 v[46:47], s[10:11], v[32:33]
	global_load_b32 v46, v[46:47], off
.LBB127_16:                             ;   in Loop: Header=BB127_4 Depth=1
	s_wait_xcnt 0x0
	s_or_b32 exec_lo, exec_lo, s5
	v_add_nc_u64_e32 v[48:49], s[22:23], v[14:15]
	v_mov_b32_e32 v43, 0
	s_delay_alu instid0(VALU_DEP_2)
	v_cmp_lt_u64_e64 s5, v[48:49], v[4:5]
	s_and_saveexec_b32 s15, s5
	s_cbranch_execnz .LBB127_22
; %bb.17:                               ;   in Loop: Header=BB127_4 Depth=1
	s_or_b32 exec_lo, exec_lo, s15
	v_mov_b32_e32 v47, 0
	s_and_saveexec_b32 s15, s5
	s_cbranch_execnz .LBB127_23
.LBB127_18:                             ;   in Loop: Header=BB127_4 Depth=1
	s_or_b32 exec_lo, exec_lo, s15
	s_and_saveexec_b32 s15, vcc_lo
	s_cbranch_execnz .LBB127_24
.LBB127_19:                             ;   in Loop: Header=BB127_4 Depth=1
	s_or_b32 exec_lo, exec_lo, s15
	s_and_saveexec_b32 s15, s3
	s_cbranch_execnz .LBB127_25
.LBB127_20:                             ;   in Loop: Header=BB127_4 Depth=1
	s_or_b32 exec_lo, exec_lo, s15
	s_and_saveexec_b32 s3, s4
	s_cbranch_execnz .LBB127_26
.LBB127_21:                             ;   in Loop: Header=BB127_4 Depth=1
	s_or_b32 exec_lo, exec_lo, s3
	s_and_saveexec_b32 s3, s5
	s_cbranch_execz .LBB127_3
	s_branch .LBB127_27
.LBB127_22:                             ;   in Loop: Header=BB127_4 Depth=1
	v_add_nc_u64_e32 v[48:49], s[10:11], v[18:19]
	v_add_nc_u64_e32 v[50:51], s[10:11], v[20:21]
	global_load_b32 v43, v[48:49], off
	global_load_b32 v41, v[50:51], off
	s_wait_xcnt 0x0
	s_or_b32 exec_lo, exec_lo, s15
	v_mov_b32_e32 v47, 0
	s_and_saveexec_b32 s15, s5
	s_cbranch_execz .LBB127_18
.LBB127_23:                             ;   in Loop: Header=BB127_4 Depth=1
	v_add_nc_u64_e32 v[48:49], s[10:11], v[22:23]
	global_load_b32 v47, v[48:49], off
	s_wait_xcnt 0x0
	s_or_b32 exec_lo, exec_lo, s15
	s_and_saveexec_b32 s15, vcc_lo
	s_cbranch_execz .LBB127_19
.LBB127_24:                             ;   in Loop: Header=BB127_4 Depth=1
	s_wait_loadcnt 0x0
	v_div_scale_f32 v48, null, v44, v44, v39
	v_div_scale_f32 v51, vcc_lo, v39, v44, v39
	s_delay_alu instid0(VALU_DEP_2) | instskip(SKIP_1) | instid1(TRANS32_DEP_1)
	v_rcp_f32_e32 v49, v48
	v_nop
	v_fma_f32 v50, -v48, v49, 1.0
	s_delay_alu instid0(VALU_DEP_1) | instskip(NEXT) | instid1(VALU_DEP_1)
	v_fmac_f32_e32 v49, v50, v49
	v_mul_f32_e32 v50, v51, v49
	s_delay_alu instid0(VALU_DEP_1) | instskip(NEXT) | instid1(VALU_DEP_1)
	v_fma_f32 v52, -v48, v50, v51
	v_fmac_f32_e32 v50, v52, v49
	s_delay_alu instid0(VALU_DEP_1) | instskip(NEXT) | instid1(VALU_DEP_1)
	v_fma_f32 v48, -v48, v50, v51
	v_div_fmas_f32 v48, v48, v49, v50
	s_delay_alu instid0(VALU_DEP_1) | instskip(SKIP_1) | instid1(VALU_DEP_2)
	v_div_fixup_f32 v39, v48, v44, v39
	v_add_nc_u64_e32 v[48:49], s[10:11], v[6:7]
	v_dual_add_f32 v44, v37, v39 :: v_dual_fmac_f32 v37, s14, v39
	s_delay_alu instid0(VALU_DEP_1)
	v_cndmask_b32_e64 v37, v37, v44, s2
	global_store_b32 v[48:49], v37, off
	s_wait_xcnt 0x0
	s_or_b32 exec_lo, exec_lo, s15
	s_and_saveexec_b32 s15, s3
	s_cbranch_execz .LBB127_20
.LBB127_25:                             ;   in Loop: Header=BB127_4 Depth=1
	s_wait_loadcnt 0x0
	v_div_scale_f32 v37, null, v45, v45, v36
	v_div_scale_f32 v48, vcc_lo, v36, v45, v36
	s_delay_alu instid0(VALU_DEP_2) | instskip(SKIP_1) | instid1(TRANS32_DEP_1)
	v_rcp_f32_e32 v39, v37
	v_nop
	v_fma_f32 v44, -v37, v39, 1.0
	s_delay_alu instid0(VALU_DEP_1) | instskip(NEXT) | instid1(VALU_DEP_1)
	v_fmac_f32_e32 v39, v44, v39
	v_mul_f32_e32 v44, v48, v39
	s_delay_alu instid0(VALU_DEP_1) | instskip(NEXT) | instid1(VALU_DEP_1)
	v_fma_f32 v49, -v37, v44, v48
	v_fmac_f32_e32 v44, v49, v39
	s_delay_alu instid0(VALU_DEP_1) | instskip(NEXT) | instid1(VALU_DEP_1)
	v_fma_f32 v37, -v37, v44, v48
	v_div_fmas_f32 v37, v37, v39, v44
	s_delay_alu instid0(VALU_DEP_1) | instskip(NEXT) | instid1(VALU_DEP_1)
	v_div_fixup_f32 v36, v37, v45, v36
	v_dual_add_f32 v39, v40, v36 :: v_dual_fmac_f32 v40, s14, v36
	v_add_nc_u64_e32 v[36:37], s[10:11], v[24:25]
	s_delay_alu instid0(VALU_DEP_2)
	v_cndmask_b32_e64 v39, v40, v39, s2
	global_store_b32 v[36:37], v39, off
	s_wait_xcnt 0x0
	s_or_b32 exec_lo, exec_lo, s15
	s_and_saveexec_b32 s3, s4
	s_cbranch_execz .LBB127_21
.LBB127_26:                             ;   in Loop: Header=BB127_4 Depth=1
	s_wait_loadcnt 0x0
	v_div_scale_f32 v36, null, v46, v46, v38
	v_div_scale_f32 v40, vcc_lo, v38, v46, v38
	s_delay_alu instid0(VALU_DEP_2) | instskip(SKIP_1) | instid1(TRANS32_DEP_1)
	v_rcp_f32_e32 v37, v36
	v_nop
	v_fma_f32 v39, -v36, v37, 1.0
	s_delay_alu instid0(VALU_DEP_1) | instskip(NEXT) | instid1(VALU_DEP_1)
	v_fmac_f32_e32 v37, v39, v37
	v_mul_f32_e32 v39, v40, v37
	s_delay_alu instid0(VALU_DEP_1) | instskip(NEXT) | instid1(VALU_DEP_1)
	v_fma_f32 v44, -v36, v39, v40
	v_fmac_f32_e32 v39, v44, v37
	s_delay_alu instid0(VALU_DEP_1) | instskip(NEXT) | instid1(VALU_DEP_1)
	v_fma_f32 v36, -v36, v39, v40
	v_div_fmas_f32 v36, v36, v37, v39
	s_delay_alu instid0(VALU_DEP_1) | instskip(NEXT) | instid1(VALU_DEP_1)
	v_div_fixup_f32 v36, v36, v46, v38
	v_dual_add_f32 v38, v42, v36 :: v_dual_fmac_f32 v42, s14, v36
	v_add_nc_u64_e32 v[36:37], s[10:11], v[28:29]
	s_delay_alu instid0(VALU_DEP_2)
	v_cndmask_b32_e64 v38, v42, v38, s2
	global_store_b32 v[36:37], v38, off
	s_wait_xcnt 0x0
	s_or_b32 exec_lo, exec_lo, s3
	s_and_saveexec_b32 s3, s5
	s_cbranch_execz .LBB127_3
.LBB127_27:                             ;   in Loop: Header=BB127_4 Depth=1
	s_wait_loadcnt 0x0
	v_div_scale_f32 v36, null, v47, v47, v41
	v_div_scale_f32 v39, vcc_lo, v41, v47, v41
	s_delay_alu instid0(VALU_DEP_2) | instskip(SKIP_1) | instid1(TRANS32_DEP_1)
	v_rcp_f32_e32 v37, v36
	v_nop
	v_fma_f32 v38, -v36, v37, 1.0
	s_delay_alu instid0(VALU_DEP_1) | instskip(NEXT) | instid1(VALU_DEP_1)
	v_fmac_f32_e32 v37, v38, v37
	v_mul_f32_e32 v38, v39, v37
	s_delay_alu instid0(VALU_DEP_1) | instskip(NEXT) | instid1(VALU_DEP_1)
	v_fma_f32 v40, -v36, v38, v39
	v_fmac_f32_e32 v38, v40, v37
	s_delay_alu instid0(VALU_DEP_1) | instskip(NEXT) | instid1(VALU_DEP_1)
	v_fma_f32 v36, -v36, v38, v39
	v_div_fmas_f32 v36, v36, v37, v38
	s_delay_alu instid0(VALU_DEP_1) | instskip(NEXT) | instid1(VALU_DEP_1)
	v_div_fixup_f32 v36, v36, v47, v41
	v_dual_add_f32 v38, v43, v36 :: v_dual_fmac_f32 v43, s14, v36
	v_add_nc_u64_e32 v[36:37], s[10:11], v[18:19]
	s_delay_alu instid0(VALU_DEP_2)
	v_cndmask_b32_e64 v38, v43, v38, s2
	global_store_b32 v[36:37], v38, off
	s_branch .LBB127_3
.LBB127_28:
	s_mov_b32 s2, 0
.LBB127_29:
	s_delay_alu instid0(SALU_CYCLE_1)
	s_and_not1_b32 vcc_lo, exec_lo, s2
	s_cbranch_vccnz .LBB127_33
; %bb.30:
	v_min_i64 v[2:3], 0x10000, s[16:17]
	v_dual_mov_b32 v7, 0 :: v_dual_lshlrev_b32 v6, 2, v0
	s_mov_b32 s2, exec_lo
	s_delay_alu instid0(VALU_DEP_1)
	v_cmpx_lt_i64_e64 v[6:7], v[2:3]
	s_cbranch_execz .LBB127_33
; %bb.31:
	s_load_b32 s1, s[0:1], 0xd14
	v_dual_mov_b32 v1, v7 :: v_dual_lshlrev_b32 v6, 4, v0
	s_wait_kmcnt 0x0
	s_mov_b32 s15, s14
	s_cmp_eq_f32 s14, 1.0
	v_mov_b64_e32 v[4:5], s[14:15]
	s_mov_b32 s5, 0
	v_add_nc_u64_e32 v[6:7], s[10:11], v[6:7]
	s_cselect_b32 s0, -1, 0
	s_add_nc_u64 s[12:13], s[12:13], 8
	s_add_nc_u64 s[8:9], s[8:9], 8
	s_mov_b32 s11, s5
	s_mov_b32 s14, s5
	s_and_b32 s4, s1, 0xffff
	s_delay_alu instid0(SALU_CYCLE_1)
	s_lshl_b32 s10, s4, 4
.LBB127_32:                             ; =>This Inner Loop Header: Depth=1
	v_add_nc_u64_e32 v[16:17], s[8:9], v[6:7]
	v_add_nc_u64_e32 v[18:19], s[6:7], v[6:7]
	;; [unrolled: 1-line block ×5, first 2 shown]
	global_load_b128 v[8:11], v[16:17], off offset:-8
	global_load_b128 v[12:15], v[18:19], off
	global_load_b128 v[16:19], v[20:21], off offset:-8
	v_lshlrev_b64_e32 v[22:23], 2, v[0:1]
	s_wait_loadcnt 0x1
	v_div_scale_f32 v24, null, v13, v13, v9
	v_div_scale_f32 v26, null, v12, v12, v8
	;; [unrolled: 1-line block ×3, first 2 shown]
	s_delay_alu instid0(VALU_DEP_3) | instskip(SKIP_1) | instid1(VALU_DEP_3)
	v_rcp_f32_e32 v32, v24
	v_div_scale_f32 v30, null, v14, v14, v10
	v_rcp_f32_e32 v33, v26
	s_delay_alu instid0(VALU_DEP_2) | instskip(SKIP_1) | instid1(VALU_DEP_2)
	v_rcp_f32_e32 v34, v28
	v_div_scale_f32 v25, vcc_lo, v9, v13, v9
	v_rcp_f32_e32 v35, v30
	v_fma_f32 v36, -v24, v32, 1.0
	v_div_scale_f32 v27, s1, v8, v12, v8
	s_delay_alu instid0(TRANS32_DEP_3) | instskip(NEXT) | instid1(TRANS32_DEP_2)
	v_fma_f32 v37, -v26, v33, 1.0
	v_fma_f32 v38, -v28, v34, 1.0
	s_delay_alu instid0(VALU_DEP_4) | instskip(NEXT) | instid1(TRANS32_DEP_1)
	v_fmac_f32_e32 v32, v36, v32
	v_fma_f32 v39, -v30, v35, 1.0
	v_div_scale_f32 v29, s2, v11, v15, v11
	s_delay_alu instid0(VALU_DEP_4) | instskip(NEXT) | instid1(VALU_DEP_3)
	v_dual_fmac_f32 v33, v37, v33 :: v_dual_fmac_f32 v34, v38, v34
	v_dual_fmac_f32 v35, v39, v35 :: v_dual_mul_f32 v36, v25, v32
	v_div_scale_f32 v31, s3, v10, v14, v10
	s_delay_alu instid0(VALU_DEP_3) | instskip(NEXT) | instid1(VALU_DEP_2)
	v_dual_mul_f32 v37, v27, v33 :: v_dual_mul_f32 v38, v29, v34
	v_dual_fma_f32 v40, -v24, v36, v25 :: v_dual_mul_f32 v39, v31, v35
	s_delay_alu instid0(VALU_DEP_2) | instskip(NEXT) | instid1(VALU_DEP_2)
	v_dual_fma_f32 v41, -v26, v37, v27 :: v_dual_fma_f32 v42, -v28, v38, v29
	v_dual_fmac_f32 v36, v40, v32 :: v_dual_fma_f32 v43, -v30, v39, v31
	s_delay_alu instid0(VALU_DEP_2) | instskip(NEXT) | instid1(VALU_DEP_2)
	v_dual_fmac_f32 v37, v41, v33 :: v_dual_fmac_f32 v38, v42, v34
	v_dual_fma_f32 v24, -v24, v36, v25 :: v_dual_fmac_f32 v39, v43, v35
	s_delay_alu instid0(VALU_DEP_2) | instskip(NEXT) | instid1(VALU_DEP_2)
	v_dual_fma_f32 v25, -v26, v37, v27 :: v_dual_fma_f32 v26, -v28, v38, v29
	v_div_fmas_f32 v24, v24, v32, v36
	s_mov_b32 vcc_lo, s1
	s_delay_alu instid0(VALU_DEP_3) | instskip(NEXT) | instid1(VALU_DEP_3)
	v_fma_f32 v27, -v30, v39, v31
	v_div_fmas_f32 v25, v25, v33, v37
	s_mov_b32 vcc_lo, s2
	v_div_fixup_f32 v9, v24, v13, v9
	v_div_fmas_f32 v26, v26, v34, v38
	s_mov_b32 vcc_lo, s3
	v_div_fixup_f32 v8, v25, v12, v8
	v_div_fmas_f32 v13, v27, v35, v39
	v_cmp_ge_i64_e32 vcc_lo, v[22:23], v[2:3]
	v_div_fixup_f32 v11, v26, v15, v11
	s_delay_alu instid0(VALU_DEP_3)
	v_div_fixup_f32 v10, v13, v14, v10
	s_wait_loadcnt 0x0
	v_pk_add_f32 v[12:13], v[16:17], v[8:9]
	v_pk_fma_f32 v[8:9], v[4:5], v[8:9], v[16:17]
	s_or_b32 s14, vcc_lo, s14
	v_pk_add_f32 v[14:15], v[18:19], v[10:11]
	v_pk_fma_f32 v[10:11], v[4:5], v[10:11], v[18:19]
	s_delay_alu instid0(VALU_DEP_3) | instskip(NEXT) | instid1(VALU_DEP_2)
	v_dual_cndmask_b32 v9, v9, v13, s0 :: v_dual_cndmask_b32 v8, v8, v12, s0
	v_dual_cndmask_b32 v11, v11, v15, s0 :: v_dual_cndmask_b32 v10, v10, v14, s0
	global_store_b128 v[20:21], v[8:11], off offset:-8
	s_wait_xcnt 0x0
	s_and_not1_b32 exec_lo, exec_lo, s14
	s_cbranch_execnz .LBB127_32
.LBB127_33:
	s_endpgm
	.section	.rodata,"a",@progbits
	.p2align	6, 0x0
	.amdhsa_kernel _ZN2at6native12_GLOBAL__N_125multi_tensor_apply_kernelINS1_28TensorListScalarListMetadataIfLi3EEENS1_28PointwiseOpScalarListFunctorIfLi3ELi3ELi0EEEJSt7dividesIfEEEEvT_T0_DpT1_
		.amdhsa_group_segment_fixed_size 0
		.amdhsa_private_segment_fixed_size 0
		.amdhsa_kernarg_size 3592
		.amdhsa_user_sgpr_count 2
		.amdhsa_user_sgpr_dispatch_ptr 0
		.amdhsa_user_sgpr_queue_ptr 0
		.amdhsa_user_sgpr_kernarg_segment_ptr 1
		.amdhsa_user_sgpr_dispatch_id 0
		.amdhsa_user_sgpr_kernarg_preload_length 0
		.amdhsa_user_sgpr_kernarg_preload_offset 0
		.amdhsa_user_sgpr_private_segment_size 0
		.amdhsa_wavefront_size32 1
		.amdhsa_uses_dynamic_stack 0
		.amdhsa_enable_private_segment 0
		.amdhsa_system_sgpr_workgroup_id_x 1
		.amdhsa_system_sgpr_workgroup_id_y 0
		.amdhsa_system_sgpr_workgroup_id_z 0
		.amdhsa_system_sgpr_workgroup_info 0
		.amdhsa_system_vgpr_workitem_id 0
		.amdhsa_next_free_vgpr 53
		.amdhsa_next_free_sgpr 24
		.amdhsa_named_barrier_count 0
		.amdhsa_reserve_vcc 1
		.amdhsa_float_round_mode_32 0
		.amdhsa_float_round_mode_16_64 0
		.amdhsa_float_denorm_mode_32 3
		.amdhsa_float_denorm_mode_16_64 3
		.amdhsa_fp16_overflow 0
		.amdhsa_memory_ordered 1
		.amdhsa_forward_progress 1
		.amdhsa_inst_pref_size 18
		.amdhsa_round_robin_scheduling 0
		.amdhsa_exception_fp_ieee_invalid_op 0
		.amdhsa_exception_fp_denorm_src 0
		.amdhsa_exception_fp_ieee_div_zero 0
		.amdhsa_exception_fp_ieee_overflow 0
		.amdhsa_exception_fp_ieee_underflow 0
		.amdhsa_exception_fp_ieee_inexact 0
		.amdhsa_exception_int_div_zero 0
	.end_amdhsa_kernel
	.section	.text._ZN2at6native12_GLOBAL__N_125multi_tensor_apply_kernelINS1_28TensorListScalarListMetadataIfLi3EEENS1_28PointwiseOpScalarListFunctorIfLi3ELi3ELi0EEEJSt7dividesIfEEEEvT_T0_DpT1_,"axG",@progbits,_ZN2at6native12_GLOBAL__N_125multi_tensor_apply_kernelINS1_28TensorListScalarListMetadataIfLi3EEENS1_28PointwiseOpScalarListFunctorIfLi3ELi3ELi0EEEJSt7dividesIfEEEEvT_T0_DpT1_,comdat
.Lfunc_end127:
	.size	_ZN2at6native12_GLOBAL__N_125multi_tensor_apply_kernelINS1_28TensorListScalarListMetadataIfLi3EEENS1_28PointwiseOpScalarListFunctorIfLi3ELi3ELi0EEEJSt7dividesIfEEEEvT_T0_DpT1_, .Lfunc_end127-_ZN2at6native12_GLOBAL__N_125multi_tensor_apply_kernelINS1_28TensorListScalarListMetadataIfLi3EEENS1_28PointwiseOpScalarListFunctorIfLi3ELi3ELi0EEEJSt7dividesIfEEEEvT_T0_DpT1_
                                        ; -- End function
	.set _ZN2at6native12_GLOBAL__N_125multi_tensor_apply_kernelINS1_28TensorListScalarListMetadataIfLi3EEENS1_28PointwiseOpScalarListFunctorIfLi3ELi3ELi0EEEJSt7dividesIfEEEEvT_T0_DpT1_.num_vgpr, 53
	.set _ZN2at6native12_GLOBAL__N_125multi_tensor_apply_kernelINS1_28TensorListScalarListMetadataIfLi3EEENS1_28PointwiseOpScalarListFunctorIfLi3ELi3ELi0EEEJSt7dividesIfEEEEvT_T0_DpT1_.num_agpr, 0
	.set _ZN2at6native12_GLOBAL__N_125multi_tensor_apply_kernelINS1_28TensorListScalarListMetadataIfLi3EEENS1_28PointwiseOpScalarListFunctorIfLi3ELi3ELi0EEEJSt7dividesIfEEEEvT_T0_DpT1_.numbered_sgpr, 24
	.set _ZN2at6native12_GLOBAL__N_125multi_tensor_apply_kernelINS1_28TensorListScalarListMetadataIfLi3EEENS1_28PointwiseOpScalarListFunctorIfLi3ELi3ELi0EEEJSt7dividesIfEEEEvT_T0_DpT1_.num_named_barrier, 0
	.set _ZN2at6native12_GLOBAL__N_125multi_tensor_apply_kernelINS1_28TensorListScalarListMetadataIfLi3EEENS1_28PointwiseOpScalarListFunctorIfLi3ELi3ELi0EEEJSt7dividesIfEEEEvT_T0_DpT1_.private_seg_size, 0
	.set _ZN2at6native12_GLOBAL__N_125multi_tensor_apply_kernelINS1_28TensorListScalarListMetadataIfLi3EEENS1_28PointwiseOpScalarListFunctorIfLi3ELi3ELi0EEEJSt7dividesIfEEEEvT_T0_DpT1_.uses_vcc, 1
	.set _ZN2at6native12_GLOBAL__N_125multi_tensor_apply_kernelINS1_28TensorListScalarListMetadataIfLi3EEENS1_28PointwiseOpScalarListFunctorIfLi3ELi3ELi0EEEJSt7dividesIfEEEEvT_T0_DpT1_.uses_flat_scratch, 0
	.set _ZN2at6native12_GLOBAL__N_125multi_tensor_apply_kernelINS1_28TensorListScalarListMetadataIfLi3EEENS1_28PointwiseOpScalarListFunctorIfLi3ELi3ELi0EEEJSt7dividesIfEEEEvT_T0_DpT1_.has_dyn_sized_stack, 0
	.set _ZN2at6native12_GLOBAL__N_125multi_tensor_apply_kernelINS1_28TensorListScalarListMetadataIfLi3EEENS1_28PointwiseOpScalarListFunctorIfLi3ELi3ELi0EEEJSt7dividesIfEEEEvT_T0_DpT1_.has_recursion, 0
	.set _ZN2at6native12_GLOBAL__N_125multi_tensor_apply_kernelINS1_28TensorListScalarListMetadataIfLi3EEENS1_28PointwiseOpScalarListFunctorIfLi3ELi3ELi0EEEJSt7dividesIfEEEEvT_T0_DpT1_.has_indirect_call, 0
	.section	.AMDGPU.csdata,"",@progbits
; Kernel info:
; codeLenInByte = 2260
; TotalNumSgprs: 26
; NumVgprs: 53
; ScratchSize: 0
; MemoryBound: 0
; FloatMode: 240
; IeeeMode: 1
; LDSByteSize: 0 bytes/workgroup (compile time only)
; SGPRBlocks: 0
; VGPRBlocks: 3
; NumSGPRsForWavesPerEU: 26
; NumVGPRsForWavesPerEU: 53
; NamedBarCnt: 0
; Occupancy: 16
; WaveLimiterHint : 0
; COMPUTE_PGM_RSRC2:SCRATCH_EN: 0
; COMPUTE_PGM_RSRC2:USER_SGPR: 2
; COMPUTE_PGM_RSRC2:TRAP_HANDLER: 0
; COMPUTE_PGM_RSRC2:TGID_X_EN: 1
; COMPUTE_PGM_RSRC2:TGID_Y_EN: 0
; COMPUTE_PGM_RSRC2:TGID_Z_EN: 0
; COMPUTE_PGM_RSRC2:TIDIG_COMP_CNT: 0
	.section	.text._ZN2at6native12_GLOBAL__N_125multi_tensor_apply_kernelINS1_28TensorListScalarListMetadataIN3c107complexIdEELi3EEENS1_28PointwiseOpScalarListFunctorIS6_Li3ELi3ELi0EEEJSt7dividesIS6_EEEEvT_T0_DpT1_,"axG",@progbits,_ZN2at6native12_GLOBAL__N_125multi_tensor_apply_kernelINS1_28TensorListScalarListMetadataIN3c107complexIdEELi3EEENS1_28PointwiseOpScalarListFunctorIS6_Li3ELi3ELi0EEEJSt7dividesIS6_EEEEvT_T0_DpT1_,comdat
	.globl	_ZN2at6native12_GLOBAL__N_125multi_tensor_apply_kernelINS1_28TensorListScalarListMetadataIN3c107complexIdEELi3EEENS1_28PointwiseOpScalarListFunctorIS6_Li3ELi3ELi0EEEJSt7dividesIS6_EEEEvT_T0_DpT1_ ; -- Begin function _ZN2at6native12_GLOBAL__N_125multi_tensor_apply_kernelINS1_28TensorListScalarListMetadataIN3c107complexIdEELi3EEENS1_28PointwiseOpScalarListFunctorIS6_Li3ELi3ELi0EEEJSt7dividesIS6_EEEEvT_T0_DpT1_
	.p2align	8
	.type	_ZN2at6native12_GLOBAL__N_125multi_tensor_apply_kernelINS1_28TensorListScalarListMetadataIN3c107complexIdEELi3EEENS1_28PointwiseOpScalarListFunctorIS6_Li3ELi3ELi0EEEJSt7dividesIS6_EEEEvT_T0_DpT1_,@function
_ZN2at6native12_GLOBAL__N_125multi_tensor_apply_kernelINS1_28TensorListScalarListMetadataIN3c107complexIdEELi3EEENS1_28PointwiseOpScalarListFunctorIS6_Li3ELi3ELi0EEEJSt7dividesIS6_EEEEvT_T0_DpT1_: ; @_ZN2at6native12_GLOBAL__N_125multi_tensor_apply_kernelINS1_28TensorListScalarListMetadataIN3c107complexIdEELi3EEENS1_28PointwiseOpScalarListFunctorIS6_Li3ELi3ELi0EEEJSt7dividesIS6_EEEEvT_T0_DpT1_
; %bb.0:
	s_bfe_u32 s2, ttmp6, 0x4000c
	s_and_b32 s3, ttmp6, 15
	s_add_co_i32 s2, s2, 1
	s_getreg_b32 s4, hwreg(HW_REG_IB_STS2, 6, 4)
	s_mul_i32 s2, ttmp9, s2
	s_delay_alu instid0(SALU_CYCLE_1)
	s_add_co_i32 s3, s3, s2
	s_cmp_eq_u32 s4, 0
	s_cselect_b32 s2, ttmp9, s3
	s_mov_b32 s3, 0
	s_load_u8 s12, s[0:1], s2 offset:0x900
	s_add_nc_u64 s[4:5], s[0:1], s[2:3]
	s_mul_u64 s[6:7], s[2:3], 3
	s_delay_alu instid0(SALU_CYCLE_1)
	s_add_nc_u64 s[4:5], s[4:5], s[6:7]
	s_load_b32 s6, s[4:5], 0xa40
	s_wait_kmcnt 0x0
	s_clause 0x3
	s_load_b64 s[8:9], s[0:1], s12 offset:0x180 scale_offset
	s_load_b64 s[10:11], s[0:1], s12 offset:0x300 scale_offset
	;; [unrolled: 1-line block ×4, first 2 shown]
	s_lshl_b32 s2, s12, 3
	s_delay_alu instid0(SALU_CYCLE_1) | instskip(SKIP_1) | instid1(SALU_CYCLE_1)
	s_add_nc_u64 s[20:21], s[0:1], s[2:3]
	s_ashr_i32 s7, s6, 31
	s_lshl_b64 s[4:5], s[6:7], 20
	s_wait_kmcnt 0x0
	s_add_nc_u64 s[12:13], s[8:9], s[4:5]
	s_add_nc_u64 s[14:15], s[10:11], s[4:5]
	s_load_b128 s[8:11], s[20:21], s2 offset:0x600
	s_wait_xcnt 0x0
	s_or_b32 s2, s14, s12
	s_add_nc_u64 s[16:17], s[16:17], s[4:5]
	s_and_b32 s2, s2, 63
	s_and_b64 s[4:5], s[16:17], 63
	s_cmp_eq_u32 s2, 0
	s_cselect_b32 s20, -1, 0
	s_and_b32 s2, s18, 3
	s_delay_alu instid0(SALU_CYCLE_1) | instskip(SKIP_4) | instid1(SALU_CYCLE_1)
	s_or_b64 s[2:3], s[4:5], s[2:3]
	s_lshl_b64 s[4:5], s[6:7], 16
	s_cmp_eq_u64 s[2:3], 0
	s_sub_nc_u64 s[18:19], s[18:19], s[4:5]
	s_cselect_b32 s2, -1, 0
	s_and_b32 s2, s20, s2
	s_delay_alu instid0(SALU_CYCLE_1)
	s_and_b32 vcc_lo, exec_lo, s2
	s_mov_b32 s2, -1
	s_cbranch_vccnz .LBB128_109
; %bb.1:
	v_cmp_lt_i64_e64 s2, s[18:19], 1
	s_and_b32 vcc_lo, exec_lo, s2
	s_cbranch_vccnz .LBB128_108
; %bb.2:
	s_wait_kmcnt 0x0
	v_cmp_neq_f64_e64 s2, s[8:9], 1.0
	v_cmp_neq_f64_e64 s3, s[10:11], 0
	v_min_i64 v[50:51], 0x10000, s[18:19]
	v_min_u64 v[52:53], 0x10000, s[18:19]
	s_load_b32 s4, s[0:1], 0xf54
	v_mov_b32_e32 v1, 0
	s_mov_b32 s21, 0
	s_mov_b64 s[22:23], 0
	s_mov_b32 s25, s21
	s_mov_b32 s27, s21
	;; [unrolled: 1-line block ×3, first 2 shown]
	s_wait_kmcnt 0x0
	s_and_b32 s20, s4, 0xffff
	s_delay_alu instid0(SALU_CYCLE_1)
	s_lshl_b32 s24, s20, 1
	s_mul_i32 s26, s20, 3
	s_lshl_b32 s28, s20, 2
	s_or_b32 s30, s2, s3
	s_branch .LBB128_4
.LBB128_3:                              ;   in Loop: Header=BB128_4 Depth=1
	s_wait_xcnt 0x0
	s_or_b32 exec_lo, exec_lo, s2
	s_add_nc_u64 s[22:23], s[22:23], s[28:29]
	s_delay_alu instid0(SALU_CYCLE_1)
	v_cmp_ge_i64_e32 vcc_lo, s[22:23], v[50:51]
	s_cbranch_vccnz .LBB128_108
.LBB128_4:                              ; =>This Inner Loop Header: Depth=1
	v_add_nc_u64_e32 v[54:55], s[22:23], v[0:1]
	v_mov_b64_e32 v[48:49], 0
	v_mov_b64_e32 v[44:45], 0
	;; [unrolled: 1-line block ×5, first 2 shown]
	v_cmp_lt_u64_e64 s2, v[54:55], v[52:53]
	s_and_saveexec_b32 s3, s2
	s_cbranch_execz .LBB128_6
; %bb.5:                                ;   in Loop: Header=BB128_4 Depth=1
	v_lshlrev_b64_e32 v[2:3], 4, v[54:55]
	s_delay_alu instid0(VALU_DEP_1)
	v_add_nc_u64_e32 v[6:7], s[16:17], v[2:3]
	v_add_nc_u64_e32 v[8:9], s[12:13], v[2:3]
	global_load_b128 v[2:5], v[6:7], off
	global_load_b128 v[42:45], v[8:9], off
.LBB128_6:                              ;   in Loop: Header=BB128_4 Depth=1
	s_wait_xcnt 0x0
	s_or_b32 exec_lo, exec_lo, s3
	v_mov_b64_e32 v[46:47], 0
	s_and_saveexec_b32 s3, s2
	s_cbranch_execz .LBB128_8
; %bb.7:                                ;   in Loop: Header=BB128_4 Depth=1
	v_lshl_add_u64 v[6:7], v[54:55], 4, s[14:15]
	global_load_b128 v[46:49], v[6:7], off
.LBB128_8:                              ;   in Loop: Header=BB128_4 Depth=1
	s_wait_xcnt 0x0
	s_or_b32 exec_lo, exec_lo, s3
	v_add_nc_u64_e32 v[56:57], s[20:21], v[54:55]
	v_mov_b64_e32 v[40:41], 0
	v_mov_b64_e32 v[36:37], 0
	v_mov_b64_e32 v[34:35], 0
	v_mov_b64_e32 v[8:9], 0
	v_mov_b64_e32 v[6:7], 0
	v_cmp_lt_u64_e64 s3, v[56:57], v[52:53]
	s_and_saveexec_b32 s4, s3
	s_cbranch_execz .LBB128_10
; %bb.9:                                ;   in Loop: Header=BB128_4 Depth=1
	v_lshlrev_b64_e32 v[6:7], 4, v[56:57]
	s_delay_alu instid0(VALU_DEP_1)
	v_add_nc_u64_e32 v[10:11], s[16:17], v[6:7]
	v_add_nc_u64_e32 v[12:13], s[12:13], v[6:7]
	global_load_b128 v[6:9], v[10:11], off
	global_load_b128 v[34:37], v[12:13], off
.LBB128_10:                             ;   in Loop: Header=BB128_4 Depth=1
	s_wait_xcnt 0x0
	s_or_b32 exec_lo, exec_lo, s4
	v_mov_b64_e32 v[38:39], 0
	s_and_saveexec_b32 s4, s3
	s_cbranch_execz .LBB128_12
; %bb.11:                               ;   in Loop: Header=BB128_4 Depth=1
	v_lshl_add_u64 v[10:11], v[56:57], 4, s[14:15]
	global_load_b128 v[38:41], v[10:11], off
.LBB128_12:                             ;   in Loop: Header=BB128_4 Depth=1
	s_wait_xcnt 0x0
	s_or_b32 exec_lo, exec_lo, s4
	v_add_nc_u64_e32 v[58:59], s[24:25], v[54:55]
	v_mov_b64_e32 v[32:33], 0
	v_mov_b64_e32 v[28:29], 0
	;; [unrolled: 1-line block ×5, first 2 shown]
	v_cmp_lt_u64_e64 s4, v[58:59], v[52:53]
	s_and_saveexec_b32 s5, s4
	s_cbranch_execz .LBB128_14
; %bb.13:                               ;   in Loop: Header=BB128_4 Depth=1
	v_lshlrev_b64_e32 v[10:11], 4, v[58:59]
	s_delay_alu instid0(VALU_DEP_1)
	v_add_nc_u64_e32 v[14:15], s[16:17], v[10:11]
	v_add_nc_u64_e32 v[16:17], s[12:13], v[10:11]
	global_load_b128 v[10:13], v[14:15], off
	global_load_b128 v[26:29], v[16:17], off
.LBB128_14:                             ;   in Loop: Header=BB128_4 Depth=1
	s_wait_xcnt 0x0
	s_or_b32 exec_lo, exec_lo, s5
	v_mov_b64_e32 v[30:31], 0
	s_and_saveexec_b32 s5, s4
	s_cbranch_execz .LBB128_16
; %bb.15:                               ;   in Loop: Header=BB128_4 Depth=1
	v_lshl_add_u64 v[14:15], v[58:59], 4, s[14:15]
	global_load_b128 v[30:33], v[14:15], off
.LBB128_16:                             ;   in Loop: Header=BB128_4 Depth=1
	s_wait_xcnt 0x0
	s_or_b32 exec_lo, exec_lo, s5
	v_add_nc_u64_e32 v[60:61], s[26:27], v[54:55]
	v_mov_b64_e32 v[24:25], 0
	v_mov_b64_e32 v[20:21], 0
	;; [unrolled: 1-line block ×5, first 2 shown]
	v_cmp_lt_u64_e64 s5, v[60:61], v[52:53]
	s_and_saveexec_b32 s6, s5
	s_cbranch_execz .LBB128_18
; %bb.17:                               ;   in Loop: Header=BB128_4 Depth=1
	v_lshlrev_b64_e32 v[14:15], 4, v[60:61]
	s_delay_alu instid0(VALU_DEP_1)
	v_add_nc_u64_e32 v[22:23], s[16:17], v[14:15]
	v_add_nc_u64_e32 v[62:63], s[12:13], v[14:15]
	global_load_b128 v[14:17], v[22:23], off
	global_load_b128 v[18:21], v[62:63], off
.LBB128_18:                             ;   in Loop: Header=BB128_4 Depth=1
	s_wait_xcnt 0x0
	s_or_b32 exec_lo, exec_lo, s6
	v_mov_b64_e32 v[22:23], 0
	s_and_saveexec_b32 s6, s5
	s_cbranch_execz .LBB128_20
; %bb.19:                               ;   in Loop: Header=BB128_4 Depth=1
	v_lshl_add_u64 v[22:23], v[60:61], 4, s[14:15]
	global_load_b128 v[22:25], v[22:23], off
.LBB128_20:                             ;   in Loop: Header=BB128_4 Depth=1
	s_wait_xcnt 0x0
	s_or_b32 exec_lo, exec_lo, s6
	s_wait_loadcnt 0x0
	v_cmp_gt_f64_e32 vcc_lo, 0, v[46:47]
	v_xor_b32_e32 v62, 0x80000000, v47
	v_mov_b32_e32 v66, v46
	v_xor_b32_e32 v63, 0x80000000, v49
	s_mov_b32 s7, -1
                                        ; implicit-def: $vgpr64_vgpr65
	s_delay_alu instid0(VALU_DEP_3) | instskip(SKIP_1) | instid1(VALU_DEP_3)
	v_dual_mov_b32 v68, v48 :: v_dual_cndmask_b32 v67, v47, v62
	v_cmp_gt_f64_e32 vcc_lo, 0, v[48:49]
	v_cndmask_b32_e32 v69, v49, v63, vcc_lo
	s_and_b32 vcc_lo, exec_lo, s30
                                        ; implicit-def: $vgpr62_vgpr63
	s_delay_alu instid0(VALU_DEP_1)
	v_cmp_ge_f64_e64 s6, v[66:67], v[68:69]
	s_cbranch_vccz .LBB128_30
; %bb.21:                               ;   in Loop: Header=BB128_4 Depth=1
                                        ; implicit-def: $vgpr62_vgpr63
                                        ; implicit-def: $vgpr70_vgpr71
	s_and_saveexec_b32 s7, s6
	s_delay_alu instid0(SALU_CYCLE_1)
	s_xor_b32 s31, exec_lo, s7
	s_cbranch_execz .LBB128_27
; %bb.22:                               ;   in Loop: Header=BB128_4 Depth=1
	v_cmp_neq_f64_e32 vcc_lo, 0, v[46:47]
	v_cmp_neq_f64_e64 s7, 0, v[48:49]
                                        ; implicit-def: $vgpr62_vgpr63
                                        ; implicit-def: $vgpr70_vgpr71
	s_or_b32 s7, s7, vcc_lo
	s_delay_alu instid0(SALU_CYCLE_1) | instskip(NEXT) | instid1(SALU_CYCLE_1)
	s_and_saveexec_b32 s33, s7
	s_xor_b32 s7, exec_lo, s33
	s_cbranch_execz .LBB128_24
; %bb.23:                               ;   in Loop: Header=BB128_4 Depth=1
	v_div_scale_f64 v[62:63], null, v[46:47], v[46:47], v[48:49]
	v_div_scale_f64 v[72:73], vcc_lo, v[48:49], v[46:47], v[48:49]
	s_delay_alu instid0(VALU_DEP_2) | instskip(SKIP_1) | instid1(TRANS32_DEP_1)
	v_rcp_f64_e32 v[64:65], v[62:63]
	v_nop
	v_fma_f64 v[70:71], -v[62:63], v[64:65], 1.0
	s_delay_alu instid0(VALU_DEP_1) | instskip(NEXT) | instid1(VALU_DEP_1)
	v_fmac_f64_e32 v[64:65], v[64:65], v[70:71]
	v_fma_f64 v[70:71], -v[62:63], v[64:65], 1.0
	s_delay_alu instid0(VALU_DEP_1) | instskip(NEXT) | instid1(VALU_DEP_1)
	v_fmac_f64_e32 v[64:65], v[64:65], v[70:71]
	v_mul_f64_e32 v[70:71], v[72:73], v[64:65]
	s_delay_alu instid0(VALU_DEP_1) | instskip(NEXT) | instid1(VALU_DEP_1)
	v_fma_f64 v[62:63], -v[62:63], v[70:71], v[72:73]
	v_div_fmas_f64 v[62:63], v[62:63], v[64:65], v[70:71]
	s_delay_alu instid0(VALU_DEP_1) | instskip(NEXT) | instid1(VALU_DEP_1)
	v_div_fixup_f64 v[62:63], v[62:63], v[46:47], v[48:49]
	v_fma_f64 v[64:65], v[48:49], v[62:63], v[46:47]
	s_delay_alu instid0(VALU_DEP_1) | instskip(SKIP_1) | instid1(VALU_DEP_2)
	v_div_scale_f64 v[70:71], null, v[64:65], v[64:65], 1.0
	v_div_scale_f64 v[76:77], vcc_lo, 1.0, v[64:65], 1.0
	v_rcp_f64_e32 v[72:73], v[70:71]
	v_nop
	s_delay_alu instid0(TRANS32_DEP_1) | instskip(NEXT) | instid1(VALU_DEP_1)
	v_fma_f64 v[74:75], -v[70:71], v[72:73], 1.0
	v_fmac_f64_e32 v[72:73], v[72:73], v[74:75]
	s_delay_alu instid0(VALU_DEP_1) | instskip(NEXT) | instid1(VALU_DEP_1)
	v_fma_f64 v[74:75], -v[70:71], v[72:73], 1.0
	v_fmac_f64_e32 v[72:73], v[72:73], v[74:75]
	s_delay_alu instid0(VALU_DEP_1) | instskip(NEXT) | instid1(VALU_DEP_1)
	v_mul_f64_e32 v[74:75], v[76:77], v[72:73]
	v_fma_f64 v[70:71], -v[70:71], v[74:75], v[76:77]
	s_delay_alu instid0(VALU_DEP_1) | instskip(SKIP_2) | instid1(VALU_DEP_3)
	v_div_fmas_f64 v[70:71], v[70:71], v[72:73], v[74:75]
	v_fma_f64 v[72:73], v[44:45], v[62:63], v[42:43]
	v_fma_f64 v[62:63], -v[42:43], v[62:63], v[44:45]
	v_div_fixup_f64 v[64:65], v[70:71], v[64:65], 1.0
	s_delay_alu instid0(VALU_DEP_1) | instskip(NEXT) | instid1(VALU_DEP_3)
	v_mul_f64_e32 v[70:71], v[72:73], v[64:65]
	v_mul_f64_e32 v[62:63], v[62:63], v[64:65]
.LBB128_24:                             ;   in Loop: Header=BB128_4 Depth=1
	s_and_not1_saveexec_b32 s33, s7
	s_cbranch_execz .LBB128_26
; %bb.25:                               ;   in Loop: Header=BB128_4 Depth=1
	v_div_scale_f64 v[62:63], null, v[66:67], v[66:67], v[42:43]
	v_div_scale_f64 v[64:65], null, v[68:69], v[68:69], v[44:45]
	v_div_scale_f64 v[78:79], vcc_lo, v[42:43], v[66:67], v[42:43]
	s_delay_alu instid0(VALU_DEP_3) | instskip(NEXT) | instid1(VALU_DEP_2)
	v_rcp_f64_e32 v[70:71], v[62:63]
	v_rcp_f64_e32 v[72:73], v[64:65]
	s_delay_alu instid0(TRANS32_DEP_2) | instskip(NEXT) | instid1(TRANS32_DEP_1)
	v_fma_f64 v[74:75], -v[62:63], v[70:71], 1.0
	v_fma_f64 v[76:77], -v[64:65], v[72:73], 1.0
	s_delay_alu instid0(VALU_DEP_2) | instskip(NEXT) | instid1(VALU_DEP_2)
	v_fmac_f64_e32 v[70:71], v[70:71], v[74:75]
	v_fmac_f64_e32 v[72:73], v[72:73], v[76:77]
	s_delay_alu instid0(VALU_DEP_2) | instskip(NEXT) | instid1(VALU_DEP_2)
	v_fma_f64 v[74:75], -v[62:63], v[70:71], 1.0
	v_fma_f64 v[76:77], -v[64:65], v[72:73], 1.0
	s_delay_alu instid0(VALU_DEP_2) | instskip(SKIP_1) | instid1(VALU_DEP_3)
	v_fmac_f64_e32 v[70:71], v[70:71], v[74:75]
	v_div_scale_f64 v[74:75], s7, v[44:45], v[68:69], v[44:45]
	v_fmac_f64_e32 v[72:73], v[72:73], v[76:77]
	s_delay_alu instid0(VALU_DEP_3) | instskip(NEXT) | instid1(VALU_DEP_2)
	v_mul_f64_e32 v[76:77], v[78:79], v[70:71]
	v_mul_f64_e32 v[80:81], v[74:75], v[72:73]
	s_delay_alu instid0(VALU_DEP_2) | instskip(NEXT) | instid1(VALU_DEP_2)
	v_fma_f64 v[62:63], -v[62:63], v[76:77], v[78:79]
	v_fma_f64 v[64:65], -v[64:65], v[80:81], v[74:75]
	s_delay_alu instid0(VALU_DEP_2) | instskip(SKIP_1) | instid1(VALU_DEP_2)
	v_div_fmas_f64 v[62:63], v[62:63], v[70:71], v[76:77]
	s_mov_b32 vcc_lo, s7
	v_div_fmas_f64 v[64:65], v[64:65], v[72:73], v[80:81]
	s_delay_alu instid0(VALU_DEP_2) | instskip(NEXT) | instid1(VALU_DEP_2)
	v_div_fixup_f64 v[70:71], v[62:63], v[66:67], v[42:43]
	v_div_fixup_f64 v[62:63], v[64:65], v[68:69], v[44:45]
.LBB128_26:                             ;   in Loop: Header=BB128_4 Depth=1
	s_or_b32 exec_lo, exec_lo, s33
.LBB128_27:                             ;   in Loop: Header=BB128_4 Depth=1
	s_and_not1_saveexec_b32 s7, s31
	s_cbranch_execz .LBB128_29
; %bb.28:                               ;   in Loop: Header=BB128_4 Depth=1
	v_div_scale_f64 v[62:63], null, v[48:49], v[48:49], v[46:47]
	v_div_scale_f64 v[72:73], vcc_lo, v[46:47], v[48:49], v[46:47]
	s_delay_alu instid0(VALU_DEP_2) | instskip(SKIP_1) | instid1(TRANS32_DEP_1)
	v_rcp_f64_e32 v[64:65], v[62:63]
	v_nop
	v_fma_f64 v[70:71], -v[62:63], v[64:65], 1.0
	s_delay_alu instid0(VALU_DEP_1) | instskip(NEXT) | instid1(VALU_DEP_1)
	v_fmac_f64_e32 v[64:65], v[64:65], v[70:71]
	v_fma_f64 v[70:71], -v[62:63], v[64:65], 1.0
	s_delay_alu instid0(VALU_DEP_1) | instskip(NEXT) | instid1(VALU_DEP_1)
	v_fmac_f64_e32 v[64:65], v[64:65], v[70:71]
	v_mul_f64_e32 v[70:71], v[72:73], v[64:65]
	s_delay_alu instid0(VALU_DEP_1) | instskip(NEXT) | instid1(VALU_DEP_1)
	v_fma_f64 v[62:63], -v[62:63], v[70:71], v[72:73]
	v_div_fmas_f64 v[62:63], v[62:63], v[64:65], v[70:71]
	s_delay_alu instid0(VALU_DEP_1) | instskip(NEXT) | instid1(VALU_DEP_1)
	v_div_fixup_f64 v[62:63], v[62:63], v[48:49], v[46:47]
	v_fma_f64 v[64:65], v[46:47], v[62:63], v[48:49]
	s_delay_alu instid0(VALU_DEP_1) | instskip(SKIP_1) | instid1(VALU_DEP_2)
	v_div_scale_f64 v[70:71], null, v[64:65], v[64:65], 1.0
	v_div_scale_f64 v[76:77], vcc_lo, 1.0, v[64:65], 1.0
	v_rcp_f64_e32 v[72:73], v[70:71]
	v_nop
	s_delay_alu instid0(TRANS32_DEP_1) | instskip(NEXT) | instid1(VALU_DEP_1)
	v_fma_f64 v[74:75], -v[70:71], v[72:73], 1.0
	v_fmac_f64_e32 v[72:73], v[72:73], v[74:75]
	s_delay_alu instid0(VALU_DEP_1) | instskip(NEXT) | instid1(VALU_DEP_1)
	v_fma_f64 v[74:75], -v[70:71], v[72:73], 1.0
	v_fmac_f64_e32 v[72:73], v[72:73], v[74:75]
	s_delay_alu instid0(VALU_DEP_1) | instskip(NEXT) | instid1(VALU_DEP_1)
	v_mul_f64_e32 v[74:75], v[76:77], v[72:73]
	v_fma_f64 v[70:71], -v[70:71], v[74:75], v[76:77]
	s_delay_alu instid0(VALU_DEP_1) | instskip(SKIP_2) | instid1(VALU_DEP_3)
	v_div_fmas_f64 v[70:71], v[70:71], v[72:73], v[74:75]
	v_fma_f64 v[72:73], v[42:43], v[62:63], v[44:45]
	v_fma_f64 v[62:63], v[44:45], v[62:63], -v[42:43]
	v_div_fixup_f64 v[64:65], v[70:71], v[64:65], 1.0
	s_delay_alu instid0(VALU_DEP_1) | instskip(NEXT) | instid1(VALU_DEP_3)
	v_mul_f64_e32 v[70:71], v[72:73], v[64:65]
	v_mul_f64_e32 v[62:63], v[62:63], v[64:65]
.LBB128_29:                             ;   in Loop: Header=BB128_4 Depth=1
	s_or_b32 exec_lo, exec_lo, s7
	s_delay_alu instid0(VALU_DEP_1) | instskip(SKIP_2) | instid1(VALU_DEP_2)
	v_mul_f64_e32 v[64:65], s[10:11], v[62:63]
	v_mul_f64_e32 v[62:63], s[8:9], v[62:63]
	s_mov_b32 s7, 0
	v_fma_f64 v[64:65], s[8:9], v[70:71], -v[64:65]
	s_delay_alu instid0(VALU_DEP_2)
	v_fmac_f64_e32 v[62:63], s[10:11], v[70:71]
.LBB128_30:                             ;   in Loop: Header=BB128_4 Depth=1
	s_and_b32 vcc_lo, exec_lo, s7
	s_cbranch_vccz .LBB128_40
; %bb.31:                               ;   in Loop: Header=BB128_4 Depth=1
                                        ; implicit-def: $vgpr62_vgpr63
                                        ; implicit-def: $vgpr64_vgpr65
	s_and_saveexec_b32 s7, s6
	s_delay_alu instid0(SALU_CYCLE_1)
	s_xor_b32 s7, exec_lo, s7
	s_cbranch_execz .LBB128_37
; %bb.32:                               ;   in Loop: Header=BB128_4 Depth=1
	v_cmp_neq_f64_e32 vcc_lo, 0, v[46:47]
	v_cmp_neq_f64_e64 s6, 0, v[48:49]
                                        ; implicit-def: $vgpr62_vgpr63
                                        ; implicit-def: $vgpr64_vgpr65
	s_or_b32 s6, s6, vcc_lo
	s_delay_alu instid0(SALU_CYCLE_1) | instskip(NEXT) | instid1(SALU_CYCLE_1)
	s_and_saveexec_b32 s31, s6
	s_xor_b32 s6, exec_lo, s31
	s_cbranch_execz .LBB128_34
; %bb.33:                               ;   in Loop: Header=BB128_4 Depth=1
	v_div_scale_f64 v[62:63], null, v[46:47], v[46:47], v[48:49]
	v_div_scale_f64 v[68:69], vcc_lo, v[48:49], v[46:47], v[48:49]
	s_delay_alu instid0(VALU_DEP_2) | instskip(SKIP_1) | instid1(TRANS32_DEP_1)
	v_rcp_f64_e32 v[64:65], v[62:63]
	v_nop
	v_fma_f64 v[66:67], -v[62:63], v[64:65], 1.0
	s_delay_alu instid0(VALU_DEP_1) | instskip(NEXT) | instid1(VALU_DEP_1)
	v_fmac_f64_e32 v[64:65], v[64:65], v[66:67]
	v_fma_f64 v[66:67], -v[62:63], v[64:65], 1.0
	s_delay_alu instid0(VALU_DEP_1) | instskip(NEXT) | instid1(VALU_DEP_1)
	v_fmac_f64_e32 v[64:65], v[64:65], v[66:67]
	v_mul_f64_e32 v[66:67], v[68:69], v[64:65]
	s_delay_alu instid0(VALU_DEP_1) | instskip(NEXT) | instid1(VALU_DEP_1)
	v_fma_f64 v[62:63], -v[62:63], v[66:67], v[68:69]
	v_div_fmas_f64 v[62:63], v[62:63], v[64:65], v[66:67]
	s_delay_alu instid0(VALU_DEP_1) | instskip(NEXT) | instid1(VALU_DEP_1)
	v_div_fixup_f64 v[62:63], v[62:63], v[46:47], v[48:49]
	v_fmac_f64_e32 v[46:47], v[48:49], v[62:63]
	s_delay_alu instid0(VALU_DEP_1) | instskip(SKIP_1) | instid1(VALU_DEP_2)
	v_div_scale_f64 v[48:49], null, v[46:47], v[46:47], 1.0
	v_div_scale_f64 v[68:69], vcc_lo, 1.0, v[46:47], 1.0
	v_rcp_f64_e32 v[64:65], v[48:49]
	v_nop
	s_delay_alu instid0(TRANS32_DEP_1) | instskip(NEXT) | instid1(VALU_DEP_1)
	v_fma_f64 v[66:67], -v[48:49], v[64:65], 1.0
	v_fmac_f64_e32 v[64:65], v[64:65], v[66:67]
	s_delay_alu instid0(VALU_DEP_1) | instskip(NEXT) | instid1(VALU_DEP_1)
	v_fma_f64 v[66:67], -v[48:49], v[64:65], 1.0
	v_fmac_f64_e32 v[64:65], v[64:65], v[66:67]
	s_delay_alu instid0(VALU_DEP_1) | instskip(NEXT) | instid1(VALU_DEP_1)
	v_mul_f64_e32 v[66:67], v[68:69], v[64:65]
	v_fma_f64 v[48:49], -v[48:49], v[66:67], v[68:69]
                                        ; implicit-def: $vgpr68_vgpr69
	s_delay_alu instid0(VALU_DEP_1) | instskip(SKIP_2) | instid1(VALU_DEP_3)
	v_div_fmas_f64 v[48:49], v[48:49], v[64:65], v[66:67]
	v_fma_f64 v[64:65], v[44:45], v[62:63], v[42:43]
	v_fma_f64 v[42:43], -v[42:43], v[62:63], v[44:45]
                                        ; implicit-def: $vgpr66_vgpr67
	v_div_fixup_f64 v[46:47], v[48:49], v[46:47], 1.0
	s_delay_alu instid0(VALU_DEP_1) | instskip(NEXT) | instid1(VALU_DEP_3)
	v_mul_f64_e32 v[64:65], v[64:65], v[46:47]
	v_mul_f64_e32 v[62:63], v[42:43], v[46:47]
                                        ; implicit-def: $vgpr42_vgpr43
.LBB128_34:                             ;   in Loop: Header=BB128_4 Depth=1
	s_and_not1_saveexec_b32 s31, s6
	s_cbranch_execz .LBB128_36
; %bb.35:                               ;   in Loop: Header=BB128_4 Depth=1
	v_div_scale_f64 v[46:47], null, v[66:67], v[66:67], v[42:43]
	v_div_scale_f64 v[48:49], null, v[68:69], v[68:69], v[44:45]
	v_div_scale_f64 v[74:75], vcc_lo, v[42:43], v[66:67], v[42:43]
	s_delay_alu instid0(VALU_DEP_3) | instskip(NEXT) | instid1(VALU_DEP_2)
	v_rcp_f64_e32 v[62:63], v[46:47]
	v_rcp_f64_e32 v[64:65], v[48:49]
	s_delay_alu instid0(TRANS32_DEP_2) | instskip(NEXT) | instid1(TRANS32_DEP_1)
	v_fma_f64 v[70:71], -v[46:47], v[62:63], 1.0
	v_fma_f64 v[72:73], -v[48:49], v[64:65], 1.0
	s_delay_alu instid0(VALU_DEP_2) | instskip(NEXT) | instid1(VALU_DEP_2)
	v_fmac_f64_e32 v[62:63], v[62:63], v[70:71]
	v_fmac_f64_e32 v[64:65], v[64:65], v[72:73]
	s_delay_alu instid0(VALU_DEP_2) | instskip(NEXT) | instid1(VALU_DEP_2)
	v_fma_f64 v[70:71], -v[46:47], v[62:63], 1.0
	v_fma_f64 v[72:73], -v[48:49], v[64:65], 1.0
	s_delay_alu instid0(VALU_DEP_2) | instskip(SKIP_1) | instid1(VALU_DEP_3)
	v_fmac_f64_e32 v[62:63], v[62:63], v[70:71]
	v_div_scale_f64 v[70:71], s6, v[44:45], v[68:69], v[44:45]
	v_fmac_f64_e32 v[64:65], v[64:65], v[72:73]
	s_delay_alu instid0(VALU_DEP_3) | instskip(NEXT) | instid1(VALU_DEP_2)
	v_mul_f64_e32 v[72:73], v[74:75], v[62:63]
	v_mul_f64_e32 v[76:77], v[70:71], v[64:65]
	s_delay_alu instid0(VALU_DEP_2) | instskip(NEXT) | instid1(VALU_DEP_2)
	v_fma_f64 v[46:47], -v[46:47], v[72:73], v[74:75]
	v_fma_f64 v[48:49], -v[48:49], v[76:77], v[70:71]
	s_delay_alu instid0(VALU_DEP_2) | instskip(SKIP_1) | instid1(VALU_DEP_2)
	v_div_fmas_f64 v[46:47], v[46:47], v[62:63], v[72:73]
	s_mov_b32 vcc_lo, s6
	v_div_fmas_f64 v[48:49], v[48:49], v[64:65], v[76:77]
	s_delay_alu instid0(VALU_DEP_2) | instskip(NEXT) | instid1(VALU_DEP_2)
	v_div_fixup_f64 v[64:65], v[46:47], v[66:67], v[42:43]
	v_div_fixup_f64 v[62:63], v[48:49], v[68:69], v[44:45]
.LBB128_36:                             ;   in Loop: Header=BB128_4 Depth=1
	s_or_b32 exec_lo, exec_lo, s31
                                        ; implicit-def: $vgpr48_vgpr49
                                        ; implicit-def: $vgpr42_vgpr43
.LBB128_37:                             ;   in Loop: Header=BB128_4 Depth=1
	s_and_not1_saveexec_b32 s6, s7
	s_cbranch_execz .LBB128_39
; %bb.38:                               ;   in Loop: Header=BB128_4 Depth=1
	v_div_scale_f64 v[62:63], null, v[48:49], v[48:49], v[46:47]
	v_div_scale_f64 v[68:69], vcc_lo, v[46:47], v[48:49], v[46:47]
	s_delay_alu instid0(VALU_DEP_2) | instskip(SKIP_1) | instid1(TRANS32_DEP_1)
	v_rcp_f64_e32 v[64:65], v[62:63]
	v_nop
	v_fma_f64 v[66:67], -v[62:63], v[64:65], 1.0
	s_delay_alu instid0(VALU_DEP_1) | instskip(NEXT) | instid1(VALU_DEP_1)
	v_fmac_f64_e32 v[64:65], v[64:65], v[66:67]
	v_fma_f64 v[66:67], -v[62:63], v[64:65], 1.0
	s_delay_alu instid0(VALU_DEP_1) | instskip(NEXT) | instid1(VALU_DEP_1)
	v_fmac_f64_e32 v[64:65], v[64:65], v[66:67]
	v_mul_f64_e32 v[66:67], v[68:69], v[64:65]
	s_delay_alu instid0(VALU_DEP_1) | instskip(NEXT) | instid1(VALU_DEP_1)
	v_fma_f64 v[62:63], -v[62:63], v[66:67], v[68:69]
	v_div_fmas_f64 v[62:63], v[62:63], v[64:65], v[66:67]
	s_delay_alu instid0(VALU_DEP_1) | instskip(NEXT) | instid1(VALU_DEP_1)
	v_div_fixup_f64 v[62:63], v[62:63], v[48:49], v[46:47]
	v_fmac_f64_e32 v[48:49], v[46:47], v[62:63]
	s_delay_alu instid0(VALU_DEP_1) | instskip(SKIP_1) | instid1(VALU_DEP_2)
	v_div_scale_f64 v[46:47], null, v[48:49], v[48:49], 1.0
	v_div_scale_f64 v[68:69], vcc_lo, 1.0, v[48:49], 1.0
	v_rcp_f64_e32 v[64:65], v[46:47]
	v_nop
	s_delay_alu instid0(TRANS32_DEP_1) | instskip(NEXT) | instid1(VALU_DEP_1)
	v_fma_f64 v[66:67], -v[46:47], v[64:65], 1.0
	v_fmac_f64_e32 v[64:65], v[64:65], v[66:67]
	s_delay_alu instid0(VALU_DEP_1) | instskip(NEXT) | instid1(VALU_DEP_1)
	v_fma_f64 v[66:67], -v[46:47], v[64:65], 1.0
	v_fmac_f64_e32 v[64:65], v[64:65], v[66:67]
	s_delay_alu instid0(VALU_DEP_1) | instskip(NEXT) | instid1(VALU_DEP_1)
	v_mul_f64_e32 v[66:67], v[68:69], v[64:65]
	v_fma_f64 v[46:47], -v[46:47], v[66:67], v[68:69]
	s_delay_alu instid0(VALU_DEP_1) | instskip(SKIP_2) | instid1(VALU_DEP_3)
	v_div_fmas_f64 v[46:47], v[46:47], v[64:65], v[66:67]
	v_fma_f64 v[64:65], v[42:43], v[62:63], v[44:45]
	v_fma_f64 v[42:43], v[44:45], v[62:63], -v[42:43]
	v_div_fixup_f64 v[46:47], v[46:47], v[48:49], 1.0
	s_delay_alu instid0(VALU_DEP_1) | instskip(NEXT) | instid1(VALU_DEP_3)
	v_mul_f64_e32 v[64:65], v[64:65], v[46:47]
	v_mul_f64_e32 v[62:63], v[42:43], v[46:47]
.LBB128_39:                             ;   in Loop: Header=BB128_4 Depth=1
	s_or_b32 exec_lo, exec_lo, s6
.LBB128_40:                             ;   in Loop: Header=BB128_4 Depth=1
	v_cmp_gt_f64_e32 vcc_lo, 0, v[38:39]
	v_xor_b32_e32 v42, 0x80000000, v39
	v_mov_b32_e32 v46, v38
	v_xor_b32_e32 v43, 0x80000000, v41
	s_mov_b32 s7, -1
                                        ; implicit-def: $vgpr44_vgpr45
	s_delay_alu instid0(VALU_DEP_3) | instskip(SKIP_1) | instid1(VALU_DEP_3)
	v_dual_mov_b32 v48, v40 :: v_dual_cndmask_b32 v47, v39, v42
	v_cmp_gt_f64_e32 vcc_lo, 0, v[40:41]
	v_cndmask_b32_e32 v49, v41, v43, vcc_lo
	s_and_not1_b32 vcc_lo, exec_lo, s30
                                        ; implicit-def: $vgpr42_vgpr43
	s_delay_alu instid0(VALU_DEP_1)
	v_cmp_ge_f64_e64 s6, v[46:47], v[48:49]
	s_cbranch_vccnz .LBB128_50
; %bb.41:                               ;   in Loop: Header=BB128_4 Depth=1
                                        ; implicit-def: $vgpr42_vgpr43
                                        ; implicit-def: $vgpr66_vgpr67
	s_and_saveexec_b32 s7, s6
	s_delay_alu instid0(SALU_CYCLE_1)
	s_xor_b32 s31, exec_lo, s7
	s_cbranch_execz .LBB128_47
; %bb.42:                               ;   in Loop: Header=BB128_4 Depth=1
	v_cmp_neq_f64_e32 vcc_lo, 0, v[38:39]
	v_cmp_neq_f64_e64 s7, 0, v[40:41]
                                        ; implicit-def: $vgpr42_vgpr43
                                        ; implicit-def: $vgpr66_vgpr67
	s_or_b32 s7, s7, vcc_lo
	s_delay_alu instid0(SALU_CYCLE_1) | instskip(NEXT) | instid1(SALU_CYCLE_1)
	s_and_saveexec_b32 s33, s7
	s_xor_b32 s7, exec_lo, s33
	s_cbranch_execz .LBB128_44
; %bb.43:                               ;   in Loop: Header=BB128_4 Depth=1
	v_div_scale_f64 v[42:43], null, v[38:39], v[38:39], v[40:41]
	v_div_scale_f64 v[68:69], vcc_lo, v[40:41], v[38:39], v[40:41]
	s_delay_alu instid0(VALU_DEP_2) | instskip(SKIP_1) | instid1(TRANS32_DEP_1)
	v_rcp_f64_e32 v[44:45], v[42:43]
	v_nop
	v_fma_f64 v[66:67], -v[42:43], v[44:45], 1.0
	s_delay_alu instid0(VALU_DEP_1) | instskip(NEXT) | instid1(VALU_DEP_1)
	v_fmac_f64_e32 v[44:45], v[44:45], v[66:67]
	v_fma_f64 v[66:67], -v[42:43], v[44:45], 1.0
	s_delay_alu instid0(VALU_DEP_1) | instskip(NEXT) | instid1(VALU_DEP_1)
	v_fmac_f64_e32 v[44:45], v[44:45], v[66:67]
	v_mul_f64_e32 v[66:67], v[68:69], v[44:45]
	s_delay_alu instid0(VALU_DEP_1) | instskip(NEXT) | instid1(VALU_DEP_1)
	v_fma_f64 v[42:43], -v[42:43], v[66:67], v[68:69]
	v_div_fmas_f64 v[42:43], v[42:43], v[44:45], v[66:67]
	s_delay_alu instid0(VALU_DEP_1) | instskip(NEXT) | instid1(VALU_DEP_1)
	v_div_fixup_f64 v[42:43], v[42:43], v[38:39], v[40:41]
	v_fma_f64 v[44:45], v[40:41], v[42:43], v[38:39]
	s_delay_alu instid0(VALU_DEP_1) | instskip(SKIP_1) | instid1(VALU_DEP_2)
	v_div_scale_f64 v[66:67], null, v[44:45], v[44:45], 1.0
	v_div_scale_f64 v[72:73], vcc_lo, 1.0, v[44:45], 1.0
	v_rcp_f64_e32 v[68:69], v[66:67]
	v_nop
	s_delay_alu instid0(TRANS32_DEP_1) | instskip(NEXT) | instid1(VALU_DEP_1)
	v_fma_f64 v[70:71], -v[66:67], v[68:69], 1.0
	v_fmac_f64_e32 v[68:69], v[68:69], v[70:71]
	s_delay_alu instid0(VALU_DEP_1) | instskip(NEXT) | instid1(VALU_DEP_1)
	v_fma_f64 v[70:71], -v[66:67], v[68:69], 1.0
	v_fmac_f64_e32 v[68:69], v[68:69], v[70:71]
	s_delay_alu instid0(VALU_DEP_1) | instskip(NEXT) | instid1(VALU_DEP_1)
	v_mul_f64_e32 v[70:71], v[72:73], v[68:69]
	v_fma_f64 v[66:67], -v[66:67], v[70:71], v[72:73]
	s_delay_alu instid0(VALU_DEP_1) | instskip(SKIP_2) | instid1(VALU_DEP_3)
	v_div_fmas_f64 v[66:67], v[66:67], v[68:69], v[70:71]
	v_fma_f64 v[68:69], v[36:37], v[42:43], v[34:35]
	v_fma_f64 v[42:43], -v[34:35], v[42:43], v[36:37]
	v_div_fixup_f64 v[44:45], v[66:67], v[44:45], 1.0
	s_delay_alu instid0(VALU_DEP_1) | instskip(NEXT) | instid1(VALU_DEP_3)
	v_mul_f64_e32 v[66:67], v[68:69], v[44:45]
	v_mul_f64_e32 v[42:43], v[42:43], v[44:45]
.LBB128_44:                             ;   in Loop: Header=BB128_4 Depth=1
	s_and_not1_saveexec_b32 s33, s7
	s_cbranch_execz .LBB128_46
; %bb.45:                               ;   in Loop: Header=BB128_4 Depth=1
	v_div_scale_f64 v[42:43], null, v[46:47], v[46:47], v[34:35]
	v_div_scale_f64 v[44:45], null, v[48:49], v[48:49], v[36:37]
	v_div_scale_f64 v[74:75], vcc_lo, v[34:35], v[46:47], v[34:35]
	s_delay_alu instid0(VALU_DEP_3) | instskip(NEXT) | instid1(VALU_DEP_2)
	v_rcp_f64_e32 v[66:67], v[42:43]
	v_rcp_f64_e32 v[68:69], v[44:45]
	s_delay_alu instid0(TRANS32_DEP_2) | instskip(NEXT) | instid1(TRANS32_DEP_1)
	v_fma_f64 v[70:71], -v[42:43], v[66:67], 1.0
	v_fma_f64 v[72:73], -v[44:45], v[68:69], 1.0
	s_delay_alu instid0(VALU_DEP_2) | instskip(NEXT) | instid1(VALU_DEP_2)
	v_fmac_f64_e32 v[66:67], v[66:67], v[70:71]
	v_fmac_f64_e32 v[68:69], v[68:69], v[72:73]
	s_delay_alu instid0(VALU_DEP_2) | instskip(NEXT) | instid1(VALU_DEP_2)
	v_fma_f64 v[70:71], -v[42:43], v[66:67], 1.0
	v_fma_f64 v[72:73], -v[44:45], v[68:69], 1.0
	s_delay_alu instid0(VALU_DEP_2) | instskip(SKIP_1) | instid1(VALU_DEP_3)
	v_fmac_f64_e32 v[66:67], v[66:67], v[70:71]
	v_div_scale_f64 v[70:71], s7, v[36:37], v[48:49], v[36:37]
	v_fmac_f64_e32 v[68:69], v[68:69], v[72:73]
	s_delay_alu instid0(VALU_DEP_3) | instskip(NEXT) | instid1(VALU_DEP_2)
	v_mul_f64_e32 v[72:73], v[74:75], v[66:67]
	v_mul_f64_e32 v[76:77], v[70:71], v[68:69]
	s_delay_alu instid0(VALU_DEP_2) | instskip(NEXT) | instid1(VALU_DEP_2)
	v_fma_f64 v[42:43], -v[42:43], v[72:73], v[74:75]
	v_fma_f64 v[44:45], -v[44:45], v[76:77], v[70:71]
	s_delay_alu instid0(VALU_DEP_2) | instskip(SKIP_1) | instid1(VALU_DEP_2)
	v_div_fmas_f64 v[42:43], v[42:43], v[66:67], v[72:73]
	s_mov_b32 vcc_lo, s7
	v_div_fmas_f64 v[44:45], v[44:45], v[68:69], v[76:77]
	s_delay_alu instid0(VALU_DEP_2) | instskip(NEXT) | instid1(VALU_DEP_2)
	v_div_fixup_f64 v[66:67], v[42:43], v[46:47], v[34:35]
	v_div_fixup_f64 v[42:43], v[44:45], v[48:49], v[36:37]
.LBB128_46:                             ;   in Loop: Header=BB128_4 Depth=1
	s_or_b32 exec_lo, exec_lo, s33
.LBB128_47:                             ;   in Loop: Header=BB128_4 Depth=1
	s_and_not1_saveexec_b32 s7, s31
	s_cbranch_execz .LBB128_49
; %bb.48:                               ;   in Loop: Header=BB128_4 Depth=1
	v_div_scale_f64 v[42:43], null, v[40:41], v[40:41], v[38:39]
	v_div_scale_f64 v[68:69], vcc_lo, v[38:39], v[40:41], v[38:39]
	s_delay_alu instid0(VALU_DEP_2) | instskip(SKIP_1) | instid1(TRANS32_DEP_1)
	v_rcp_f64_e32 v[44:45], v[42:43]
	v_nop
	v_fma_f64 v[66:67], -v[42:43], v[44:45], 1.0
	s_delay_alu instid0(VALU_DEP_1) | instskip(NEXT) | instid1(VALU_DEP_1)
	v_fmac_f64_e32 v[44:45], v[44:45], v[66:67]
	v_fma_f64 v[66:67], -v[42:43], v[44:45], 1.0
	s_delay_alu instid0(VALU_DEP_1) | instskip(NEXT) | instid1(VALU_DEP_1)
	v_fmac_f64_e32 v[44:45], v[44:45], v[66:67]
	v_mul_f64_e32 v[66:67], v[68:69], v[44:45]
	s_delay_alu instid0(VALU_DEP_1) | instskip(NEXT) | instid1(VALU_DEP_1)
	v_fma_f64 v[42:43], -v[42:43], v[66:67], v[68:69]
	v_div_fmas_f64 v[42:43], v[42:43], v[44:45], v[66:67]
	s_delay_alu instid0(VALU_DEP_1) | instskip(NEXT) | instid1(VALU_DEP_1)
	v_div_fixup_f64 v[42:43], v[42:43], v[40:41], v[38:39]
	v_fma_f64 v[44:45], v[38:39], v[42:43], v[40:41]
	s_delay_alu instid0(VALU_DEP_1) | instskip(SKIP_1) | instid1(VALU_DEP_2)
	v_div_scale_f64 v[66:67], null, v[44:45], v[44:45], 1.0
	v_div_scale_f64 v[72:73], vcc_lo, 1.0, v[44:45], 1.0
	v_rcp_f64_e32 v[68:69], v[66:67]
	v_nop
	s_delay_alu instid0(TRANS32_DEP_1) | instskip(NEXT) | instid1(VALU_DEP_1)
	v_fma_f64 v[70:71], -v[66:67], v[68:69], 1.0
	v_fmac_f64_e32 v[68:69], v[68:69], v[70:71]
	s_delay_alu instid0(VALU_DEP_1) | instskip(NEXT) | instid1(VALU_DEP_1)
	v_fma_f64 v[70:71], -v[66:67], v[68:69], 1.0
	v_fmac_f64_e32 v[68:69], v[68:69], v[70:71]
	s_delay_alu instid0(VALU_DEP_1) | instskip(NEXT) | instid1(VALU_DEP_1)
	v_mul_f64_e32 v[70:71], v[72:73], v[68:69]
	v_fma_f64 v[66:67], -v[66:67], v[70:71], v[72:73]
	s_delay_alu instid0(VALU_DEP_1) | instskip(SKIP_2) | instid1(VALU_DEP_3)
	v_div_fmas_f64 v[66:67], v[66:67], v[68:69], v[70:71]
	v_fma_f64 v[68:69], v[34:35], v[42:43], v[36:37]
	v_fma_f64 v[42:43], v[36:37], v[42:43], -v[34:35]
	v_div_fixup_f64 v[44:45], v[66:67], v[44:45], 1.0
	s_delay_alu instid0(VALU_DEP_1) | instskip(NEXT) | instid1(VALU_DEP_3)
	v_mul_f64_e32 v[66:67], v[68:69], v[44:45]
	v_mul_f64_e32 v[42:43], v[42:43], v[44:45]
.LBB128_49:                             ;   in Loop: Header=BB128_4 Depth=1
	s_or_b32 exec_lo, exec_lo, s7
	s_delay_alu instid0(VALU_DEP_1) | instskip(SKIP_2) | instid1(VALU_DEP_2)
	v_mul_f64_e32 v[44:45], s[10:11], v[42:43]
	v_mul_f64_e32 v[42:43], s[8:9], v[42:43]
	s_mov_b32 s7, 0
	v_fma_f64 v[44:45], s[8:9], v[66:67], -v[44:45]
	s_delay_alu instid0(VALU_DEP_2)
	v_fmac_f64_e32 v[42:43], s[10:11], v[66:67]
.LBB128_50:                             ;   in Loop: Header=BB128_4 Depth=1
	s_and_b32 vcc_lo, exec_lo, s7
	s_cbranch_vccz .LBB128_60
; %bb.51:                               ;   in Loop: Header=BB128_4 Depth=1
                                        ; implicit-def: $vgpr42_vgpr43
                                        ; implicit-def: $vgpr44_vgpr45
	s_and_saveexec_b32 s7, s6
	s_delay_alu instid0(SALU_CYCLE_1)
	s_xor_b32 s7, exec_lo, s7
	s_cbranch_execz .LBB128_57
; %bb.52:                               ;   in Loop: Header=BB128_4 Depth=1
	v_cmp_neq_f64_e32 vcc_lo, 0, v[38:39]
	v_cmp_neq_f64_e64 s6, 0, v[40:41]
                                        ; implicit-def: $vgpr42_vgpr43
                                        ; implicit-def: $vgpr44_vgpr45
	s_or_b32 s6, s6, vcc_lo
	s_delay_alu instid0(SALU_CYCLE_1) | instskip(NEXT) | instid1(SALU_CYCLE_1)
	s_and_saveexec_b32 s31, s6
	s_xor_b32 s6, exec_lo, s31
	s_cbranch_execz .LBB128_54
; %bb.53:                               ;   in Loop: Header=BB128_4 Depth=1
	v_div_scale_f64 v[42:43], null, v[38:39], v[38:39], v[40:41]
	v_div_scale_f64 v[48:49], vcc_lo, v[40:41], v[38:39], v[40:41]
	s_delay_alu instid0(VALU_DEP_2) | instskip(SKIP_1) | instid1(TRANS32_DEP_1)
	v_rcp_f64_e32 v[44:45], v[42:43]
	v_nop
	v_fma_f64 v[46:47], -v[42:43], v[44:45], 1.0
	s_delay_alu instid0(VALU_DEP_1) | instskip(NEXT) | instid1(VALU_DEP_1)
	v_fmac_f64_e32 v[44:45], v[44:45], v[46:47]
	v_fma_f64 v[46:47], -v[42:43], v[44:45], 1.0
	s_delay_alu instid0(VALU_DEP_1) | instskip(NEXT) | instid1(VALU_DEP_1)
	v_fmac_f64_e32 v[44:45], v[44:45], v[46:47]
	v_mul_f64_e32 v[46:47], v[48:49], v[44:45]
	s_delay_alu instid0(VALU_DEP_1) | instskip(NEXT) | instid1(VALU_DEP_1)
	v_fma_f64 v[42:43], -v[42:43], v[46:47], v[48:49]
	v_div_fmas_f64 v[42:43], v[42:43], v[44:45], v[46:47]
	s_delay_alu instid0(VALU_DEP_1) | instskip(NEXT) | instid1(VALU_DEP_1)
	v_div_fixup_f64 v[42:43], v[42:43], v[38:39], v[40:41]
	v_fmac_f64_e32 v[38:39], v[40:41], v[42:43]
	s_delay_alu instid0(VALU_DEP_1) | instskip(SKIP_1) | instid1(VALU_DEP_2)
	v_div_scale_f64 v[40:41], null, v[38:39], v[38:39], 1.0
	v_div_scale_f64 v[48:49], vcc_lo, 1.0, v[38:39], 1.0
	v_rcp_f64_e32 v[44:45], v[40:41]
	v_nop
	s_delay_alu instid0(TRANS32_DEP_1) | instskip(NEXT) | instid1(VALU_DEP_1)
	v_fma_f64 v[46:47], -v[40:41], v[44:45], 1.0
	v_fmac_f64_e32 v[44:45], v[44:45], v[46:47]
	s_delay_alu instid0(VALU_DEP_1) | instskip(NEXT) | instid1(VALU_DEP_1)
	v_fma_f64 v[46:47], -v[40:41], v[44:45], 1.0
	v_fmac_f64_e32 v[44:45], v[44:45], v[46:47]
	s_delay_alu instid0(VALU_DEP_1) | instskip(NEXT) | instid1(VALU_DEP_1)
	v_mul_f64_e32 v[46:47], v[48:49], v[44:45]
	v_fma_f64 v[40:41], -v[40:41], v[46:47], v[48:49]
                                        ; implicit-def: $vgpr48_vgpr49
	s_delay_alu instid0(VALU_DEP_1) | instskip(SKIP_2) | instid1(VALU_DEP_3)
	v_div_fmas_f64 v[40:41], v[40:41], v[44:45], v[46:47]
	v_fma_f64 v[44:45], v[36:37], v[42:43], v[34:35]
	v_fma_f64 v[34:35], -v[34:35], v[42:43], v[36:37]
                                        ; implicit-def: $vgpr46_vgpr47
	v_div_fixup_f64 v[38:39], v[40:41], v[38:39], 1.0
	s_delay_alu instid0(VALU_DEP_1) | instskip(NEXT) | instid1(VALU_DEP_3)
	v_mul_f64_e32 v[44:45], v[44:45], v[38:39]
	v_mul_f64_e32 v[42:43], v[34:35], v[38:39]
                                        ; implicit-def: $vgpr34_vgpr35
.LBB128_54:                             ;   in Loop: Header=BB128_4 Depth=1
	s_and_not1_saveexec_b32 s31, s6
	s_cbranch_execz .LBB128_56
; %bb.55:                               ;   in Loop: Header=BB128_4 Depth=1
	v_div_scale_f64 v[38:39], null, v[46:47], v[46:47], v[34:35]
	v_div_scale_f64 v[40:41], null, v[48:49], v[48:49], v[36:37]
	v_div_scale_f64 v[70:71], vcc_lo, v[34:35], v[46:47], v[34:35]
	s_delay_alu instid0(VALU_DEP_3) | instskip(NEXT) | instid1(VALU_DEP_2)
	v_rcp_f64_e32 v[42:43], v[38:39]
	v_rcp_f64_e32 v[44:45], v[40:41]
	s_delay_alu instid0(TRANS32_DEP_2) | instskip(NEXT) | instid1(TRANS32_DEP_1)
	v_fma_f64 v[66:67], -v[38:39], v[42:43], 1.0
	v_fma_f64 v[68:69], -v[40:41], v[44:45], 1.0
	s_delay_alu instid0(VALU_DEP_2) | instskip(NEXT) | instid1(VALU_DEP_2)
	v_fmac_f64_e32 v[42:43], v[42:43], v[66:67]
	v_fmac_f64_e32 v[44:45], v[44:45], v[68:69]
	s_delay_alu instid0(VALU_DEP_2) | instskip(NEXT) | instid1(VALU_DEP_2)
	v_fma_f64 v[66:67], -v[38:39], v[42:43], 1.0
	v_fma_f64 v[68:69], -v[40:41], v[44:45], 1.0
	s_delay_alu instid0(VALU_DEP_2) | instskip(SKIP_1) | instid1(VALU_DEP_3)
	v_fmac_f64_e32 v[42:43], v[42:43], v[66:67]
	v_div_scale_f64 v[66:67], s6, v[36:37], v[48:49], v[36:37]
	v_fmac_f64_e32 v[44:45], v[44:45], v[68:69]
	s_delay_alu instid0(VALU_DEP_3) | instskip(NEXT) | instid1(VALU_DEP_2)
	v_mul_f64_e32 v[68:69], v[70:71], v[42:43]
	v_mul_f64_e32 v[72:73], v[66:67], v[44:45]
	s_delay_alu instid0(VALU_DEP_2) | instskip(NEXT) | instid1(VALU_DEP_2)
	v_fma_f64 v[38:39], -v[38:39], v[68:69], v[70:71]
	v_fma_f64 v[40:41], -v[40:41], v[72:73], v[66:67]
	s_delay_alu instid0(VALU_DEP_2) | instskip(SKIP_1) | instid1(VALU_DEP_2)
	v_div_fmas_f64 v[38:39], v[38:39], v[42:43], v[68:69]
	s_mov_b32 vcc_lo, s6
	v_div_fmas_f64 v[40:41], v[40:41], v[44:45], v[72:73]
	s_delay_alu instid0(VALU_DEP_2) | instskip(NEXT) | instid1(VALU_DEP_2)
	v_div_fixup_f64 v[44:45], v[38:39], v[46:47], v[34:35]
	v_div_fixup_f64 v[42:43], v[40:41], v[48:49], v[36:37]
.LBB128_56:                             ;   in Loop: Header=BB128_4 Depth=1
	s_or_b32 exec_lo, exec_lo, s31
                                        ; implicit-def: $vgpr40_vgpr41
                                        ; implicit-def: $vgpr34_vgpr35
.LBB128_57:                             ;   in Loop: Header=BB128_4 Depth=1
	s_and_not1_saveexec_b32 s6, s7
	s_cbranch_execz .LBB128_59
; %bb.58:                               ;   in Loop: Header=BB128_4 Depth=1
	v_div_scale_f64 v[42:43], null, v[40:41], v[40:41], v[38:39]
	v_div_scale_f64 v[48:49], vcc_lo, v[38:39], v[40:41], v[38:39]
	s_delay_alu instid0(VALU_DEP_2) | instskip(SKIP_1) | instid1(TRANS32_DEP_1)
	v_rcp_f64_e32 v[44:45], v[42:43]
	v_nop
	v_fma_f64 v[46:47], -v[42:43], v[44:45], 1.0
	s_delay_alu instid0(VALU_DEP_1) | instskip(NEXT) | instid1(VALU_DEP_1)
	v_fmac_f64_e32 v[44:45], v[44:45], v[46:47]
	v_fma_f64 v[46:47], -v[42:43], v[44:45], 1.0
	s_delay_alu instid0(VALU_DEP_1) | instskip(NEXT) | instid1(VALU_DEP_1)
	v_fmac_f64_e32 v[44:45], v[44:45], v[46:47]
	v_mul_f64_e32 v[46:47], v[48:49], v[44:45]
	s_delay_alu instid0(VALU_DEP_1) | instskip(NEXT) | instid1(VALU_DEP_1)
	v_fma_f64 v[42:43], -v[42:43], v[46:47], v[48:49]
	v_div_fmas_f64 v[42:43], v[42:43], v[44:45], v[46:47]
	s_delay_alu instid0(VALU_DEP_1) | instskip(NEXT) | instid1(VALU_DEP_1)
	v_div_fixup_f64 v[42:43], v[42:43], v[40:41], v[38:39]
	v_fmac_f64_e32 v[40:41], v[38:39], v[42:43]
	s_delay_alu instid0(VALU_DEP_1) | instskip(SKIP_1) | instid1(VALU_DEP_2)
	v_div_scale_f64 v[38:39], null, v[40:41], v[40:41], 1.0
	v_div_scale_f64 v[48:49], vcc_lo, 1.0, v[40:41], 1.0
	v_rcp_f64_e32 v[44:45], v[38:39]
	v_nop
	s_delay_alu instid0(TRANS32_DEP_1) | instskip(NEXT) | instid1(VALU_DEP_1)
	v_fma_f64 v[46:47], -v[38:39], v[44:45], 1.0
	v_fmac_f64_e32 v[44:45], v[44:45], v[46:47]
	s_delay_alu instid0(VALU_DEP_1) | instskip(NEXT) | instid1(VALU_DEP_1)
	v_fma_f64 v[46:47], -v[38:39], v[44:45], 1.0
	v_fmac_f64_e32 v[44:45], v[44:45], v[46:47]
	s_delay_alu instid0(VALU_DEP_1) | instskip(NEXT) | instid1(VALU_DEP_1)
	v_mul_f64_e32 v[46:47], v[48:49], v[44:45]
	v_fma_f64 v[38:39], -v[38:39], v[46:47], v[48:49]
	s_delay_alu instid0(VALU_DEP_1) | instskip(SKIP_2) | instid1(VALU_DEP_3)
	v_div_fmas_f64 v[38:39], v[38:39], v[44:45], v[46:47]
	v_fma_f64 v[44:45], v[34:35], v[42:43], v[36:37]
	v_fma_f64 v[34:35], v[36:37], v[42:43], -v[34:35]
	v_div_fixup_f64 v[38:39], v[38:39], v[40:41], 1.0
	s_delay_alu instid0(VALU_DEP_1) | instskip(NEXT) | instid1(VALU_DEP_3)
	v_mul_f64_e32 v[44:45], v[44:45], v[38:39]
	v_mul_f64_e32 v[42:43], v[34:35], v[38:39]
.LBB128_59:                             ;   in Loop: Header=BB128_4 Depth=1
	s_or_b32 exec_lo, exec_lo, s6
.LBB128_60:                             ;   in Loop: Header=BB128_4 Depth=1
	v_cmp_gt_f64_e32 vcc_lo, 0, v[30:31]
	v_xor_b32_e32 v34, 0x80000000, v31
	v_mov_b32_e32 v38, v30
	v_xor_b32_e32 v35, 0x80000000, v33
	s_mov_b32 s7, -1
                                        ; implicit-def: $vgpr36_vgpr37
	s_delay_alu instid0(VALU_DEP_3) | instskip(SKIP_1) | instid1(VALU_DEP_3)
	v_dual_mov_b32 v40, v32 :: v_dual_cndmask_b32 v39, v31, v34
	v_cmp_gt_f64_e32 vcc_lo, 0, v[32:33]
	v_cndmask_b32_e32 v41, v33, v35, vcc_lo
	s_and_not1_b32 vcc_lo, exec_lo, s30
                                        ; implicit-def: $vgpr34_vgpr35
	s_delay_alu instid0(VALU_DEP_1)
	v_cmp_ge_f64_e64 s6, v[38:39], v[40:41]
	s_cbranch_vccnz .LBB128_70
; %bb.61:                               ;   in Loop: Header=BB128_4 Depth=1
                                        ; implicit-def: $vgpr34_vgpr35
                                        ; implicit-def: $vgpr46_vgpr47
	s_and_saveexec_b32 s7, s6
	s_delay_alu instid0(SALU_CYCLE_1)
	s_xor_b32 s31, exec_lo, s7
	s_cbranch_execz .LBB128_67
; %bb.62:                               ;   in Loop: Header=BB128_4 Depth=1
	v_cmp_neq_f64_e32 vcc_lo, 0, v[30:31]
	v_cmp_neq_f64_e64 s7, 0, v[32:33]
                                        ; implicit-def: $vgpr34_vgpr35
                                        ; implicit-def: $vgpr46_vgpr47
	s_or_b32 s7, s7, vcc_lo
	s_delay_alu instid0(SALU_CYCLE_1) | instskip(NEXT) | instid1(SALU_CYCLE_1)
	s_and_saveexec_b32 s33, s7
	s_xor_b32 s7, exec_lo, s33
	s_cbranch_execz .LBB128_64
; %bb.63:                               ;   in Loop: Header=BB128_4 Depth=1
	v_div_scale_f64 v[34:35], null, v[30:31], v[30:31], v[32:33]
	v_div_scale_f64 v[48:49], vcc_lo, v[32:33], v[30:31], v[32:33]
	s_delay_alu instid0(VALU_DEP_2) | instskip(SKIP_1) | instid1(TRANS32_DEP_1)
	v_rcp_f64_e32 v[36:37], v[34:35]
	v_nop
	v_fma_f64 v[46:47], -v[34:35], v[36:37], 1.0
	s_delay_alu instid0(VALU_DEP_1) | instskip(NEXT) | instid1(VALU_DEP_1)
	v_fmac_f64_e32 v[36:37], v[36:37], v[46:47]
	v_fma_f64 v[46:47], -v[34:35], v[36:37], 1.0
	s_delay_alu instid0(VALU_DEP_1) | instskip(NEXT) | instid1(VALU_DEP_1)
	v_fmac_f64_e32 v[36:37], v[36:37], v[46:47]
	v_mul_f64_e32 v[46:47], v[48:49], v[36:37]
	s_delay_alu instid0(VALU_DEP_1) | instskip(NEXT) | instid1(VALU_DEP_1)
	v_fma_f64 v[34:35], -v[34:35], v[46:47], v[48:49]
	v_div_fmas_f64 v[34:35], v[34:35], v[36:37], v[46:47]
	s_delay_alu instid0(VALU_DEP_1) | instskip(NEXT) | instid1(VALU_DEP_1)
	v_div_fixup_f64 v[34:35], v[34:35], v[30:31], v[32:33]
	v_fma_f64 v[36:37], v[32:33], v[34:35], v[30:31]
	s_delay_alu instid0(VALU_DEP_1) | instskip(SKIP_1) | instid1(VALU_DEP_2)
	v_div_scale_f64 v[46:47], null, v[36:37], v[36:37], 1.0
	v_div_scale_f64 v[68:69], vcc_lo, 1.0, v[36:37], 1.0
	v_rcp_f64_e32 v[48:49], v[46:47]
	v_nop
	s_delay_alu instid0(TRANS32_DEP_1) | instskip(NEXT) | instid1(VALU_DEP_1)
	v_fma_f64 v[66:67], -v[46:47], v[48:49], 1.0
	v_fmac_f64_e32 v[48:49], v[48:49], v[66:67]
	s_delay_alu instid0(VALU_DEP_1) | instskip(NEXT) | instid1(VALU_DEP_1)
	v_fma_f64 v[66:67], -v[46:47], v[48:49], 1.0
	v_fmac_f64_e32 v[48:49], v[48:49], v[66:67]
	s_delay_alu instid0(VALU_DEP_1) | instskip(NEXT) | instid1(VALU_DEP_1)
	v_mul_f64_e32 v[66:67], v[68:69], v[48:49]
	v_fma_f64 v[46:47], -v[46:47], v[66:67], v[68:69]
	s_delay_alu instid0(VALU_DEP_1) | instskip(SKIP_2) | instid1(VALU_DEP_3)
	v_div_fmas_f64 v[46:47], v[46:47], v[48:49], v[66:67]
	v_fma_f64 v[48:49], v[28:29], v[34:35], v[26:27]
	v_fma_f64 v[34:35], -v[26:27], v[34:35], v[28:29]
	v_div_fixup_f64 v[36:37], v[46:47], v[36:37], 1.0
	s_delay_alu instid0(VALU_DEP_1) | instskip(NEXT) | instid1(VALU_DEP_3)
	v_mul_f64_e32 v[46:47], v[48:49], v[36:37]
	v_mul_f64_e32 v[34:35], v[34:35], v[36:37]
.LBB128_64:                             ;   in Loop: Header=BB128_4 Depth=1
	s_and_not1_saveexec_b32 s33, s7
	s_cbranch_execz .LBB128_66
; %bb.65:                               ;   in Loop: Header=BB128_4 Depth=1
	v_div_scale_f64 v[34:35], null, v[38:39], v[38:39], v[26:27]
	v_div_scale_f64 v[36:37], null, v[40:41], v[40:41], v[28:29]
	v_div_scale_f64 v[70:71], vcc_lo, v[26:27], v[38:39], v[26:27]
	s_delay_alu instid0(VALU_DEP_3) | instskip(NEXT) | instid1(VALU_DEP_2)
	v_rcp_f64_e32 v[46:47], v[34:35]
	v_rcp_f64_e32 v[48:49], v[36:37]
	s_delay_alu instid0(TRANS32_DEP_2) | instskip(NEXT) | instid1(TRANS32_DEP_1)
	v_fma_f64 v[66:67], -v[34:35], v[46:47], 1.0
	v_fma_f64 v[68:69], -v[36:37], v[48:49], 1.0
	s_delay_alu instid0(VALU_DEP_2) | instskip(NEXT) | instid1(VALU_DEP_2)
	v_fmac_f64_e32 v[46:47], v[46:47], v[66:67]
	v_fmac_f64_e32 v[48:49], v[48:49], v[68:69]
	s_delay_alu instid0(VALU_DEP_2) | instskip(NEXT) | instid1(VALU_DEP_2)
	v_fma_f64 v[66:67], -v[34:35], v[46:47], 1.0
	v_fma_f64 v[68:69], -v[36:37], v[48:49], 1.0
	s_delay_alu instid0(VALU_DEP_2) | instskip(SKIP_1) | instid1(VALU_DEP_3)
	v_fmac_f64_e32 v[46:47], v[46:47], v[66:67]
	v_div_scale_f64 v[66:67], s7, v[28:29], v[40:41], v[28:29]
	v_fmac_f64_e32 v[48:49], v[48:49], v[68:69]
	s_delay_alu instid0(VALU_DEP_3) | instskip(NEXT) | instid1(VALU_DEP_2)
	v_mul_f64_e32 v[68:69], v[70:71], v[46:47]
	v_mul_f64_e32 v[72:73], v[66:67], v[48:49]
	s_delay_alu instid0(VALU_DEP_2) | instskip(NEXT) | instid1(VALU_DEP_2)
	v_fma_f64 v[34:35], -v[34:35], v[68:69], v[70:71]
	v_fma_f64 v[36:37], -v[36:37], v[72:73], v[66:67]
	s_delay_alu instid0(VALU_DEP_2) | instskip(SKIP_1) | instid1(VALU_DEP_2)
	v_div_fmas_f64 v[34:35], v[34:35], v[46:47], v[68:69]
	s_mov_b32 vcc_lo, s7
	v_div_fmas_f64 v[36:37], v[36:37], v[48:49], v[72:73]
	s_delay_alu instid0(VALU_DEP_2) | instskip(NEXT) | instid1(VALU_DEP_2)
	v_div_fixup_f64 v[46:47], v[34:35], v[38:39], v[26:27]
	v_div_fixup_f64 v[34:35], v[36:37], v[40:41], v[28:29]
.LBB128_66:                             ;   in Loop: Header=BB128_4 Depth=1
	s_or_b32 exec_lo, exec_lo, s33
.LBB128_67:                             ;   in Loop: Header=BB128_4 Depth=1
	s_and_not1_saveexec_b32 s7, s31
	s_cbranch_execz .LBB128_69
; %bb.68:                               ;   in Loop: Header=BB128_4 Depth=1
	v_div_scale_f64 v[34:35], null, v[32:33], v[32:33], v[30:31]
	v_div_scale_f64 v[48:49], vcc_lo, v[30:31], v[32:33], v[30:31]
	s_delay_alu instid0(VALU_DEP_2) | instskip(SKIP_1) | instid1(TRANS32_DEP_1)
	v_rcp_f64_e32 v[36:37], v[34:35]
	v_nop
	v_fma_f64 v[46:47], -v[34:35], v[36:37], 1.0
	s_delay_alu instid0(VALU_DEP_1) | instskip(NEXT) | instid1(VALU_DEP_1)
	v_fmac_f64_e32 v[36:37], v[36:37], v[46:47]
	v_fma_f64 v[46:47], -v[34:35], v[36:37], 1.0
	s_delay_alu instid0(VALU_DEP_1) | instskip(NEXT) | instid1(VALU_DEP_1)
	v_fmac_f64_e32 v[36:37], v[36:37], v[46:47]
	v_mul_f64_e32 v[46:47], v[48:49], v[36:37]
	s_delay_alu instid0(VALU_DEP_1) | instskip(NEXT) | instid1(VALU_DEP_1)
	v_fma_f64 v[34:35], -v[34:35], v[46:47], v[48:49]
	v_div_fmas_f64 v[34:35], v[34:35], v[36:37], v[46:47]
	s_delay_alu instid0(VALU_DEP_1) | instskip(NEXT) | instid1(VALU_DEP_1)
	v_div_fixup_f64 v[34:35], v[34:35], v[32:33], v[30:31]
	v_fma_f64 v[36:37], v[30:31], v[34:35], v[32:33]
	s_delay_alu instid0(VALU_DEP_1) | instskip(SKIP_1) | instid1(VALU_DEP_2)
	v_div_scale_f64 v[46:47], null, v[36:37], v[36:37], 1.0
	v_div_scale_f64 v[68:69], vcc_lo, 1.0, v[36:37], 1.0
	v_rcp_f64_e32 v[48:49], v[46:47]
	v_nop
	s_delay_alu instid0(TRANS32_DEP_1) | instskip(NEXT) | instid1(VALU_DEP_1)
	v_fma_f64 v[66:67], -v[46:47], v[48:49], 1.0
	v_fmac_f64_e32 v[48:49], v[48:49], v[66:67]
	s_delay_alu instid0(VALU_DEP_1) | instskip(NEXT) | instid1(VALU_DEP_1)
	v_fma_f64 v[66:67], -v[46:47], v[48:49], 1.0
	v_fmac_f64_e32 v[48:49], v[48:49], v[66:67]
	s_delay_alu instid0(VALU_DEP_1) | instskip(NEXT) | instid1(VALU_DEP_1)
	v_mul_f64_e32 v[66:67], v[68:69], v[48:49]
	v_fma_f64 v[46:47], -v[46:47], v[66:67], v[68:69]
	s_delay_alu instid0(VALU_DEP_1) | instskip(SKIP_2) | instid1(VALU_DEP_3)
	v_div_fmas_f64 v[46:47], v[46:47], v[48:49], v[66:67]
	v_fma_f64 v[48:49], v[26:27], v[34:35], v[28:29]
	v_fma_f64 v[34:35], v[28:29], v[34:35], -v[26:27]
	v_div_fixup_f64 v[36:37], v[46:47], v[36:37], 1.0
	s_delay_alu instid0(VALU_DEP_1) | instskip(NEXT) | instid1(VALU_DEP_3)
	v_mul_f64_e32 v[46:47], v[48:49], v[36:37]
	v_mul_f64_e32 v[34:35], v[34:35], v[36:37]
.LBB128_69:                             ;   in Loop: Header=BB128_4 Depth=1
	s_or_b32 exec_lo, exec_lo, s7
	s_delay_alu instid0(VALU_DEP_1) | instskip(SKIP_2) | instid1(VALU_DEP_2)
	v_mul_f64_e32 v[36:37], s[10:11], v[34:35]
	v_mul_f64_e32 v[34:35], s[8:9], v[34:35]
	s_mov_b32 s7, 0
	v_fma_f64 v[36:37], s[8:9], v[46:47], -v[36:37]
	s_delay_alu instid0(VALU_DEP_2)
	v_fmac_f64_e32 v[34:35], s[10:11], v[46:47]
.LBB128_70:                             ;   in Loop: Header=BB128_4 Depth=1
	s_and_b32 vcc_lo, exec_lo, s7
	s_cbranch_vccz .LBB128_80
; %bb.71:                               ;   in Loop: Header=BB128_4 Depth=1
                                        ; implicit-def: $vgpr34_vgpr35
                                        ; implicit-def: $vgpr36_vgpr37
	s_and_saveexec_b32 s7, s6
	s_delay_alu instid0(SALU_CYCLE_1)
	s_xor_b32 s7, exec_lo, s7
	s_cbranch_execz .LBB128_77
; %bb.72:                               ;   in Loop: Header=BB128_4 Depth=1
	v_cmp_neq_f64_e32 vcc_lo, 0, v[30:31]
	v_cmp_neq_f64_e64 s6, 0, v[32:33]
                                        ; implicit-def: $vgpr34_vgpr35
                                        ; implicit-def: $vgpr36_vgpr37
	s_or_b32 s6, s6, vcc_lo
	s_delay_alu instid0(SALU_CYCLE_1) | instskip(NEXT) | instid1(SALU_CYCLE_1)
	s_and_saveexec_b32 s31, s6
	s_xor_b32 s6, exec_lo, s31
	s_cbranch_execz .LBB128_74
; %bb.73:                               ;   in Loop: Header=BB128_4 Depth=1
	v_div_scale_f64 v[34:35], null, v[30:31], v[30:31], v[32:33]
	v_div_scale_f64 v[40:41], vcc_lo, v[32:33], v[30:31], v[32:33]
	s_delay_alu instid0(VALU_DEP_2) | instskip(SKIP_1) | instid1(TRANS32_DEP_1)
	v_rcp_f64_e32 v[36:37], v[34:35]
	v_nop
	v_fma_f64 v[38:39], -v[34:35], v[36:37], 1.0
	s_delay_alu instid0(VALU_DEP_1) | instskip(NEXT) | instid1(VALU_DEP_1)
	v_fmac_f64_e32 v[36:37], v[36:37], v[38:39]
	v_fma_f64 v[38:39], -v[34:35], v[36:37], 1.0
	s_delay_alu instid0(VALU_DEP_1) | instskip(NEXT) | instid1(VALU_DEP_1)
	v_fmac_f64_e32 v[36:37], v[36:37], v[38:39]
	v_mul_f64_e32 v[38:39], v[40:41], v[36:37]
	s_delay_alu instid0(VALU_DEP_1) | instskip(NEXT) | instid1(VALU_DEP_1)
	v_fma_f64 v[34:35], -v[34:35], v[38:39], v[40:41]
	v_div_fmas_f64 v[34:35], v[34:35], v[36:37], v[38:39]
	s_delay_alu instid0(VALU_DEP_1) | instskip(NEXT) | instid1(VALU_DEP_1)
	v_div_fixup_f64 v[34:35], v[34:35], v[30:31], v[32:33]
	v_fmac_f64_e32 v[30:31], v[32:33], v[34:35]
	s_delay_alu instid0(VALU_DEP_1) | instskip(SKIP_1) | instid1(VALU_DEP_2)
	v_div_scale_f64 v[32:33], null, v[30:31], v[30:31], 1.0
	v_div_scale_f64 v[40:41], vcc_lo, 1.0, v[30:31], 1.0
	v_rcp_f64_e32 v[36:37], v[32:33]
	v_nop
	s_delay_alu instid0(TRANS32_DEP_1) | instskip(NEXT) | instid1(VALU_DEP_1)
	v_fma_f64 v[38:39], -v[32:33], v[36:37], 1.0
	v_fmac_f64_e32 v[36:37], v[36:37], v[38:39]
	s_delay_alu instid0(VALU_DEP_1) | instskip(NEXT) | instid1(VALU_DEP_1)
	v_fma_f64 v[38:39], -v[32:33], v[36:37], 1.0
	v_fmac_f64_e32 v[36:37], v[36:37], v[38:39]
	s_delay_alu instid0(VALU_DEP_1) | instskip(NEXT) | instid1(VALU_DEP_1)
	v_mul_f64_e32 v[38:39], v[40:41], v[36:37]
	v_fma_f64 v[32:33], -v[32:33], v[38:39], v[40:41]
                                        ; implicit-def: $vgpr40_vgpr41
	s_delay_alu instid0(VALU_DEP_1) | instskip(SKIP_2) | instid1(VALU_DEP_3)
	v_div_fmas_f64 v[32:33], v[32:33], v[36:37], v[38:39]
	v_fma_f64 v[36:37], v[28:29], v[34:35], v[26:27]
	v_fma_f64 v[26:27], -v[26:27], v[34:35], v[28:29]
                                        ; implicit-def: $vgpr38_vgpr39
	v_div_fixup_f64 v[30:31], v[32:33], v[30:31], 1.0
	s_delay_alu instid0(VALU_DEP_1) | instskip(NEXT) | instid1(VALU_DEP_3)
	v_mul_f64_e32 v[36:37], v[36:37], v[30:31]
	v_mul_f64_e32 v[34:35], v[26:27], v[30:31]
                                        ; implicit-def: $vgpr26_vgpr27
.LBB128_74:                             ;   in Loop: Header=BB128_4 Depth=1
	s_and_not1_saveexec_b32 s31, s6
	s_cbranch_execz .LBB128_76
; %bb.75:                               ;   in Loop: Header=BB128_4 Depth=1
	v_div_scale_f64 v[30:31], null, v[38:39], v[38:39], v[26:27]
	v_div_scale_f64 v[32:33], null, v[40:41], v[40:41], v[28:29]
	v_div_scale_f64 v[66:67], vcc_lo, v[26:27], v[38:39], v[26:27]
	s_delay_alu instid0(VALU_DEP_3) | instskip(NEXT) | instid1(VALU_DEP_2)
	v_rcp_f64_e32 v[34:35], v[30:31]
	v_rcp_f64_e32 v[36:37], v[32:33]
	s_delay_alu instid0(TRANS32_DEP_2) | instskip(NEXT) | instid1(TRANS32_DEP_1)
	v_fma_f64 v[46:47], -v[30:31], v[34:35], 1.0
	v_fma_f64 v[48:49], -v[32:33], v[36:37], 1.0
	s_delay_alu instid0(VALU_DEP_2) | instskip(NEXT) | instid1(VALU_DEP_2)
	v_fmac_f64_e32 v[34:35], v[34:35], v[46:47]
	v_fmac_f64_e32 v[36:37], v[36:37], v[48:49]
	s_delay_alu instid0(VALU_DEP_2) | instskip(NEXT) | instid1(VALU_DEP_2)
	v_fma_f64 v[46:47], -v[30:31], v[34:35], 1.0
	v_fma_f64 v[48:49], -v[32:33], v[36:37], 1.0
	s_delay_alu instid0(VALU_DEP_2) | instskip(SKIP_1) | instid1(VALU_DEP_3)
	v_fmac_f64_e32 v[34:35], v[34:35], v[46:47]
	v_div_scale_f64 v[46:47], s6, v[28:29], v[40:41], v[28:29]
	v_fmac_f64_e32 v[36:37], v[36:37], v[48:49]
	s_delay_alu instid0(VALU_DEP_3) | instskip(NEXT) | instid1(VALU_DEP_2)
	v_mul_f64_e32 v[48:49], v[66:67], v[34:35]
	v_mul_f64_e32 v[68:69], v[46:47], v[36:37]
	s_delay_alu instid0(VALU_DEP_2) | instskip(NEXT) | instid1(VALU_DEP_2)
	v_fma_f64 v[30:31], -v[30:31], v[48:49], v[66:67]
	v_fma_f64 v[32:33], -v[32:33], v[68:69], v[46:47]
	s_delay_alu instid0(VALU_DEP_2) | instskip(SKIP_1) | instid1(VALU_DEP_2)
	v_div_fmas_f64 v[30:31], v[30:31], v[34:35], v[48:49]
	s_mov_b32 vcc_lo, s6
	v_div_fmas_f64 v[32:33], v[32:33], v[36:37], v[68:69]
	s_delay_alu instid0(VALU_DEP_2) | instskip(NEXT) | instid1(VALU_DEP_2)
	v_div_fixup_f64 v[36:37], v[30:31], v[38:39], v[26:27]
	v_div_fixup_f64 v[34:35], v[32:33], v[40:41], v[28:29]
.LBB128_76:                             ;   in Loop: Header=BB128_4 Depth=1
	s_or_b32 exec_lo, exec_lo, s31
                                        ; implicit-def: $vgpr32_vgpr33
                                        ; implicit-def: $vgpr26_vgpr27
.LBB128_77:                             ;   in Loop: Header=BB128_4 Depth=1
	s_and_not1_saveexec_b32 s6, s7
	s_cbranch_execz .LBB128_79
; %bb.78:                               ;   in Loop: Header=BB128_4 Depth=1
	v_div_scale_f64 v[34:35], null, v[32:33], v[32:33], v[30:31]
	v_div_scale_f64 v[40:41], vcc_lo, v[30:31], v[32:33], v[30:31]
	s_delay_alu instid0(VALU_DEP_2) | instskip(SKIP_1) | instid1(TRANS32_DEP_1)
	v_rcp_f64_e32 v[36:37], v[34:35]
	v_nop
	v_fma_f64 v[38:39], -v[34:35], v[36:37], 1.0
	s_delay_alu instid0(VALU_DEP_1) | instskip(NEXT) | instid1(VALU_DEP_1)
	v_fmac_f64_e32 v[36:37], v[36:37], v[38:39]
	v_fma_f64 v[38:39], -v[34:35], v[36:37], 1.0
	s_delay_alu instid0(VALU_DEP_1) | instskip(NEXT) | instid1(VALU_DEP_1)
	v_fmac_f64_e32 v[36:37], v[36:37], v[38:39]
	v_mul_f64_e32 v[38:39], v[40:41], v[36:37]
	s_delay_alu instid0(VALU_DEP_1) | instskip(NEXT) | instid1(VALU_DEP_1)
	v_fma_f64 v[34:35], -v[34:35], v[38:39], v[40:41]
	v_div_fmas_f64 v[34:35], v[34:35], v[36:37], v[38:39]
	s_delay_alu instid0(VALU_DEP_1) | instskip(NEXT) | instid1(VALU_DEP_1)
	v_div_fixup_f64 v[34:35], v[34:35], v[32:33], v[30:31]
	v_fmac_f64_e32 v[32:33], v[30:31], v[34:35]
	s_delay_alu instid0(VALU_DEP_1) | instskip(SKIP_1) | instid1(VALU_DEP_2)
	v_div_scale_f64 v[30:31], null, v[32:33], v[32:33], 1.0
	v_div_scale_f64 v[40:41], vcc_lo, 1.0, v[32:33], 1.0
	v_rcp_f64_e32 v[36:37], v[30:31]
	v_nop
	s_delay_alu instid0(TRANS32_DEP_1) | instskip(NEXT) | instid1(VALU_DEP_1)
	v_fma_f64 v[38:39], -v[30:31], v[36:37], 1.0
	v_fmac_f64_e32 v[36:37], v[36:37], v[38:39]
	s_delay_alu instid0(VALU_DEP_1) | instskip(NEXT) | instid1(VALU_DEP_1)
	v_fma_f64 v[38:39], -v[30:31], v[36:37], 1.0
	v_fmac_f64_e32 v[36:37], v[36:37], v[38:39]
	s_delay_alu instid0(VALU_DEP_1) | instskip(NEXT) | instid1(VALU_DEP_1)
	v_mul_f64_e32 v[38:39], v[40:41], v[36:37]
	v_fma_f64 v[30:31], -v[30:31], v[38:39], v[40:41]
	s_delay_alu instid0(VALU_DEP_1) | instskip(SKIP_2) | instid1(VALU_DEP_3)
	v_div_fmas_f64 v[30:31], v[30:31], v[36:37], v[38:39]
	v_fma_f64 v[36:37], v[26:27], v[34:35], v[28:29]
	v_fma_f64 v[26:27], v[28:29], v[34:35], -v[26:27]
	v_div_fixup_f64 v[30:31], v[30:31], v[32:33], 1.0
	s_delay_alu instid0(VALU_DEP_1) | instskip(NEXT) | instid1(VALU_DEP_3)
	v_mul_f64_e32 v[36:37], v[36:37], v[30:31]
	v_mul_f64_e32 v[34:35], v[26:27], v[30:31]
.LBB128_79:                             ;   in Loop: Header=BB128_4 Depth=1
	s_or_b32 exec_lo, exec_lo, s6
.LBB128_80:                             ;   in Loop: Header=BB128_4 Depth=1
	v_cmp_gt_f64_e32 vcc_lo, 0, v[22:23]
	v_xor_b32_e32 v27, 0x80000000, v23
	v_mov_b32_e32 v26, v22
	v_xor_b32_e32 v28, 0x80000000, v25
	s_mov_b32 s7, -1
                                        ; implicit-def: $vgpr30_vgpr31
                                        ; implicit-def: $vgpr32_vgpr33
	s_delay_alu instid0(VALU_DEP_3) | instskip(SKIP_1) | instid1(VALU_DEP_3)
	v_cndmask_b32_e32 v27, v23, v27, vcc_lo
	v_cmp_gt_f64_e32 vcc_lo, 0, v[24:25]
	v_dual_cndmask_b32 v29, v25, v28 :: v_dual_mov_b32 v28, v24
	s_and_not1_b32 vcc_lo, exec_lo, s30
	s_delay_alu instid0(VALU_DEP_1)
	v_cmp_ge_f64_e64 s6, v[26:27], v[28:29]
	s_cbranch_vccz .LBB128_86
; %bb.81:                               ;   in Loop: Header=BB128_4 Depth=1
	s_and_b32 vcc_lo, exec_lo, s7
	s_cbranch_vccnz .LBB128_95
.LBB128_82:                             ;   in Loop: Header=BB128_4 Depth=1
	s_and_saveexec_b32 s6, s2
	s_delay_alu instid0(SALU_CYCLE_1)
	s_xor_b32 s2, exec_lo, s6
	s_cbranch_execnz .LBB128_104
.LBB128_83:                             ;   in Loop: Header=BB128_4 Depth=1
	s_or_b32 exec_lo, exec_lo, s2
	s_and_saveexec_b32 s2, s3
	s_cbranch_execnz .LBB128_105
.LBB128_84:                             ;   in Loop: Header=BB128_4 Depth=1
	s_or_b32 exec_lo, exec_lo, s2
	s_and_saveexec_b32 s2, s4
	s_cbranch_execnz .LBB128_106
.LBB128_85:                             ;   in Loop: Header=BB128_4 Depth=1
	s_or_b32 exec_lo, exec_lo, s2
	s_and_saveexec_b32 s2, s5
	s_cbranch_execz .LBB128_3
	s_branch .LBB128_107
.LBB128_86:                             ;   in Loop: Header=BB128_4 Depth=1
                                        ; implicit-def: $vgpr30_vgpr31
                                        ; implicit-def: $vgpr38_vgpr39
	s_and_saveexec_b32 s7, s6
	s_delay_alu instid0(SALU_CYCLE_1)
	s_xor_b32 s31, exec_lo, s7
	s_cbranch_execz .LBB128_92
; %bb.87:                               ;   in Loop: Header=BB128_4 Depth=1
	v_cmp_neq_f64_e32 vcc_lo, 0, v[22:23]
	v_cmp_neq_f64_e64 s7, 0, v[24:25]
                                        ; implicit-def: $vgpr30_vgpr31
                                        ; implicit-def: $vgpr38_vgpr39
	s_or_b32 s7, s7, vcc_lo
	s_delay_alu instid0(SALU_CYCLE_1) | instskip(NEXT) | instid1(SALU_CYCLE_1)
	s_and_saveexec_b32 s33, s7
	s_xor_b32 s7, exec_lo, s33
	s_cbranch_execz .LBB128_89
; %bb.88:                               ;   in Loop: Header=BB128_4 Depth=1
	v_div_scale_f64 v[30:31], null, v[22:23], v[22:23], v[24:25]
	v_div_scale_f64 v[40:41], vcc_lo, v[24:25], v[22:23], v[24:25]
	s_delay_alu instid0(VALU_DEP_2) | instskip(SKIP_1) | instid1(TRANS32_DEP_1)
	v_rcp_f64_e32 v[32:33], v[30:31]
	v_nop
	v_fma_f64 v[38:39], -v[30:31], v[32:33], 1.0
	s_delay_alu instid0(VALU_DEP_1) | instskip(NEXT) | instid1(VALU_DEP_1)
	v_fmac_f64_e32 v[32:33], v[32:33], v[38:39]
	v_fma_f64 v[38:39], -v[30:31], v[32:33], 1.0
	s_delay_alu instid0(VALU_DEP_1) | instskip(NEXT) | instid1(VALU_DEP_1)
	v_fmac_f64_e32 v[32:33], v[32:33], v[38:39]
	v_mul_f64_e32 v[38:39], v[40:41], v[32:33]
	s_delay_alu instid0(VALU_DEP_1) | instskip(NEXT) | instid1(VALU_DEP_1)
	v_fma_f64 v[30:31], -v[30:31], v[38:39], v[40:41]
	v_div_fmas_f64 v[30:31], v[30:31], v[32:33], v[38:39]
	s_delay_alu instid0(VALU_DEP_1) | instskip(NEXT) | instid1(VALU_DEP_1)
	v_div_fixup_f64 v[30:31], v[30:31], v[22:23], v[24:25]
	v_fma_f64 v[32:33], v[24:25], v[30:31], v[22:23]
	s_delay_alu instid0(VALU_DEP_1) | instskip(SKIP_1) | instid1(VALU_DEP_2)
	v_div_scale_f64 v[38:39], null, v[32:33], v[32:33], 1.0
	v_div_scale_f64 v[48:49], vcc_lo, 1.0, v[32:33], 1.0
	v_rcp_f64_e32 v[40:41], v[38:39]
	v_nop
	s_delay_alu instid0(TRANS32_DEP_1) | instskip(NEXT) | instid1(VALU_DEP_1)
	v_fma_f64 v[46:47], -v[38:39], v[40:41], 1.0
	v_fmac_f64_e32 v[40:41], v[40:41], v[46:47]
	s_delay_alu instid0(VALU_DEP_1) | instskip(NEXT) | instid1(VALU_DEP_1)
	v_fma_f64 v[46:47], -v[38:39], v[40:41], 1.0
	v_fmac_f64_e32 v[40:41], v[40:41], v[46:47]
	s_delay_alu instid0(VALU_DEP_1) | instskip(NEXT) | instid1(VALU_DEP_1)
	v_mul_f64_e32 v[46:47], v[48:49], v[40:41]
	v_fma_f64 v[38:39], -v[38:39], v[46:47], v[48:49]
	s_delay_alu instid0(VALU_DEP_1) | instskip(SKIP_2) | instid1(VALU_DEP_3)
	v_div_fmas_f64 v[38:39], v[38:39], v[40:41], v[46:47]
	v_fma_f64 v[40:41], v[20:21], v[30:31], v[18:19]
	v_fma_f64 v[30:31], -v[18:19], v[30:31], v[20:21]
	v_div_fixup_f64 v[32:33], v[38:39], v[32:33], 1.0
	s_delay_alu instid0(VALU_DEP_1) | instskip(NEXT) | instid1(VALU_DEP_3)
	v_mul_f64_e32 v[38:39], v[40:41], v[32:33]
	v_mul_f64_e32 v[30:31], v[30:31], v[32:33]
.LBB128_89:                             ;   in Loop: Header=BB128_4 Depth=1
	s_and_not1_saveexec_b32 s33, s7
	s_cbranch_execz .LBB128_91
; %bb.90:                               ;   in Loop: Header=BB128_4 Depth=1
	v_div_scale_f64 v[30:31], null, v[26:27], v[26:27], v[18:19]
	v_div_scale_f64 v[32:33], null, v[28:29], v[28:29], v[20:21]
	v_div_scale_f64 v[66:67], vcc_lo, v[18:19], v[26:27], v[18:19]
	s_delay_alu instid0(VALU_DEP_3) | instskip(NEXT) | instid1(VALU_DEP_2)
	v_rcp_f64_e32 v[38:39], v[30:31]
	v_rcp_f64_e32 v[40:41], v[32:33]
	s_delay_alu instid0(TRANS32_DEP_2) | instskip(NEXT) | instid1(TRANS32_DEP_1)
	v_fma_f64 v[46:47], -v[30:31], v[38:39], 1.0
	v_fma_f64 v[48:49], -v[32:33], v[40:41], 1.0
	s_delay_alu instid0(VALU_DEP_2) | instskip(NEXT) | instid1(VALU_DEP_2)
	v_fmac_f64_e32 v[38:39], v[38:39], v[46:47]
	v_fmac_f64_e32 v[40:41], v[40:41], v[48:49]
	s_delay_alu instid0(VALU_DEP_2) | instskip(NEXT) | instid1(VALU_DEP_2)
	v_fma_f64 v[46:47], -v[30:31], v[38:39], 1.0
	v_fma_f64 v[48:49], -v[32:33], v[40:41], 1.0
	s_delay_alu instid0(VALU_DEP_2) | instskip(SKIP_1) | instid1(VALU_DEP_3)
	v_fmac_f64_e32 v[38:39], v[38:39], v[46:47]
	v_div_scale_f64 v[46:47], s7, v[20:21], v[28:29], v[20:21]
	v_fmac_f64_e32 v[40:41], v[40:41], v[48:49]
	s_delay_alu instid0(VALU_DEP_3) | instskip(NEXT) | instid1(VALU_DEP_2)
	v_mul_f64_e32 v[48:49], v[66:67], v[38:39]
	v_mul_f64_e32 v[68:69], v[46:47], v[40:41]
	s_delay_alu instid0(VALU_DEP_2) | instskip(NEXT) | instid1(VALU_DEP_2)
	v_fma_f64 v[30:31], -v[30:31], v[48:49], v[66:67]
	v_fma_f64 v[32:33], -v[32:33], v[68:69], v[46:47]
	s_delay_alu instid0(VALU_DEP_2) | instskip(SKIP_1) | instid1(VALU_DEP_2)
	v_div_fmas_f64 v[30:31], v[30:31], v[38:39], v[48:49]
	s_mov_b32 vcc_lo, s7
	v_div_fmas_f64 v[32:33], v[32:33], v[40:41], v[68:69]
	s_delay_alu instid0(VALU_DEP_2) | instskip(NEXT) | instid1(VALU_DEP_2)
	v_div_fixup_f64 v[38:39], v[30:31], v[26:27], v[18:19]
	v_div_fixup_f64 v[30:31], v[32:33], v[28:29], v[20:21]
.LBB128_91:                             ;   in Loop: Header=BB128_4 Depth=1
	s_or_b32 exec_lo, exec_lo, s33
.LBB128_92:                             ;   in Loop: Header=BB128_4 Depth=1
	s_and_not1_saveexec_b32 s7, s31
	s_cbranch_execz .LBB128_94
; %bb.93:                               ;   in Loop: Header=BB128_4 Depth=1
	v_div_scale_f64 v[30:31], null, v[24:25], v[24:25], v[22:23]
	v_div_scale_f64 v[40:41], vcc_lo, v[22:23], v[24:25], v[22:23]
	s_delay_alu instid0(VALU_DEP_2) | instskip(SKIP_1) | instid1(TRANS32_DEP_1)
	v_rcp_f64_e32 v[32:33], v[30:31]
	v_nop
	v_fma_f64 v[38:39], -v[30:31], v[32:33], 1.0
	s_delay_alu instid0(VALU_DEP_1) | instskip(NEXT) | instid1(VALU_DEP_1)
	v_fmac_f64_e32 v[32:33], v[32:33], v[38:39]
	v_fma_f64 v[38:39], -v[30:31], v[32:33], 1.0
	s_delay_alu instid0(VALU_DEP_1) | instskip(NEXT) | instid1(VALU_DEP_1)
	v_fmac_f64_e32 v[32:33], v[32:33], v[38:39]
	v_mul_f64_e32 v[38:39], v[40:41], v[32:33]
	s_delay_alu instid0(VALU_DEP_1) | instskip(NEXT) | instid1(VALU_DEP_1)
	v_fma_f64 v[30:31], -v[30:31], v[38:39], v[40:41]
	v_div_fmas_f64 v[30:31], v[30:31], v[32:33], v[38:39]
	s_delay_alu instid0(VALU_DEP_1) | instskip(NEXT) | instid1(VALU_DEP_1)
	v_div_fixup_f64 v[30:31], v[30:31], v[24:25], v[22:23]
	v_fma_f64 v[32:33], v[22:23], v[30:31], v[24:25]
	s_delay_alu instid0(VALU_DEP_1) | instskip(SKIP_1) | instid1(VALU_DEP_2)
	v_div_scale_f64 v[38:39], null, v[32:33], v[32:33], 1.0
	v_div_scale_f64 v[48:49], vcc_lo, 1.0, v[32:33], 1.0
	v_rcp_f64_e32 v[40:41], v[38:39]
	v_nop
	s_delay_alu instid0(TRANS32_DEP_1) | instskip(NEXT) | instid1(VALU_DEP_1)
	v_fma_f64 v[46:47], -v[38:39], v[40:41], 1.0
	v_fmac_f64_e32 v[40:41], v[40:41], v[46:47]
	s_delay_alu instid0(VALU_DEP_1) | instskip(NEXT) | instid1(VALU_DEP_1)
	v_fma_f64 v[46:47], -v[38:39], v[40:41], 1.0
	v_fmac_f64_e32 v[40:41], v[40:41], v[46:47]
	s_delay_alu instid0(VALU_DEP_1) | instskip(NEXT) | instid1(VALU_DEP_1)
	v_mul_f64_e32 v[46:47], v[48:49], v[40:41]
	v_fma_f64 v[38:39], -v[38:39], v[46:47], v[48:49]
	s_delay_alu instid0(VALU_DEP_1) | instskip(SKIP_2) | instid1(VALU_DEP_3)
	v_div_fmas_f64 v[38:39], v[38:39], v[40:41], v[46:47]
	v_fma_f64 v[40:41], v[18:19], v[30:31], v[20:21]
	v_fma_f64 v[30:31], v[20:21], v[30:31], -v[18:19]
	v_div_fixup_f64 v[32:33], v[38:39], v[32:33], 1.0
	s_delay_alu instid0(VALU_DEP_1) | instskip(NEXT) | instid1(VALU_DEP_3)
	v_mul_f64_e32 v[38:39], v[40:41], v[32:33]
	v_mul_f64_e32 v[30:31], v[30:31], v[32:33]
.LBB128_94:                             ;   in Loop: Header=BB128_4 Depth=1
	s_or_b32 exec_lo, exec_lo, s7
	s_delay_alu instid0(VALU_DEP_1) | instskip(SKIP_1) | instid1(VALU_DEP_2)
	v_mul_f64_e32 v[32:33], s[10:11], v[30:31]
	v_mul_f64_e32 v[30:31], s[8:9], v[30:31]
	v_fma_f64 v[32:33], s[8:9], v[38:39], -v[32:33]
	s_delay_alu instid0(VALU_DEP_2)
	v_fmac_f64_e32 v[30:31], s[10:11], v[38:39]
	s_branch .LBB128_82
.LBB128_95:                             ;   in Loop: Header=BB128_4 Depth=1
                                        ; implicit-def: $vgpr30_vgpr31
                                        ; implicit-def: $vgpr32_vgpr33
	s_and_saveexec_b32 s7, s6
	s_delay_alu instid0(SALU_CYCLE_1)
	s_xor_b32 s7, exec_lo, s7
	s_cbranch_execz .LBB128_101
; %bb.96:                               ;   in Loop: Header=BB128_4 Depth=1
	v_cmp_neq_f64_e32 vcc_lo, 0, v[22:23]
	v_cmp_neq_f64_e64 s6, 0, v[24:25]
                                        ; implicit-def: $vgpr30_vgpr31
                                        ; implicit-def: $vgpr32_vgpr33
	s_or_b32 s6, s6, vcc_lo
	s_delay_alu instid0(SALU_CYCLE_1) | instskip(NEXT) | instid1(SALU_CYCLE_1)
	s_and_saveexec_b32 s31, s6
	s_xor_b32 s6, exec_lo, s31
	s_cbranch_execz .LBB128_98
; %bb.97:                               ;   in Loop: Header=BB128_4 Depth=1
	v_div_scale_f64 v[26:27], null, v[22:23], v[22:23], v[24:25]
	v_div_scale_f64 v[32:33], vcc_lo, v[24:25], v[22:23], v[24:25]
	s_delay_alu instid0(VALU_DEP_2) | instskip(SKIP_1) | instid1(TRANS32_DEP_1)
	v_rcp_f64_e32 v[28:29], v[26:27]
	v_nop
	v_fma_f64 v[30:31], -v[26:27], v[28:29], 1.0
	s_delay_alu instid0(VALU_DEP_1) | instskip(NEXT) | instid1(VALU_DEP_1)
	v_fmac_f64_e32 v[28:29], v[28:29], v[30:31]
	v_fma_f64 v[30:31], -v[26:27], v[28:29], 1.0
	s_delay_alu instid0(VALU_DEP_1) | instskip(NEXT) | instid1(VALU_DEP_1)
	v_fmac_f64_e32 v[28:29], v[28:29], v[30:31]
	v_mul_f64_e32 v[30:31], v[32:33], v[28:29]
	s_delay_alu instid0(VALU_DEP_1) | instskip(NEXT) | instid1(VALU_DEP_1)
	v_fma_f64 v[26:27], -v[26:27], v[30:31], v[32:33]
	v_div_fmas_f64 v[26:27], v[26:27], v[28:29], v[30:31]
	s_delay_alu instid0(VALU_DEP_1) | instskip(NEXT) | instid1(VALU_DEP_1)
	v_div_fixup_f64 v[26:27], v[26:27], v[22:23], v[24:25]
	v_fmac_f64_e32 v[22:23], v[24:25], v[26:27]
	s_delay_alu instid0(VALU_DEP_1) | instskip(SKIP_1) | instid1(VALU_DEP_2)
	v_div_scale_f64 v[24:25], null, v[22:23], v[22:23], 1.0
	v_div_scale_f64 v[32:33], vcc_lo, 1.0, v[22:23], 1.0
	v_rcp_f64_e32 v[28:29], v[24:25]
	v_nop
	s_delay_alu instid0(TRANS32_DEP_1) | instskip(NEXT) | instid1(VALU_DEP_1)
	v_fma_f64 v[30:31], -v[24:25], v[28:29], 1.0
	v_fmac_f64_e32 v[28:29], v[28:29], v[30:31]
	s_delay_alu instid0(VALU_DEP_1) | instskip(NEXT) | instid1(VALU_DEP_1)
	v_fma_f64 v[30:31], -v[24:25], v[28:29], 1.0
	v_fmac_f64_e32 v[28:29], v[28:29], v[30:31]
	s_delay_alu instid0(VALU_DEP_1) | instskip(NEXT) | instid1(VALU_DEP_1)
	v_mul_f64_e32 v[30:31], v[32:33], v[28:29]
	v_fma_f64 v[24:25], -v[24:25], v[30:31], v[32:33]
	s_delay_alu instid0(VALU_DEP_1) | instskip(SKIP_2) | instid1(VALU_DEP_3)
	v_div_fmas_f64 v[24:25], v[24:25], v[28:29], v[30:31]
	v_fma_f64 v[28:29], v[20:21], v[26:27], v[18:19]
	v_fma_f64 v[18:19], -v[18:19], v[26:27], v[20:21]
                                        ; implicit-def: $vgpr26_vgpr27
	v_div_fixup_f64 v[22:23], v[24:25], v[22:23], 1.0
	s_delay_alu instid0(VALU_DEP_1) | instskip(NEXT) | instid1(VALU_DEP_3)
	v_mul_f64_e32 v[32:33], v[28:29], v[22:23]
	v_mul_f64_e32 v[30:31], v[18:19], v[22:23]
                                        ; implicit-def: $vgpr18_vgpr19
                                        ; implicit-def: $vgpr28_vgpr29
.LBB128_98:                             ;   in Loop: Header=BB128_4 Depth=1
	s_and_not1_saveexec_b32 s31, s6
	s_cbranch_execz .LBB128_100
; %bb.99:                               ;   in Loop: Header=BB128_4 Depth=1
	v_div_scale_f64 v[22:23], null, v[26:27], v[26:27], v[18:19]
	v_div_scale_f64 v[24:25], null, v[28:29], v[28:29], v[20:21]
	v_div_scale_f64 v[46:47], vcc_lo, v[18:19], v[26:27], v[18:19]
	s_delay_alu instid0(VALU_DEP_3) | instskip(NEXT) | instid1(VALU_DEP_2)
	v_rcp_f64_e32 v[30:31], v[22:23]
	v_rcp_f64_e32 v[32:33], v[24:25]
	s_delay_alu instid0(TRANS32_DEP_2) | instskip(NEXT) | instid1(TRANS32_DEP_1)
	v_fma_f64 v[38:39], -v[22:23], v[30:31], 1.0
	v_fma_f64 v[40:41], -v[24:25], v[32:33], 1.0
	s_delay_alu instid0(VALU_DEP_2) | instskip(NEXT) | instid1(VALU_DEP_2)
	v_fmac_f64_e32 v[30:31], v[30:31], v[38:39]
	v_fmac_f64_e32 v[32:33], v[32:33], v[40:41]
	s_delay_alu instid0(VALU_DEP_2) | instskip(NEXT) | instid1(VALU_DEP_2)
	v_fma_f64 v[38:39], -v[22:23], v[30:31], 1.0
	v_fma_f64 v[40:41], -v[24:25], v[32:33], 1.0
	s_delay_alu instid0(VALU_DEP_2) | instskip(SKIP_1) | instid1(VALU_DEP_3)
	v_fmac_f64_e32 v[30:31], v[30:31], v[38:39]
	v_div_scale_f64 v[38:39], s6, v[20:21], v[28:29], v[20:21]
	v_fmac_f64_e32 v[32:33], v[32:33], v[40:41]
	s_delay_alu instid0(VALU_DEP_3) | instskip(NEXT) | instid1(VALU_DEP_2)
	v_mul_f64_e32 v[40:41], v[46:47], v[30:31]
	v_mul_f64_e32 v[48:49], v[38:39], v[32:33]
	s_delay_alu instid0(VALU_DEP_2) | instskip(NEXT) | instid1(VALU_DEP_2)
	v_fma_f64 v[22:23], -v[22:23], v[40:41], v[46:47]
	v_fma_f64 v[24:25], -v[24:25], v[48:49], v[38:39]
	s_delay_alu instid0(VALU_DEP_2) | instskip(SKIP_1) | instid1(VALU_DEP_2)
	v_div_fmas_f64 v[22:23], v[22:23], v[30:31], v[40:41]
	s_mov_b32 vcc_lo, s6
	v_div_fmas_f64 v[24:25], v[24:25], v[32:33], v[48:49]
	s_delay_alu instid0(VALU_DEP_2) | instskip(NEXT) | instid1(VALU_DEP_2)
	v_div_fixup_f64 v[32:33], v[22:23], v[26:27], v[18:19]
	v_div_fixup_f64 v[30:31], v[24:25], v[28:29], v[20:21]
.LBB128_100:                            ;   in Loop: Header=BB128_4 Depth=1
	s_or_b32 exec_lo, exec_lo, s31
                                        ; implicit-def: $vgpr24_vgpr25
                                        ; implicit-def: $vgpr18_vgpr19
.LBB128_101:                            ;   in Loop: Header=BB128_4 Depth=1
	s_and_not1_saveexec_b32 s6, s7
	s_cbranch_execz .LBB128_103
; %bb.102:                              ;   in Loop: Header=BB128_4 Depth=1
	v_div_scale_f64 v[26:27], null, v[24:25], v[24:25], v[22:23]
	v_div_scale_f64 v[32:33], vcc_lo, v[22:23], v[24:25], v[22:23]
	s_delay_alu instid0(VALU_DEP_2) | instskip(SKIP_1) | instid1(TRANS32_DEP_1)
	v_rcp_f64_e32 v[28:29], v[26:27]
	v_nop
	v_fma_f64 v[30:31], -v[26:27], v[28:29], 1.0
	s_delay_alu instid0(VALU_DEP_1) | instskip(NEXT) | instid1(VALU_DEP_1)
	v_fmac_f64_e32 v[28:29], v[28:29], v[30:31]
	v_fma_f64 v[30:31], -v[26:27], v[28:29], 1.0
	s_delay_alu instid0(VALU_DEP_1) | instskip(NEXT) | instid1(VALU_DEP_1)
	v_fmac_f64_e32 v[28:29], v[28:29], v[30:31]
	v_mul_f64_e32 v[30:31], v[32:33], v[28:29]
	s_delay_alu instid0(VALU_DEP_1) | instskip(NEXT) | instid1(VALU_DEP_1)
	v_fma_f64 v[26:27], -v[26:27], v[30:31], v[32:33]
	v_div_fmas_f64 v[26:27], v[26:27], v[28:29], v[30:31]
	s_delay_alu instid0(VALU_DEP_1) | instskip(NEXT) | instid1(VALU_DEP_1)
	v_div_fixup_f64 v[26:27], v[26:27], v[24:25], v[22:23]
	v_fmac_f64_e32 v[24:25], v[22:23], v[26:27]
	s_delay_alu instid0(VALU_DEP_1) | instskip(SKIP_1) | instid1(VALU_DEP_2)
	v_div_scale_f64 v[22:23], null, v[24:25], v[24:25], 1.0
	v_div_scale_f64 v[32:33], vcc_lo, 1.0, v[24:25], 1.0
	v_rcp_f64_e32 v[28:29], v[22:23]
	v_nop
	s_delay_alu instid0(TRANS32_DEP_1) | instskip(NEXT) | instid1(VALU_DEP_1)
	v_fma_f64 v[30:31], -v[22:23], v[28:29], 1.0
	v_fmac_f64_e32 v[28:29], v[28:29], v[30:31]
	s_delay_alu instid0(VALU_DEP_1) | instskip(NEXT) | instid1(VALU_DEP_1)
	v_fma_f64 v[30:31], -v[22:23], v[28:29], 1.0
	v_fmac_f64_e32 v[28:29], v[28:29], v[30:31]
	s_delay_alu instid0(VALU_DEP_1) | instskip(NEXT) | instid1(VALU_DEP_1)
	v_mul_f64_e32 v[30:31], v[32:33], v[28:29]
	v_fma_f64 v[22:23], -v[22:23], v[30:31], v[32:33]
	s_delay_alu instid0(VALU_DEP_1) | instskip(SKIP_2) | instid1(VALU_DEP_3)
	v_div_fmas_f64 v[22:23], v[22:23], v[28:29], v[30:31]
	v_fma_f64 v[28:29], v[18:19], v[26:27], v[20:21]
	v_fma_f64 v[18:19], v[20:21], v[26:27], -v[18:19]
	v_div_fixup_f64 v[22:23], v[22:23], v[24:25], 1.0
	s_delay_alu instid0(VALU_DEP_1) | instskip(NEXT) | instid1(VALU_DEP_3)
	v_mul_f64_e32 v[32:33], v[28:29], v[22:23]
	v_mul_f64_e32 v[30:31], v[18:19], v[22:23]
.LBB128_103:                            ;   in Loop: Header=BB128_4 Depth=1
	s_or_b32 exec_lo, exec_lo, s6
	s_and_saveexec_b32 s6, s2
	s_delay_alu instid0(SALU_CYCLE_1)
	s_xor_b32 s2, exec_lo, s6
	s_cbranch_execz .LBB128_83
.LBB128_104:                            ;   in Loop: Header=BB128_4 Depth=1
	v_add_f64_e32 v[4:5], v[4:5], v[62:63]
	v_add_f64_e32 v[2:3], v[2:3], v[64:65]
	v_lshl_add_u64 v[18:19], v[54:55], 4, s[16:17]
	global_store_b128 v[18:19], v[2:5], off
	s_wait_xcnt 0x0
	s_or_b32 exec_lo, exec_lo, s2
	s_and_saveexec_b32 s2, s3
	s_cbranch_execz .LBB128_84
.LBB128_105:                            ;   in Loop: Header=BB128_4 Depth=1
	v_add_f64_e32 v[4:5], v[8:9], v[42:43]
	v_add_f64_e32 v[2:3], v[6:7], v[44:45]
	v_lshl_add_u64 v[6:7], v[56:57], 4, s[16:17]
	global_store_b128 v[6:7], v[2:5], off
	s_wait_xcnt 0x0
	s_or_b32 exec_lo, exec_lo, s2
	s_and_saveexec_b32 s2, s4
	s_cbranch_execz .LBB128_85
.LBB128_106:                            ;   in Loop: Header=BB128_4 Depth=1
	v_add_f64_e32 v[4:5], v[12:13], v[34:35]
	v_add_f64_e32 v[2:3], v[10:11], v[36:37]
	v_lshl_add_u64 v[6:7], v[58:59], 4, s[16:17]
	global_store_b128 v[6:7], v[2:5], off
	s_wait_xcnt 0x0
	s_or_b32 exec_lo, exec_lo, s2
	s_and_saveexec_b32 s2, s5
	s_cbranch_execz .LBB128_3
.LBB128_107:                            ;   in Loop: Header=BB128_4 Depth=1
	s_delay_alu instid0(VALU_DEP_1) | instskip(NEXT) | instid1(VALU_DEP_3)
	v_add_f64_e32 v[4:5], v[16:17], v[30:31]
	v_add_f64_e32 v[2:3], v[14:15], v[32:33]
	v_lshl_add_u64 v[6:7], v[60:61], 4, s[16:17]
	global_store_b128 v[6:7], v[2:5], off
	s_branch .LBB128_3
.LBB128_108:
	s_mov_b32 s2, 0
.LBB128_109:
	s_delay_alu instid0(SALU_CYCLE_1)
	s_and_not1_b32 vcc_lo, exec_lo, s2
	s_cbranch_vccnz .LBB128_193
; %bb.110:
	v_min_i64 v[50:51], 0x10000, s[18:19]
	v_dual_mov_b32 v53, 0 :: v_dual_lshlrev_b32 v52, 2, v0
	s_mov_b32 s2, exec_lo
	s_delay_alu instid0(VALU_DEP_1)
	v_cmpx_lt_i64_e64 v[52:53], v[50:51]
	s_cbranch_execz .LBB128_193
; %bb.111:
	s_wait_kmcnt 0x0
	v_cmp_neq_f64_e64 s6, s[8:9], 1.0
	v_cmp_neq_f64_e64 s7, s[10:11], 0
	s_load_b32 s0, s[0:1], 0xf54
	v_dual_mov_b32 v1, v53 :: v_dual_lshlrev_b32 v52, 6, v0
	s_mov_b32 s3, 0
	s_delay_alu instid0(SALU_CYCLE_1) | instskip(SKIP_2) | instid1(SALU_CYCLE_1)
	s_mov_b32 s5, s3
	s_wait_kmcnt 0x0
	s_and_b32 s2, s0, 0xffff
	s_lshl_b32 s4, s2, 6
	s_or_b32 s6, s6, s7
	s_mov_b32 s7, s3
	s_branch .LBB128_114
.LBB128_112:                            ;   in Loop: Header=BB128_114 Depth=1
	s_or_b32 exec_lo, exec_lo, s0
.LBB128_113:                            ;   in Loop: Header=BB128_114 Depth=1
	v_add_f64_e32 v[12:13], v[12:13], v[56:57]
	v_add_f64_e32 v[10:11], v[10:11], v[58:59]
	;; [unrolled: 1-line block ×8, first 2 shown]
	v_add_nc_u64_e32 v[0:1], s[2:3], v[0:1]
	s_add_nc_u64 s[14:15], s[14:15], s[4:5]
	s_add_nc_u64 s[16:17], s[16:17], s[4:5]
	;; [unrolled: 1-line block ×3, first 2 shown]
	s_clause 0x3
	global_store_b128 v[54:55], v[10:13], off
	global_store_b128 v[54:55], v[6:9], off offset:16
	global_store_b128 v[54:55], v[14:17], off offset:32
	;; [unrolled: 1-line block ×3, first 2 shown]
	v_lshlrev_b64_e32 v[18:19], 2, v[0:1]
	s_delay_alu instid0(VALU_DEP_1)
	v_cmp_ge_i64_e32 vcc_lo, v[18:19], v[50:51]
	s_or_b32 s7, vcc_lo, s7
	s_wait_xcnt 0x0
	s_and_not1_b32 exec_lo, exec_lo, s7
	s_cbranch_execz .LBB128_193
.LBB128_114:                            ; =>This Inner Loop Header: Depth=1
	v_add_nc_u64_e32 v[56:57], s[14:15], v[52:53]
	v_add_nc_u64_e32 v[54:55], s[16:17], v[52:53]
	;; [unrolled: 1-line block ×3, first 2 shown]
	s_wait_xcnt 0x0
	s_mov_b32 s1, -1
	s_clause 0x1
	global_load_b128 v[46:49], v[56:57], off
	global_load_b128 v[38:41], v[56:57], off offset:16
	s_clause 0x3
	global_load_b128 v[2:5], v[54:55], off offset:48
	global_load_b128 v[14:17], v[54:55], off offset:32
	;; [unrolled: 1-line block ×3, first 2 shown]
	global_load_b128 v[10:13], v[54:55], off
	s_clause 0x3
	global_load_b128 v[18:21], v[58:59], off offset:48
	global_load_b128 v[26:29], v[58:59], off offset:32
	;; [unrolled: 1-line block ×3, first 2 shown]
	global_load_b128 v[42:45], v[58:59], off
	s_clause 0x1
	global_load_b128 v[22:25], v[56:57], off offset:48
	global_load_b128 v[30:33], v[56:57], off offset:32
                                        ; implicit-def: $vgpr58_vgpr59
	s_wait_loadcnt 0xb
	v_cmp_gt_f64_e32 vcc_lo, 0, v[46:47]
	s_wait_xcnt 0x0
	v_xor_b32_e32 v56, 0x80000000, v47
	v_mov_b32_e32 v60, v46
	v_xor_b32_e32 v57, 0x80000000, v49
	s_delay_alu instid0(VALU_DEP_3) | instskip(SKIP_1) | instid1(VALU_DEP_3)
	v_dual_mov_b32 v62, v48 :: v_dual_cndmask_b32 v61, v47, v56
	v_cmp_gt_f64_e32 vcc_lo, 0, v[48:49]
	v_cndmask_b32_e32 v63, v49, v57, vcc_lo
	s_and_b32 vcc_lo, exec_lo, s6
                                        ; implicit-def: $vgpr56_vgpr57
	s_delay_alu instid0(VALU_DEP_1)
	v_cmp_ge_f64_e64 s0, v[60:61], v[62:63]
	s_cbranch_vccz .LBB128_124
; %bb.115:                              ;   in Loop: Header=BB128_114 Depth=1
                                        ; implicit-def: $vgpr56_vgpr57
                                        ; implicit-def: $vgpr64_vgpr65
	s_and_saveexec_b32 s1, s0
	s_delay_alu instid0(SALU_CYCLE_1)
	s_xor_b32 s18, exec_lo, s1
	s_cbranch_execz .LBB128_121
; %bb.116:                              ;   in Loop: Header=BB128_114 Depth=1
	v_cmp_neq_f64_e32 vcc_lo, 0, v[46:47]
	v_cmp_neq_f64_e64 s1, 0, v[48:49]
                                        ; implicit-def: $vgpr56_vgpr57
                                        ; implicit-def: $vgpr64_vgpr65
	s_or_b32 s1, vcc_lo, s1
	s_delay_alu instid0(SALU_CYCLE_1) | instskip(NEXT) | instid1(SALU_CYCLE_1)
	s_and_saveexec_b32 s19, s1
	s_xor_b32 s1, exec_lo, s19
	s_cbranch_execz .LBB128_118
; %bb.117:                              ;   in Loop: Header=BB128_114 Depth=1
	v_div_scale_f64 v[56:57], null, v[46:47], v[46:47], v[48:49]
	v_div_scale_f64 v[66:67], vcc_lo, v[48:49], v[46:47], v[48:49]
	s_delay_alu instid0(VALU_DEP_2) | instskip(SKIP_1) | instid1(TRANS32_DEP_1)
	v_rcp_f64_e32 v[58:59], v[56:57]
	v_nop
	v_fma_f64 v[64:65], -v[56:57], v[58:59], 1.0
	s_delay_alu instid0(VALU_DEP_1) | instskip(NEXT) | instid1(VALU_DEP_1)
	v_fmac_f64_e32 v[58:59], v[58:59], v[64:65]
	v_fma_f64 v[64:65], -v[56:57], v[58:59], 1.0
	s_delay_alu instid0(VALU_DEP_1) | instskip(NEXT) | instid1(VALU_DEP_1)
	v_fmac_f64_e32 v[58:59], v[58:59], v[64:65]
	v_mul_f64_e32 v[64:65], v[66:67], v[58:59]
	s_delay_alu instid0(VALU_DEP_1) | instskip(NEXT) | instid1(VALU_DEP_1)
	v_fma_f64 v[56:57], -v[56:57], v[64:65], v[66:67]
	v_div_fmas_f64 v[56:57], v[56:57], v[58:59], v[64:65]
	s_delay_alu instid0(VALU_DEP_1) | instskip(NEXT) | instid1(VALU_DEP_1)
	v_div_fixup_f64 v[56:57], v[56:57], v[46:47], v[48:49]
	v_fma_f64 v[58:59], v[48:49], v[56:57], v[46:47]
	s_delay_alu instid0(VALU_DEP_1) | instskip(SKIP_1) | instid1(VALU_DEP_2)
	v_div_scale_f64 v[64:65], null, v[58:59], v[58:59], 1.0
	v_div_scale_f64 v[70:71], vcc_lo, 1.0, v[58:59], 1.0
	v_rcp_f64_e32 v[66:67], v[64:65]
	v_nop
	s_delay_alu instid0(TRANS32_DEP_1) | instskip(NEXT) | instid1(VALU_DEP_1)
	v_fma_f64 v[68:69], -v[64:65], v[66:67], 1.0
	v_fmac_f64_e32 v[66:67], v[66:67], v[68:69]
	s_delay_alu instid0(VALU_DEP_1) | instskip(NEXT) | instid1(VALU_DEP_1)
	v_fma_f64 v[68:69], -v[64:65], v[66:67], 1.0
	v_fmac_f64_e32 v[66:67], v[66:67], v[68:69]
	s_delay_alu instid0(VALU_DEP_1) | instskip(NEXT) | instid1(VALU_DEP_1)
	v_mul_f64_e32 v[68:69], v[70:71], v[66:67]
	v_fma_f64 v[64:65], -v[64:65], v[68:69], v[70:71]
	s_delay_alu instid0(VALU_DEP_1) | instskip(SKIP_3) | instid1(VALU_DEP_3)
	v_div_fmas_f64 v[64:65], v[64:65], v[66:67], v[68:69]
	s_wait_loadcnt 0x2
	v_fma_f64 v[66:67], v[44:45], v[56:57], v[42:43]
	v_fma_f64 v[56:57], -v[42:43], v[56:57], v[44:45]
	v_div_fixup_f64 v[58:59], v[64:65], v[58:59], 1.0
	s_delay_alu instid0(VALU_DEP_1) | instskip(NEXT) | instid1(VALU_DEP_3)
	v_mul_f64_e32 v[64:65], v[66:67], v[58:59]
	v_mul_f64_e32 v[56:57], v[56:57], v[58:59]
.LBB128_118:                            ;   in Loop: Header=BB128_114 Depth=1
	s_and_not1_saveexec_b32 s19, s1
	s_cbranch_execz .LBB128_120
; %bb.119:                              ;   in Loop: Header=BB128_114 Depth=1
	s_wait_loadcnt 0x2
	v_div_scale_f64 v[56:57], null, v[60:61], v[60:61], v[42:43]
	v_div_scale_f64 v[58:59], null, v[62:63], v[62:63], v[44:45]
	v_div_scale_f64 v[72:73], vcc_lo, v[42:43], v[60:61], v[42:43]
	s_delay_alu instid0(VALU_DEP_3) | instskip(NEXT) | instid1(VALU_DEP_2)
	v_rcp_f64_e32 v[64:65], v[56:57]
	v_rcp_f64_e32 v[66:67], v[58:59]
	s_delay_alu instid0(TRANS32_DEP_2) | instskip(NEXT) | instid1(TRANS32_DEP_1)
	v_fma_f64 v[68:69], -v[56:57], v[64:65], 1.0
	v_fma_f64 v[70:71], -v[58:59], v[66:67], 1.0
	s_delay_alu instid0(VALU_DEP_2) | instskip(NEXT) | instid1(VALU_DEP_2)
	v_fmac_f64_e32 v[64:65], v[64:65], v[68:69]
	v_fmac_f64_e32 v[66:67], v[66:67], v[70:71]
	s_delay_alu instid0(VALU_DEP_2) | instskip(NEXT) | instid1(VALU_DEP_2)
	v_fma_f64 v[68:69], -v[56:57], v[64:65], 1.0
	v_fma_f64 v[70:71], -v[58:59], v[66:67], 1.0
	s_delay_alu instid0(VALU_DEP_2) | instskip(SKIP_1) | instid1(VALU_DEP_3)
	v_fmac_f64_e32 v[64:65], v[64:65], v[68:69]
	v_div_scale_f64 v[68:69], s1, v[44:45], v[62:63], v[44:45]
	v_fmac_f64_e32 v[66:67], v[66:67], v[70:71]
	s_delay_alu instid0(VALU_DEP_3) | instskip(NEXT) | instid1(VALU_DEP_2)
	v_mul_f64_e32 v[70:71], v[72:73], v[64:65]
	v_mul_f64_e32 v[74:75], v[68:69], v[66:67]
	s_delay_alu instid0(VALU_DEP_2) | instskip(NEXT) | instid1(VALU_DEP_2)
	v_fma_f64 v[56:57], -v[56:57], v[70:71], v[72:73]
	v_fma_f64 v[58:59], -v[58:59], v[74:75], v[68:69]
	s_delay_alu instid0(VALU_DEP_2) | instskip(SKIP_1) | instid1(VALU_DEP_2)
	v_div_fmas_f64 v[56:57], v[56:57], v[64:65], v[70:71]
	s_mov_b32 vcc_lo, s1
	v_div_fmas_f64 v[58:59], v[58:59], v[66:67], v[74:75]
	s_delay_alu instid0(VALU_DEP_2) | instskip(NEXT) | instid1(VALU_DEP_2)
	v_div_fixup_f64 v[64:65], v[56:57], v[60:61], v[42:43]
	v_div_fixup_f64 v[56:57], v[58:59], v[62:63], v[44:45]
.LBB128_120:                            ;   in Loop: Header=BB128_114 Depth=1
	s_or_b32 exec_lo, exec_lo, s19
.LBB128_121:                            ;   in Loop: Header=BB128_114 Depth=1
	s_and_not1_saveexec_b32 s1, s18
	s_cbranch_execz .LBB128_123
; %bb.122:                              ;   in Loop: Header=BB128_114 Depth=1
	v_div_scale_f64 v[56:57], null, v[48:49], v[48:49], v[46:47]
	v_div_scale_f64 v[66:67], vcc_lo, v[46:47], v[48:49], v[46:47]
	s_delay_alu instid0(VALU_DEP_2) | instskip(SKIP_1) | instid1(TRANS32_DEP_1)
	v_rcp_f64_e32 v[58:59], v[56:57]
	v_nop
	v_fma_f64 v[64:65], -v[56:57], v[58:59], 1.0
	s_delay_alu instid0(VALU_DEP_1) | instskip(NEXT) | instid1(VALU_DEP_1)
	v_fmac_f64_e32 v[58:59], v[58:59], v[64:65]
	v_fma_f64 v[64:65], -v[56:57], v[58:59], 1.0
	s_delay_alu instid0(VALU_DEP_1) | instskip(NEXT) | instid1(VALU_DEP_1)
	v_fmac_f64_e32 v[58:59], v[58:59], v[64:65]
	v_mul_f64_e32 v[64:65], v[66:67], v[58:59]
	s_delay_alu instid0(VALU_DEP_1) | instskip(NEXT) | instid1(VALU_DEP_1)
	v_fma_f64 v[56:57], -v[56:57], v[64:65], v[66:67]
	v_div_fmas_f64 v[56:57], v[56:57], v[58:59], v[64:65]
	s_delay_alu instid0(VALU_DEP_1) | instskip(NEXT) | instid1(VALU_DEP_1)
	v_div_fixup_f64 v[56:57], v[56:57], v[48:49], v[46:47]
	v_fma_f64 v[58:59], v[46:47], v[56:57], v[48:49]
	s_delay_alu instid0(VALU_DEP_1) | instskip(SKIP_1) | instid1(VALU_DEP_2)
	v_div_scale_f64 v[64:65], null, v[58:59], v[58:59], 1.0
	v_div_scale_f64 v[70:71], vcc_lo, 1.0, v[58:59], 1.0
	v_rcp_f64_e32 v[66:67], v[64:65]
	v_nop
	s_delay_alu instid0(TRANS32_DEP_1) | instskip(NEXT) | instid1(VALU_DEP_1)
	v_fma_f64 v[68:69], -v[64:65], v[66:67], 1.0
	v_fmac_f64_e32 v[66:67], v[66:67], v[68:69]
	s_delay_alu instid0(VALU_DEP_1) | instskip(NEXT) | instid1(VALU_DEP_1)
	v_fma_f64 v[68:69], -v[64:65], v[66:67], 1.0
	v_fmac_f64_e32 v[66:67], v[66:67], v[68:69]
	s_delay_alu instid0(VALU_DEP_1) | instskip(NEXT) | instid1(VALU_DEP_1)
	v_mul_f64_e32 v[68:69], v[70:71], v[66:67]
	v_fma_f64 v[64:65], -v[64:65], v[68:69], v[70:71]
	s_delay_alu instid0(VALU_DEP_1) | instskip(SKIP_3) | instid1(VALU_DEP_3)
	v_div_fmas_f64 v[64:65], v[64:65], v[66:67], v[68:69]
	s_wait_loadcnt 0x2
	v_fma_f64 v[66:67], v[42:43], v[56:57], v[44:45]
	v_fma_f64 v[56:57], v[44:45], v[56:57], -v[42:43]
	v_div_fixup_f64 v[58:59], v[64:65], v[58:59], 1.0
	s_delay_alu instid0(VALU_DEP_1) | instskip(NEXT) | instid1(VALU_DEP_3)
	v_mul_f64_e32 v[64:65], v[66:67], v[58:59]
	v_mul_f64_e32 v[56:57], v[56:57], v[58:59]
.LBB128_123:                            ;   in Loop: Header=BB128_114 Depth=1
	s_or_b32 exec_lo, exec_lo, s1
	s_delay_alu instid0(VALU_DEP_1) | instskip(SKIP_2) | instid1(VALU_DEP_2)
	v_mul_f64_e32 v[58:59], s[10:11], v[56:57]
	v_mul_f64_e32 v[56:57], s[8:9], v[56:57]
	s_mov_b32 s1, 0
	v_fma_f64 v[58:59], s[8:9], v[64:65], -v[58:59]
	s_delay_alu instid0(VALU_DEP_2)
	v_fmac_f64_e32 v[56:57], s[10:11], v[64:65]
.LBB128_124:                            ;   in Loop: Header=BB128_114 Depth=1
	s_and_b32 vcc_lo, exec_lo, s1
	s_cbranch_vccz .LBB128_134
; %bb.125:                              ;   in Loop: Header=BB128_114 Depth=1
                                        ; implicit-def: $vgpr56_vgpr57
                                        ; implicit-def: $vgpr58_vgpr59
	s_and_saveexec_b32 s1, s0
	s_delay_alu instid0(SALU_CYCLE_1)
	s_xor_b32 s1, exec_lo, s1
	s_cbranch_execz .LBB128_131
; %bb.126:                              ;   in Loop: Header=BB128_114 Depth=1
	v_cmp_neq_f64_e32 vcc_lo, 0, v[46:47]
	v_cmp_neq_f64_e64 s0, 0, v[48:49]
                                        ; implicit-def: $vgpr56_vgpr57
                                        ; implicit-def: $vgpr58_vgpr59
	s_or_b32 s0, vcc_lo, s0
	s_delay_alu instid0(SALU_CYCLE_1) | instskip(NEXT) | instid1(SALU_CYCLE_1)
	s_and_saveexec_b32 s18, s0
	s_xor_b32 s0, exec_lo, s18
	s_cbranch_execz .LBB128_128
; %bb.127:                              ;   in Loop: Header=BB128_114 Depth=1
	v_div_scale_f64 v[56:57], null, v[46:47], v[46:47], v[48:49]
	v_div_scale_f64 v[62:63], vcc_lo, v[48:49], v[46:47], v[48:49]
	s_delay_alu instid0(VALU_DEP_2) | instskip(SKIP_1) | instid1(TRANS32_DEP_1)
	v_rcp_f64_e32 v[58:59], v[56:57]
	v_nop
	v_fma_f64 v[60:61], -v[56:57], v[58:59], 1.0
	s_delay_alu instid0(VALU_DEP_1) | instskip(NEXT) | instid1(VALU_DEP_1)
	v_fmac_f64_e32 v[58:59], v[58:59], v[60:61]
	v_fma_f64 v[60:61], -v[56:57], v[58:59], 1.0
	s_delay_alu instid0(VALU_DEP_1) | instskip(NEXT) | instid1(VALU_DEP_1)
	v_fmac_f64_e32 v[58:59], v[58:59], v[60:61]
	v_mul_f64_e32 v[60:61], v[62:63], v[58:59]
	s_delay_alu instid0(VALU_DEP_1) | instskip(NEXT) | instid1(VALU_DEP_1)
	v_fma_f64 v[56:57], -v[56:57], v[60:61], v[62:63]
	v_div_fmas_f64 v[56:57], v[56:57], v[58:59], v[60:61]
	s_delay_alu instid0(VALU_DEP_1) | instskip(NEXT) | instid1(VALU_DEP_1)
	v_div_fixup_f64 v[56:57], v[56:57], v[46:47], v[48:49]
	v_fmac_f64_e32 v[46:47], v[48:49], v[56:57]
	s_delay_alu instid0(VALU_DEP_1) | instskip(SKIP_1) | instid1(VALU_DEP_2)
	v_div_scale_f64 v[48:49], null, v[46:47], v[46:47], 1.0
	v_div_scale_f64 v[62:63], vcc_lo, 1.0, v[46:47], 1.0
	v_rcp_f64_e32 v[58:59], v[48:49]
	v_nop
	s_delay_alu instid0(TRANS32_DEP_1) | instskip(NEXT) | instid1(VALU_DEP_1)
	v_fma_f64 v[60:61], -v[48:49], v[58:59], 1.0
	v_fmac_f64_e32 v[58:59], v[58:59], v[60:61]
	s_delay_alu instid0(VALU_DEP_1) | instskip(NEXT) | instid1(VALU_DEP_1)
	v_fma_f64 v[60:61], -v[48:49], v[58:59], 1.0
	v_fmac_f64_e32 v[58:59], v[58:59], v[60:61]
	s_delay_alu instid0(VALU_DEP_1) | instskip(NEXT) | instid1(VALU_DEP_1)
	v_mul_f64_e32 v[60:61], v[62:63], v[58:59]
	v_fma_f64 v[48:49], -v[48:49], v[60:61], v[62:63]
                                        ; implicit-def: $vgpr62_vgpr63
	s_delay_alu instid0(VALU_DEP_1) | instskip(SKIP_3) | instid1(VALU_DEP_3)
	v_div_fmas_f64 v[48:49], v[48:49], v[58:59], v[60:61]
	s_wait_loadcnt 0x2
	v_fma_f64 v[58:59], v[44:45], v[56:57], v[42:43]
	v_fma_f64 v[42:43], -v[42:43], v[56:57], v[44:45]
                                        ; implicit-def: $vgpr60_vgpr61
	v_div_fixup_f64 v[46:47], v[48:49], v[46:47], 1.0
	s_delay_alu instid0(VALU_DEP_1) | instskip(NEXT) | instid1(VALU_DEP_3)
	v_mul_f64_e32 v[58:59], v[58:59], v[46:47]
	v_mul_f64_e32 v[56:57], v[42:43], v[46:47]
                                        ; implicit-def: $vgpr42_vgpr43
.LBB128_128:                            ;   in Loop: Header=BB128_114 Depth=1
	s_and_not1_saveexec_b32 s18, s0
	s_cbranch_execz .LBB128_130
; %bb.129:                              ;   in Loop: Header=BB128_114 Depth=1
	s_wait_loadcnt 0x2
	v_div_scale_f64 v[46:47], null, v[60:61], v[60:61], v[42:43]
	v_div_scale_f64 v[48:49], null, v[62:63], v[62:63], v[44:45]
	v_div_scale_f64 v[68:69], vcc_lo, v[42:43], v[60:61], v[42:43]
	s_delay_alu instid0(VALU_DEP_3) | instskip(NEXT) | instid1(VALU_DEP_2)
	v_rcp_f64_e32 v[56:57], v[46:47]
	v_rcp_f64_e32 v[58:59], v[48:49]
	s_delay_alu instid0(TRANS32_DEP_2) | instskip(NEXT) | instid1(TRANS32_DEP_1)
	v_fma_f64 v[64:65], -v[46:47], v[56:57], 1.0
	v_fma_f64 v[66:67], -v[48:49], v[58:59], 1.0
	s_delay_alu instid0(VALU_DEP_2) | instskip(NEXT) | instid1(VALU_DEP_2)
	v_fmac_f64_e32 v[56:57], v[56:57], v[64:65]
	v_fmac_f64_e32 v[58:59], v[58:59], v[66:67]
	s_delay_alu instid0(VALU_DEP_2) | instskip(NEXT) | instid1(VALU_DEP_2)
	v_fma_f64 v[64:65], -v[46:47], v[56:57], 1.0
	v_fma_f64 v[66:67], -v[48:49], v[58:59], 1.0
	s_delay_alu instid0(VALU_DEP_2) | instskip(SKIP_1) | instid1(VALU_DEP_3)
	v_fmac_f64_e32 v[56:57], v[56:57], v[64:65]
	v_div_scale_f64 v[64:65], s0, v[44:45], v[62:63], v[44:45]
	v_fmac_f64_e32 v[58:59], v[58:59], v[66:67]
	s_delay_alu instid0(VALU_DEP_3) | instskip(NEXT) | instid1(VALU_DEP_2)
	v_mul_f64_e32 v[66:67], v[68:69], v[56:57]
	v_mul_f64_e32 v[70:71], v[64:65], v[58:59]
	s_delay_alu instid0(VALU_DEP_2) | instskip(NEXT) | instid1(VALU_DEP_2)
	v_fma_f64 v[46:47], -v[46:47], v[66:67], v[68:69]
	v_fma_f64 v[48:49], -v[48:49], v[70:71], v[64:65]
	s_delay_alu instid0(VALU_DEP_2) | instskip(SKIP_1) | instid1(VALU_DEP_2)
	v_div_fmas_f64 v[46:47], v[46:47], v[56:57], v[66:67]
	s_mov_b32 vcc_lo, s0
	v_div_fmas_f64 v[48:49], v[48:49], v[58:59], v[70:71]
	s_delay_alu instid0(VALU_DEP_2) | instskip(NEXT) | instid1(VALU_DEP_2)
	v_div_fixup_f64 v[58:59], v[46:47], v[60:61], v[42:43]
	v_div_fixup_f64 v[56:57], v[48:49], v[62:63], v[44:45]
.LBB128_130:                            ;   in Loop: Header=BB128_114 Depth=1
	s_or_b32 exec_lo, exec_lo, s18
                                        ; implicit-def: $vgpr48_vgpr49
                                        ; implicit-def: $vgpr42_vgpr43
.LBB128_131:                            ;   in Loop: Header=BB128_114 Depth=1
	s_and_not1_saveexec_b32 s0, s1
	s_cbranch_execz .LBB128_133
; %bb.132:                              ;   in Loop: Header=BB128_114 Depth=1
	v_div_scale_f64 v[56:57], null, v[48:49], v[48:49], v[46:47]
	v_div_scale_f64 v[62:63], vcc_lo, v[46:47], v[48:49], v[46:47]
	s_delay_alu instid0(VALU_DEP_2) | instskip(SKIP_1) | instid1(TRANS32_DEP_1)
	v_rcp_f64_e32 v[58:59], v[56:57]
	v_nop
	v_fma_f64 v[60:61], -v[56:57], v[58:59], 1.0
	s_delay_alu instid0(VALU_DEP_1) | instskip(NEXT) | instid1(VALU_DEP_1)
	v_fmac_f64_e32 v[58:59], v[58:59], v[60:61]
	v_fma_f64 v[60:61], -v[56:57], v[58:59], 1.0
	s_delay_alu instid0(VALU_DEP_1) | instskip(NEXT) | instid1(VALU_DEP_1)
	v_fmac_f64_e32 v[58:59], v[58:59], v[60:61]
	v_mul_f64_e32 v[60:61], v[62:63], v[58:59]
	s_delay_alu instid0(VALU_DEP_1) | instskip(NEXT) | instid1(VALU_DEP_1)
	v_fma_f64 v[56:57], -v[56:57], v[60:61], v[62:63]
	v_div_fmas_f64 v[56:57], v[56:57], v[58:59], v[60:61]
	s_delay_alu instid0(VALU_DEP_1) | instskip(NEXT) | instid1(VALU_DEP_1)
	v_div_fixup_f64 v[56:57], v[56:57], v[48:49], v[46:47]
	v_fmac_f64_e32 v[48:49], v[46:47], v[56:57]
	s_delay_alu instid0(VALU_DEP_1) | instskip(SKIP_1) | instid1(VALU_DEP_2)
	v_div_scale_f64 v[46:47], null, v[48:49], v[48:49], 1.0
	v_div_scale_f64 v[62:63], vcc_lo, 1.0, v[48:49], 1.0
	v_rcp_f64_e32 v[58:59], v[46:47]
	v_nop
	s_delay_alu instid0(TRANS32_DEP_1) | instskip(NEXT) | instid1(VALU_DEP_1)
	v_fma_f64 v[60:61], -v[46:47], v[58:59], 1.0
	v_fmac_f64_e32 v[58:59], v[58:59], v[60:61]
	s_delay_alu instid0(VALU_DEP_1) | instskip(NEXT) | instid1(VALU_DEP_1)
	v_fma_f64 v[60:61], -v[46:47], v[58:59], 1.0
	v_fmac_f64_e32 v[58:59], v[58:59], v[60:61]
	s_delay_alu instid0(VALU_DEP_1) | instskip(NEXT) | instid1(VALU_DEP_1)
	v_mul_f64_e32 v[60:61], v[62:63], v[58:59]
	v_fma_f64 v[46:47], -v[46:47], v[60:61], v[62:63]
	s_delay_alu instid0(VALU_DEP_1) | instskip(SKIP_3) | instid1(VALU_DEP_3)
	v_div_fmas_f64 v[46:47], v[46:47], v[58:59], v[60:61]
	s_wait_loadcnt 0x2
	v_fma_f64 v[58:59], v[42:43], v[56:57], v[44:45]
	v_fma_f64 v[42:43], v[44:45], v[56:57], -v[42:43]
	v_div_fixup_f64 v[46:47], v[46:47], v[48:49], 1.0
	s_delay_alu instid0(VALU_DEP_1) | instskip(NEXT) | instid1(VALU_DEP_3)
	v_mul_f64_e32 v[58:59], v[58:59], v[46:47]
	v_mul_f64_e32 v[56:57], v[42:43], v[46:47]
.LBB128_133:                            ;   in Loop: Header=BB128_114 Depth=1
	s_or_b32 exec_lo, exec_lo, s0
.LBB128_134:                            ;   in Loop: Header=BB128_114 Depth=1
	s_wait_loadcnt 0xa
	v_cmp_gt_f64_e32 vcc_lo, 0, v[38:39]
	s_wait_loadcnt 0x2
	v_xor_b32_e32 v42, 0x80000000, v39
	v_mov_b32_e32 v46, v38
	v_xor_b32_e32 v43, 0x80000000, v41
	s_mov_b32 s1, -1
                                        ; implicit-def: $vgpr44_vgpr45
	s_delay_alu instid0(VALU_DEP_3) | instskip(SKIP_1) | instid1(VALU_DEP_3)
	v_dual_mov_b32 v48, v40 :: v_dual_cndmask_b32 v47, v39, v42
	v_cmp_gt_f64_e32 vcc_lo, 0, v[40:41]
	v_cndmask_b32_e32 v49, v41, v43, vcc_lo
	s_and_not1_b32 vcc_lo, exec_lo, s6
                                        ; implicit-def: $vgpr42_vgpr43
	s_delay_alu instid0(VALU_DEP_1)
	v_cmp_ge_f64_e64 s0, v[46:47], v[48:49]
	s_cbranch_vccnz .LBB128_144
; %bb.135:                              ;   in Loop: Header=BB128_114 Depth=1
                                        ; implicit-def: $vgpr42_vgpr43
                                        ; implicit-def: $vgpr60_vgpr61
	s_and_saveexec_b32 s1, s0
	s_delay_alu instid0(SALU_CYCLE_1)
	s_xor_b32 s18, exec_lo, s1
	s_cbranch_execz .LBB128_141
; %bb.136:                              ;   in Loop: Header=BB128_114 Depth=1
	v_cmp_neq_f64_e32 vcc_lo, 0, v[38:39]
	v_cmp_neq_f64_e64 s1, 0, v[40:41]
                                        ; implicit-def: $vgpr42_vgpr43
                                        ; implicit-def: $vgpr60_vgpr61
	s_or_b32 s1, vcc_lo, s1
	s_delay_alu instid0(SALU_CYCLE_1) | instskip(NEXT) | instid1(SALU_CYCLE_1)
	s_and_saveexec_b32 s19, s1
	s_xor_b32 s1, exec_lo, s19
	s_cbranch_execz .LBB128_138
; %bb.137:                              ;   in Loop: Header=BB128_114 Depth=1
	v_div_scale_f64 v[42:43], null, v[38:39], v[38:39], v[40:41]
	v_div_scale_f64 v[62:63], vcc_lo, v[40:41], v[38:39], v[40:41]
	s_delay_alu instid0(VALU_DEP_2) | instskip(SKIP_1) | instid1(TRANS32_DEP_1)
	v_rcp_f64_e32 v[44:45], v[42:43]
	v_nop
	v_fma_f64 v[60:61], -v[42:43], v[44:45], 1.0
	s_delay_alu instid0(VALU_DEP_1) | instskip(NEXT) | instid1(VALU_DEP_1)
	v_fmac_f64_e32 v[44:45], v[44:45], v[60:61]
	v_fma_f64 v[60:61], -v[42:43], v[44:45], 1.0
	s_delay_alu instid0(VALU_DEP_1) | instskip(NEXT) | instid1(VALU_DEP_1)
	v_fmac_f64_e32 v[44:45], v[44:45], v[60:61]
	v_mul_f64_e32 v[60:61], v[62:63], v[44:45]
	s_delay_alu instid0(VALU_DEP_1) | instskip(NEXT) | instid1(VALU_DEP_1)
	v_fma_f64 v[42:43], -v[42:43], v[60:61], v[62:63]
	v_div_fmas_f64 v[42:43], v[42:43], v[44:45], v[60:61]
	s_delay_alu instid0(VALU_DEP_1) | instskip(NEXT) | instid1(VALU_DEP_1)
	v_div_fixup_f64 v[42:43], v[42:43], v[38:39], v[40:41]
	v_fma_f64 v[44:45], v[40:41], v[42:43], v[38:39]
	s_delay_alu instid0(VALU_DEP_1) | instskip(SKIP_1) | instid1(VALU_DEP_2)
	v_div_scale_f64 v[60:61], null, v[44:45], v[44:45], 1.0
	v_div_scale_f64 v[66:67], vcc_lo, 1.0, v[44:45], 1.0
	v_rcp_f64_e32 v[62:63], v[60:61]
	v_nop
	s_delay_alu instid0(TRANS32_DEP_1) | instskip(NEXT) | instid1(VALU_DEP_1)
	v_fma_f64 v[64:65], -v[60:61], v[62:63], 1.0
	v_fmac_f64_e32 v[62:63], v[62:63], v[64:65]
	s_delay_alu instid0(VALU_DEP_1) | instskip(NEXT) | instid1(VALU_DEP_1)
	v_fma_f64 v[64:65], -v[60:61], v[62:63], 1.0
	v_fmac_f64_e32 v[62:63], v[62:63], v[64:65]
	s_delay_alu instid0(VALU_DEP_1) | instskip(NEXT) | instid1(VALU_DEP_1)
	v_mul_f64_e32 v[64:65], v[66:67], v[62:63]
	v_fma_f64 v[60:61], -v[60:61], v[64:65], v[66:67]
	s_delay_alu instid0(VALU_DEP_1) | instskip(SKIP_2) | instid1(VALU_DEP_3)
	v_div_fmas_f64 v[60:61], v[60:61], v[62:63], v[64:65]
	v_fma_f64 v[62:63], v[36:37], v[42:43], v[34:35]
	v_fma_f64 v[42:43], -v[34:35], v[42:43], v[36:37]
	v_div_fixup_f64 v[44:45], v[60:61], v[44:45], 1.0
	s_delay_alu instid0(VALU_DEP_1) | instskip(NEXT) | instid1(VALU_DEP_3)
	v_mul_f64_e32 v[60:61], v[62:63], v[44:45]
	v_mul_f64_e32 v[42:43], v[42:43], v[44:45]
.LBB128_138:                            ;   in Loop: Header=BB128_114 Depth=1
	s_and_not1_saveexec_b32 s19, s1
	s_cbranch_execz .LBB128_140
; %bb.139:                              ;   in Loop: Header=BB128_114 Depth=1
	v_div_scale_f64 v[42:43], null, v[46:47], v[46:47], v[34:35]
	v_div_scale_f64 v[44:45], null, v[48:49], v[48:49], v[36:37]
	v_div_scale_f64 v[68:69], vcc_lo, v[34:35], v[46:47], v[34:35]
	s_delay_alu instid0(VALU_DEP_3) | instskip(NEXT) | instid1(VALU_DEP_2)
	v_rcp_f64_e32 v[60:61], v[42:43]
	v_rcp_f64_e32 v[62:63], v[44:45]
	s_delay_alu instid0(TRANS32_DEP_2) | instskip(NEXT) | instid1(TRANS32_DEP_1)
	v_fma_f64 v[64:65], -v[42:43], v[60:61], 1.0
	v_fma_f64 v[66:67], -v[44:45], v[62:63], 1.0
	s_delay_alu instid0(VALU_DEP_2) | instskip(NEXT) | instid1(VALU_DEP_2)
	v_fmac_f64_e32 v[60:61], v[60:61], v[64:65]
	v_fmac_f64_e32 v[62:63], v[62:63], v[66:67]
	s_delay_alu instid0(VALU_DEP_2) | instskip(NEXT) | instid1(VALU_DEP_2)
	v_fma_f64 v[64:65], -v[42:43], v[60:61], 1.0
	v_fma_f64 v[66:67], -v[44:45], v[62:63], 1.0
	s_delay_alu instid0(VALU_DEP_2) | instskip(SKIP_1) | instid1(VALU_DEP_3)
	v_fmac_f64_e32 v[60:61], v[60:61], v[64:65]
	v_div_scale_f64 v[64:65], s1, v[36:37], v[48:49], v[36:37]
	v_fmac_f64_e32 v[62:63], v[62:63], v[66:67]
	s_delay_alu instid0(VALU_DEP_3) | instskip(NEXT) | instid1(VALU_DEP_2)
	v_mul_f64_e32 v[66:67], v[68:69], v[60:61]
	v_mul_f64_e32 v[70:71], v[64:65], v[62:63]
	s_delay_alu instid0(VALU_DEP_2) | instskip(NEXT) | instid1(VALU_DEP_2)
	v_fma_f64 v[42:43], -v[42:43], v[66:67], v[68:69]
	v_fma_f64 v[44:45], -v[44:45], v[70:71], v[64:65]
	s_delay_alu instid0(VALU_DEP_2) | instskip(SKIP_1) | instid1(VALU_DEP_2)
	v_div_fmas_f64 v[42:43], v[42:43], v[60:61], v[66:67]
	s_mov_b32 vcc_lo, s1
	v_div_fmas_f64 v[44:45], v[44:45], v[62:63], v[70:71]
	s_delay_alu instid0(VALU_DEP_2) | instskip(NEXT) | instid1(VALU_DEP_2)
	v_div_fixup_f64 v[60:61], v[42:43], v[46:47], v[34:35]
	v_div_fixup_f64 v[42:43], v[44:45], v[48:49], v[36:37]
.LBB128_140:                            ;   in Loop: Header=BB128_114 Depth=1
	s_or_b32 exec_lo, exec_lo, s19
.LBB128_141:                            ;   in Loop: Header=BB128_114 Depth=1
	s_and_not1_saveexec_b32 s1, s18
	s_cbranch_execz .LBB128_143
; %bb.142:                              ;   in Loop: Header=BB128_114 Depth=1
	v_div_scale_f64 v[42:43], null, v[40:41], v[40:41], v[38:39]
	v_div_scale_f64 v[62:63], vcc_lo, v[38:39], v[40:41], v[38:39]
	s_delay_alu instid0(VALU_DEP_2) | instskip(SKIP_1) | instid1(TRANS32_DEP_1)
	v_rcp_f64_e32 v[44:45], v[42:43]
	v_nop
	v_fma_f64 v[60:61], -v[42:43], v[44:45], 1.0
	s_delay_alu instid0(VALU_DEP_1) | instskip(NEXT) | instid1(VALU_DEP_1)
	v_fmac_f64_e32 v[44:45], v[44:45], v[60:61]
	v_fma_f64 v[60:61], -v[42:43], v[44:45], 1.0
	s_delay_alu instid0(VALU_DEP_1) | instskip(NEXT) | instid1(VALU_DEP_1)
	v_fmac_f64_e32 v[44:45], v[44:45], v[60:61]
	v_mul_f64_e32 v[60:61], v[62:63], v[44:45]
	s_delay_alu instid0(VALU_DEP_1) | instskip(NEXT) | instid1(VALU_DEP_1)
	v_fma_f64 v[42:43], -v[42:43], v[60:61], v[62:63]
	v_div_fmas_f64 v[42:43], v[42:43], v[44:45], v[60:61]
	s_delay_alu instid0(VALU_DEP_1) | instskip(NEXT) | instid1(VALU_DEP_1)
	v_div_fixup_f64 v[42:43], v[42:43], v[40:41], v[38:39]
	v_fma_f64 v[44:45], v[38:39], v[42:43], v[40:41]
	s_delay_alu instid0(VALU_DEP_1) | instskip(SKIP_1) | instid1(VALU_DEP_2)
	v_div_scale_f64 v[60:61], null, v[44:45], v[44:45], 1.0
	v_div_scale_f64 v[66:67], vcc_lo, 1.0, v[44:45], 1.0
	v_rcp_f64_e32 v[62:63], v[60:61]
	v_nop
	s_delay_alu instid0(TRANS32_DEP_1) | instskip(NEXT) | instid1(VALU_DEP_1)
	v_fma_f64 v[64:65], -v[60:61], v[62:63], 1.0
	v_fmac_f64_e32 v[62:63], v[62:63], v[64:65]
	s_delay_alu instid0(VALU_DEP_1) | instskip(NEXT) | instid1(VALU_DEP_1)
	v_fma_f64 v[64:65], -v[60:61], v[62:63], 1.0
	v_fmac_f64_e32 v[62:63], v[62:63], v[64:65]
	s_delay_alu instid0(VALU_DEP_1) | instskip(NEXT) | instid1(VALU_DEP_1)
	v_mul_f64_e32 v[64:65], v[66:67], v[62:63]
	v_fma_f64 v[60:61], -v[60:61], v[64:65], v[66:67]
	s_delay_alu instid0(VALU_DEP_1) | instskip(SKIP_2) | instid1(VALU_DEP_3)
	v_div_fmas_f64 v[60:61], v[60:61], v[62:63], v[64:65]
	v_fma_f64 v[62:63], v[34:35], v[42:43], v[36:37]
	v_fma_f64 v[42:43], v[36:37], v[42:43], -v[34:35]
	v_div_fixup_f64 v[44:45], v[60:61], v[44:45], 1.0
	s_delay_alu instid0(VALU_DEP_1) | instskip(NEXT) | instid1(VALU_DEP_3)
	v_mul_f64_e32 v[60:61], v[62:63], v[44:45]
	v_mul_f64_e32 v[42:43], v[42:43], v[44:45]
.LBB128_143:                            ;   in Loop: Header=BB128_114 Depth=1
	s_or_b32 exec_lo, exec_lo, s1
	s_delay_alu instid0(VALU_DEP_1) | instskip(SKIP_2) | instid1(VALU_DEP_2)
	v_mul_f64_e32 v[62:63], s[10:11], v[42:43]
	v_mul_f64_e32 v[44:45], s[8:9], v[42:43]
	s_mov_b32 s1, 0
	v_fma_f64 v[42:43], s[8:9], v[60:61], -v[62:63]
	s_delay_alu instid0(VALU_DEP_2)
	v_fmac_f64_e32 v[44:45], s[10:11], v[60:61]
.LBB128_144:                            ;   in Loop: Header=BB128_114 Depth=1
	s_and_b32 vcc_lo, exec_lo, s1
	s_cbranch_vccz .LBB128_154
; %bb.145:                              ;   in Loop: Header=BB128_114 Depth=1
                                        ; implicit-def: $vgpr44_vgpr45
                                        ; implicit-def: $vgpr42_vgpr43
	s_and_saveexec_b32 s1, s0
	s_delay_alu instid0(SALU_CYCLE_1)
	s_xor_b32 s1, exec_lo, s1
	s_cbranch_execz .LBB128_151
; %bb.146:                              ;   in Loop: Header=BB128_114 Depth=1
	v_cmp_neq_f64_e32 vcc_lo, 0, v[38:39]
	v_cmp_neq_f64_e64 s0, 0, v[40:41]
                                        ; implicit-def: $vgpr44_vgpr45
                                        ; implicit-def: $vgpr42_vgpr43
	s_or_b32 s0, vcc_lo, s0
	s_delay_alu instid0(SALU_CYCLE_1) | instskip(NEXT) | instid1(SALU_CYCLE_1)
	s_and_saveexec_b32 s18, s0
	s_xor_b32 s0, exec_lo, s18
	s_cbranch_execz .LBB128_148
; %bb.147:                              ;   in Loop: Header=BB128_114 Depth=1
	v_div_scale_f64 v[42:43], null, v[38:39], v[38:39], v[40:41]
	v_div_scale_f64 v[48:49], vcc_lo, v[40:41], v[38:39], v[40:41]
	s_delay_alu instid0(VALU_DEP_2) | instskip(SKIP_1) | instid1(TRANS32_DEP_1)
	v_rcp_f64_e32 v[44:45], v[42:43]
	v_nop
	v_fma_f64 v[46:47], -v[42:43], v[44:45], 1.0
	s_delay_alu instid0(VALU_DEP_1) | instskip(NEXT) | instid1(VALU_DEP_1)
	v_fmac_f64_e32 v[44:45], v[44:45], v[46:47]
	v_fma_f64 v[46:47], -v[42:43], v[44:45], 1.0
	s_delay_alu instid0(VALU_DEP_1) | instskip(NEXT) | instid1(VALU_DEP_1)
	v_fmac_f64_e32 v[44:45], v[44:45], v[46:47]
	v_mul_f64_e32 v[46:47], v[48:49], v[44:45]
	s_delay_alu instid0(VALU_DEP_1) | instskip(NEXT) | instid1(VALU_DEP_1)
	v_fma_f64 v[42:43], -v[42:43], v[46:47], v[48:49]
	v_div_fmas_f64 v[42:43], v[42:43], v[44:45], v[46:47]
	s_delay_alu instid0(VALU_DEP_1) | instskip(NEXT) | instid1(VALU_DEP_1)
	v_div_fixup_f64 v[42:43], v[42:43], v[38:39], v[40:41]
	v_fmac_f64_e32 v[38:39], v[40:41], v[42:43]
	s_delay_alu instid0(VALU_DEP_1) | instskip(SKIP_1) | instid1(VALU_DEP_2)
	v_div_scale_f64 v[40:41], null, v[38:39], v[38:39], 1.0
	v_div_scale_f64 v[48:49], vcc_lo, 1.0, v[38:39], 1.0
	v_rcp_f64_e32 v[44:45], v[40:41]
	v_nop
	s_delay_alu instid0(TRANS32_DEP_1) | instskip(NEXT) | instid1(VALU_DEP_1)
	v_fma_f64 v[46:47], -v[40:41], v[44:45], 1.0
	v_fmac_f64_e32 v[44:45], v[44:45], v[46:47]
	s_delay_alu instid0(VALU_DEP_1) | instskip(NEXT) | instid1(VALU_DEP_1)
	v_fma_f64 v[46:47], -v[40:41], v[44:45], 1.0
	v_fmac_f64_e32 v[44:45], v[44:45], v[46:47]
	s_delay_alu instid0(VALU_DEP_1) | instskip(NEXT) | instid1(VALU_DEP_1)
	v_mul_f64_e32 v[46:47], v[48:49], v[44:45]
	v_fma_f64 v[40:41], -v[40:41], v[46:47], v[48:49]
                                        ; implicit-def: $vgpr48_vgpr49
	s_delay_alu instid0(VALU_DEP_1) | instskip(SKIP_2) | instid1(VALU_DEP_3)
	v_div_fmas_f64 v[40:41], v[40:41], v[44:45], v[46:47]
	v_fma_f64 v[44:45], v[36:37], v[42:43], v[34:35]
	v_fma_f64 v[34:35], -v[34:35], v[42:43], v[36:37]
                                        ; implicit-def: $vgpr46_vgpr47
	v_div_fixup_f64 v[38:39], v[40:41], v[38:39], 1.0
	s_delay_alu instid0(VALU_DEP_1) | instskip(NEXT) | instid1(VALU_DEP_3)
	v_mul_f64_e32 v[42:43], v[44:45], v[38:39]
	v_mul_f64_e32 v[44:45], v[34:35], v[38:39]
                                        ; implicit-def: $vgpr34_vgpr35
.LBB128_148:                            ;   in Loop: Header=BB128_114 Depth=1
	s_and_not1_saveexec_b32 s18, s0
	s_cbranch_execz .LBB128_150
; %bb.149:                              ;   in Loop: Header=BB128_114 Depth=1
	v_div_scale_f64 v[38:39], null, v[46:47], v[46:47], v[34:35]
	v_div_scale_f64 v[40:41], null, v[48:49], v[48:49], v[36:37]
	v_div_scale_f64 v[64:65], vcc_lo, v[34:35], v[46:47], v[34:35]
	s_delay_alu instid0(VALU_DEP_3) | instskip(NEXT) | instid1(VALU_DEP_2)
	v_rcp_f64_e32 v[42:43], v[38:39]
	v_rcp_f64_e32 v[44:45], v[40:41]
	s_delay_alu instid0(TRANS32_DEP_2) | instskip(NEXT) | instid1(TRANS32_DEP_1)
	v_fma_f64 v[60:61], -v[38:39], v[42:43], 1.0
	v_fma_f64 v[62:63], -v[40:41], v[44:45], 1.0
	s_delay_alu instid0(VALU_DEP_2) | instskip(NEXT) | instid1(VALU_DEP_2)
	v_fmac_f64_e32 v[42:43], v[42:43], v[60:61]
	v_fmac_f64_e32 v[44:45], v[44:45], v[62:63]
	s_delay_alu instid0(VALU_DEP_2) | instskip(NEXT) | instid1(VALU_DEP_2)
	v_fma_f64 v[60:61], -v[38:39], v[42:43], 1.0
	v_fma_f64 v[62:63], -v[40:41], v[44:45], 1.0
	s_delay_alu instid0(VALU_DEP_2) | instskip(SKIP_1) | instid1(VALU_DEP_3)
	v_fmac_f64_e32 v[42:43], v[42:43], v[60:61]
	v_div_scale_f64 v[60:61], s0, v[36:37], v[48:49], v[36:37]
	v_fmac_f64_e32 v[44:45], v[44:45], v[62:63]
	s_delay_alu instid0(VALU_DEP_3) | instskip(NEXT) | instid1(VALU_DEP_2)
	v_mul_f64_e32 v[62:63], v[64:65], v[42:43]
	v_mul_f64_e32 v[66:67], v[60:61], v[44:45]
	s_delay_alu instid0(VALU_DEP_2) | instskip(NEXT) | instid1(VALU_DEP_2)
	v_fma_f64 v[38:39], -v[38:39], v[62:63], v[64:65]
	v_fma_f64 v[40:41], -v[40:41], v[66:67], v[60:61]
	s_delay_alu instid0(VALU_DEP_2) | instskip(SKIP_1) | instid1(VALU_DEP_2)
	v_div_fmas_f64 v[38:39], v[38:39], v[42:43], v[62:63]
	s_mov_b32 vcc_lo, s0
	v_div_fmas_f64 v[40:41], v[40:41], v[44:45], v[66:67]
	s_delay_alu instid0(VALU_DEP_2) | instskip(NEXT) | instid1(VALU_DEP_2)
	v_div_fixup_f64 v[42:43], v[38:39], v[46:47], v[34:35]
	v_div_fixup_f64 v[44:45], v[40:41], v[48:49], v[36:37]
.LBB128_150:                            ;   in Loop: Header=BB128_114 Depth=1
	s_or_b32 exec_lo, exec_lo, s18
                                        ; implicit-def: $vgpr40_vgpr41
                                        ; implicit-def: $vgpr34_vgpr35
.LBB128_151:                            ;   in Loop: Header=BB128_114 Depth=1
	s_and_not1_saveexec_b32 s0, s1
	s_cbranch_execz .LBB128_153
; %bb.152:                              ;   in Loop: Header=BB128_114 Depth=1
	v_div_scale_f64 v[42:43], null, v[40:41], v[40:41], v[38:39]
	v_div_scale_f64 v[48:49], vcc_lo, v[38:39], v[40:41], v[38:39]
	s_delay_alu instid0(VALU_DEP_2) | instskip(SKIP_1) | instid1(TRANS32_DEP_1)
	v_rcp_f64_e32 v[44:45], v[42:43]
	v_nop
	v_fma_f64 v[46:47], -v[42:43], v[44:45], 1.0
	s_delay_alu instid0(VALU_DEP_1) | instskip(NEXT) | instid1(VALU_DEP_1)
	v_fmac_f64_e32 v[44:45], v[44:45], v[46:47]
	v_fma_f64 v[46:47], -v[42:43], v[44:45], 1.0
	s_delay_alu instid0(VALU_DEP_1) | instskip(NEXT) | instid1(VALU_DEP_1)
	v_fmac_f64_e32 v[44:45], v[44:45], v[46:47]
	v_mul_f64_e32 v[46:47], v[48:49], v[44:45]
	s_delay_alu instid0(VALU_DEP_1) | instskip(NEXT) | instid1(VALU_DEP_1)
	v_fma_f64 v[42:43], -v[42:43], v[46:47], v[48:49]
	v_div_fmas_f64 v[42:43], v[42:43], v[44:45], v[46:47]
	s_delay_alu instid0(VALU_DEP_1) | instskip(NEXT) | instid1(VALU_DEP_1)
	v_div_fixup_f64 v[42:43], v[42:43], v[40:41], v[38:39]
	v_fmac_f64_e32 v[40:41], v[38:39], v[42:43]
	s_delay_alu instid0(VALU_DEP_1) | instskip(SKIP_1) | instid1(VALU_DEP_2)
	v_div_scale_f64 v[38:39], null, v[40:41], v[40:41], 1.0
	v_div_scale_f64 v[48:49], vcc_lo, 1.0, v[40:41], 1.0
	v_rcp_f64_e32 v[44:45], v[38:39]
	v_nop
	s_delay_alu instid0(TRANS32_DEP_1) | instskip(NEXT) | instid1(VALU_DEP_1)
	v_fma_f64 v[46:47], -v[38:39], v[44:45], 1.0
	v_fmac_f64_e32 v[44:45], v[44:45], v[46:47]
	s_delay_alu instid0(VALU_DEP_1) | instskip(NEXT) | instid1(VALU_DEP_1)
	v_fma_f64 v[46:47], -v[38:39], v[44:45], 1.0
	v_fmac_f64_e32 v[44:45], v[44:45], v[46:47]
	s_delay_alu instid0(VALU_DEP_1) | instskip(NEXT) | instid1(VALU_DEP_1)
	v_mul_f64_e32 v[46:47], v[48:49], v[44:45]
	v_fma_f64 v[38:39], -v[38:39], v[46:47], v[48:49]
	s_delay_alu instid0(VALU_DEP_1) | instskip(SKIP_2) | instid1(VALU_DEP_3)
	v_div_fmas_f64 v[38:39], v[38:39], v[44:45], v[46:47]
	v_fma_f64 v[44:45], v[34:35], v[42:43], v[36:37]
	v_fma_f64 v[34:35], v[36:37], v[42:43], -v[34:35]
	v_div_fixup_f64 v[38:39], v[38:39], v[40:41], 1.0
	s_delay_alu instid0(VALU_DEP_1) | instskip(NEXT) | instid1(VALU_DEP_3)
	v_mul_f64_e32 v[42:43], v[44:45], v[38:39]
	v_mul_f64_e32 v[44:45], v[34:35], v[38:39]
.LBB128_153:                            ;   in Loop: Header=BB128_114 Depth=1
	s_or_b32 exec_lo, exec_lo, s0
.LBB128_154:                            ;   in Loop: Header=BB128_114 Depth=1
	s_wait_loadcnt 0x0
	v_cmp_gt_f64_e32 vcc_lo, 0, v[30:31]
	v_xor_b32_e32 v34, 0x80000000, v31
	v_mov_b32_e32 v38, v30
	v_xor_b32_e32 v35, 0x80000000, v33
	s_mov_b32 s1, -1
                                        ; implicit-def: $vgpr36_vgpr37
	s_delay_alu instid0(VALU_DEP_3) | instskip(SKIP_1) | instid1(VALU_DEP_3)
	v_dual_mov_b32 v40, v32 :: v_dual_cndmask_b32 v39, v31, v34
	v_cmp_gt_f64_e32 vcc_lo, 0, v[32:33]
	v_cndmask_b32_e32 v41, v33, v35, vcc_lo
	s_and_not1_b32 vcc_lo, exec_lo, s6
                                        ; implicit-def: $vgpr34_vgpr35
	s_delay_alu instid0(VALU_DEP_1)
	v_cmp_ge_f64_e64 s0, v[38:39], v[40:41]
	s_cbranch_vccnz .LBB128_164
; %bb.155:                              ;   in Loop: Header=BB128_114 Depth=1
                                        ; implicit-def: $vgpr34_vgpr35
                                        ; implicit-def: $vgpr46_vgpr47
	s_and_saveexec_b32 s1, s0
	s_delay_alu instid0(SALU_CYCLE_1)
	s_xor_b32 s18, exec_lo, s1
	s_cbranch_execz .LBB128_161
; %bb.156:                              ;   in Loop: Header=BB128_114 Depth=1
	v_cmp_neq_f64_e32 vcc_lo, 0, v[30:31]
	v_cmp_neq_f64_e64 s1, 0, v[32:33]
                                        ; implicit-def: $vgpr34_vgpr35
                                        ; implicit-def: $vgpr46_vgpr47
	s_or_b32 s1, vcc_lo, s1
	s_delay_alu instid0(SALU_CYCLE_1) | instskip(NEXT) | instid1(SALU_CYCLE_1)
	s_and_saveexec_b32 s19, s1
	s_xor_b32 s1, exec_lo, s19
	s_cbranch_execz .LBB128_158
; %bb.157:                              ;   in Loop: Header=BB128_114 Depth=1
	v_div_scale_f64 v[34:35], null, v[30:31], v[30:31], v[32:33]
	v_div_scale_f64 v[48:49], vcc_lo, v[32:33], v[30:31], v[32:33]
	s_delay_alu instid0(VALU_DEP_2) | instskip(SKIP_1) | instid1(TRANS32_DEP_1)
	v_rcp_f64_e32 v[36:37], v[34:35]
	v_nop
	v_fma_f64 v[46:47], -v[34:35], v[36:37], 1.0
	s_delay_alu instid0(VALU_DEP_1) | instskip(NEXT) | instid1(VALU_DEP_1)
	v_fmac_f64_e32 v[36:37], v[36:37], v[46:47]
	v_fma_f64 v[46:47], -v[34:35], v[36:37], 1.0
	s_delay_alu instid0(VALU_DEP_1) | instskip(NEXT) | instid1(VALU_DEP_1)
	v_fmac_f64_e32 v[36:37], v[36:37], v[46:47]
	v_mul_f64_e32 v[46:47], v[48:49], v[36:37]
	s_delay_alu instid0(VALU_DEP_1) | instskip(NEXT) | instid1(VALU_DEP_1)
	v_fma_f64 v[34:35], -v[34:35], v[46:47], v[48:49]
	v_div_fmas_f64 v[34:35], v[34:35], v[36:37], v[46:47]
	s_delay_alu instid0(VALU_DEP_1) | instskip(NEXT) | instid1(VALU_DEP_1)
	v_div_fixup_f64 v[34:35], v[34:35], v[30:31], v[32:33]
	v_fma_f64 v[36:37], v[32:33], v[34:35], v[30:31]
	s_delay_alu instid0(VALU_DEP_1) | instskip(SKIP_1) | instid1(VALU_DEP_2)
	v_div_scale_f64 v[46:47], null, v[36:37], v[36:37], 1.0
	v_div_scale_f64 v[62:63], vcc_lo, 1.0, v[36:37], 1.0
	v_rcp_f64_e32 v[48:49], v[46:47]
	v_nop
	s_delay_alu instid0(TRANS32_DEP_1) | instskip(NEXT) | instid1(VALU_DEP_1)
	v_fma_f64 v[60:61], -v[46:47], v[48:49], 1.0
	v_fmac_f64_e32 v[48:49], v[48:49], v[60:61]
	s_delay_alu instid0(VALU_DEP_1) | instskip(NEXT) | instid1(VALU_DEP_1)
	v_fma_f64 v[60:61], -v[46:47], v[48:49], 1.0
	v_fmac_f64_e32 v[48:49], v[48:49], v[60:61]
	s_delay_alu instid0(VALU_DEP_1) | instskip(NEXT) | instid1(VALU_DEP_1)
	v_mul_f64_e32 v[60:61], v[62:63], v[48:49]
	v_fma_f64 v[46:47], -v[46:47], v[60:61], v[62:63]
	s_delay_alu instid0(VALU_DEP_1) | instskip(SKIP_2) | instid1(VALU_DEP_3)
	v_div_fmas_f64 v[46:47], v[46:47], v[48:49], v[60:61]
	v_fma_f64 v[48:49], v[28:29], v[34:35], v[26:27]
	v_fma_f64 v[34:35], -v[26:27], v[34:35], v[28:29]
	v_div_fixup_f64 v[36:37], v[46:47], v[36:37], 1.0
	s_delay_alu instid0(VALU_DEP_1) | instskip(NEXT) | instid1(VALU_DEP_3)
	v_mul_f64_e32 v[46:47], v[48:49], v[36:37]
	v_mul_f64_e32 v[34:35], v[34:35], v[36:37]
.LBB128_158:                            ;   in Loop: Header=BB128_114 Depth=1
	s_and_not1_saveexec_b32 s19, s1
	s_cbranch_execz .LBB128_160
; %bb.159:                              ;   in Loop: Header=BB128_114 Depth=1
	v_div_scale_f64 v[34:35], null, v[38:39], v[38:39], v[26:27]
	v_div_scale_f64 v[36:37], null, v[40:41], v[40:41], v[28:29]
	v_div_scale_f64 v[64:65], vcc_lo, v[26:27], v[38:39], v[26:27]
	s_delay_alu instid0(VALU_DEP_3) | instskip(NEXT) | instid1(VALU_DEP_2)
	v_rcp_f64_e32 v[46:47], v[34:35]
	v_rcp_f64_e32 v[48:49], v[36:37]
	s_delay_alu instid0(TRANS32_DEP_2) | instskip(NEXT) | instid1(TRANS32_DEP_1)
	v_fma_f64 v[60:61], -v[34:35], v[46:47], 1.0
	v_fma_f64 v[62:63], -v[36:37], v[48:49], 1.0
	s_delay_alu instid0(VALU_DEP_2) | instskip(NEXT) | instid1(VALU_DEP_2)
	v_fmac_f64_e32 v[46:47], v[46:47], v[60:61]
	v_fmac_f64_e32 v[48:49], v[48:49], v[62:63]
	s_delay_alu instid0(VALU_DEP_2) | instskip(NEXT) | instid1(VALU_DEP_2)
	v_fma_f64 v[60:61], -v[34:35], v[46:47], 1.0
	v_fma_f64 v[62:63], -v[36:37], v[48:49], 1.0
	s_delay_alu instid0(VALU_DEP_2) | instskip(SKIP_1) | instid1(VALU_DEP_3)
	v_fmac_f64_e32 v[46:47], v[46:47], v[60:61]
	v_div_scale_f64 v[60:61], s1, v[28:29], v[40:41], v[28:29]
	v_fmac_f64_e32 v[48:49], v[48:49], v[62:63]
	s_delay_alu instid0(VALU_DEP_3) | instskip(NEXT) | instid1(VALU_DEP_2)
	v_mul_f64_e32 v[62:63], v[64:65], v[46:47]
	v_mul_f64_e32 v[66:67], v[60:61], v[48:49]
	s_delay_alu instid0(VALU_DEP_2) | instskip(NEXT) | instid1(VALU_DEP_2)
	v_fma_f64 v[34:35], -v[34:35], v[62:63], v[64:65]
	v_fma_f64 v[36:37], -v[36:37], v[66:67], v[60:61]
	s_delay_alu instid0(VALU_DEP_2) | instskip(SKIP_1) | instid1(VALU_DEP_2)
	v_div_fmas_f64 v[34:35], v[34:35], v[46:47], v[62:63]
	s_mov_b32 vcc_lo, s1
	v_div_fmas_f64 v[36:37], v[36:37], v[48:49], v[66:67]
	s_delay_alu instid0(VALU_DEP_2) | instskip(NEXT) | instid1(VALU_DEP_2)
	v_div_fixup_f64 v[46:47], v[34:35], v[38:39], v[26:27]
	v_div_fixup_f64 v[34:35], v[36:37], v[40:41], v[28:29]
.LBB128_160:                            ;   in Loop: Header=BB128_114 Depth=1
	s_or_b32 exec_lo, exec_lo, s19
.LBB128_161:                            ;   in Loop: Header=BB128_114 Depth=1
	s_and_not1_saveexec_b32 s1, s18
	s_cbranch_execz .LBB128_163
; %bb.162:                              ;   in Loop: Header=BB128_114 Depth=1
	v_div_scale_f64 v[34:35], null, v[32:33], v[32:33], v[30:31]
	v_div_scale_f64 v[48:49], vcc_lo, v[30:31], v[32:33], v[30:31]
	s_delay_alu instid0(VALU_DEP_2) | instskip(SKIP_1) | instid1(TRANS32_DEP_1)
	v_rcp_f64_e32 v[36:37], v[34:35]
	v_nop
	v_fma_f64 v[46:47], -v[34:35], v[36:37], 1.0
	s_delay_alu instid0(VALU_DEP_1) | instskip(NEXT) | instid1(VALU_DEP_1)
	v_fmac_f64_e32 v[36:37], v[36:37], v[46:47]
	v_fma_f64 v[46:47], -v[34:35], v[36:37], 1.0
	s_delay_alu instid0(VALU_DEP_1) | instskip(NEXT) | instid1(VALU_DEP_1)
	v_fmac_f64_e32 v[36:37], v[36:37], v[46:47]
	v_mul_f64_e32 v[46:47], v[48:49], v[36:37]
	s_delay_alu instid0(VALU_DEP_1) | instskip(NEXT) | instid1(VALU_DEP_1)
	v_fma_f64 v[34:35], -v[34:35], v[46:47], v[48:49]
	v_div_fmas_f64 v[34:35], v[34:35], v[36:37], v[46:47]
	s_delay_alu instid0(VALU_DEP_1) | instskip(NEXT) | instid1(VALU_DEP_1)
	v_div_fixup_f64 v[34:35], v[34:35], v[32:33], v[30:31]
	v_fma_f64 v[36:37], v[30:31], v[34:35], v[32:33]
	s_delay_alu instid0(VALU_DEP_1) | instskip(SKIP_1) | instid1(VALU_DEP_2)
	v_div_scale_f64 v[46:47], null, v[36:37], v[36:37], 1.0
	v_div_scale_f64 v[62:63], vcc_lo, 1.0, v[36:37], 1.0
	v_rcp_f64_e32 v[48:49], v[46:47]
	v_nop
	s_delay_alu instid0(TRANS32_DEP_1) | instskip(NEXT) | instid1(VALU_DEP_1)
	v_fma_f64 v[60:61], -v[46:47], v[48:49], 1.0
	v_fmac_f64_e32 v[48:49], v[48:49], v[60:61]
	s_delay_alu instid0(VALU_DEP_1) | instskip(NEXT) | instid1(VALU_DEP_1)
	v_fma_f64 v[60:61], -v[46:47], v[48:49], 1.0
	v_fmac_f64_e32 v[48:49], v[48:49], v[60:61]
	s_delay_alu instid0(VALU_DEP_1) | instskip(NEXT) | instid1(VALU_DEP_1)
	v_mul_f64_e32 v[60:61], v[62:63], v[48:49]
	v_fma_f64 v[46:47], -v[46:47], v[60:61], v[62:63]
	s_delay_alu instid0(VALU_DEP_1) | instskip(SKIP_2) | instid1(VALU_DEP_3)
	v_div_fmas_f64 v[46:47], v[46:47], v[48:49], v[60:61]
	v_fma_f64 v[48:49], v[26:27], v[34:35], v[28:29]
	v_fma_f64 v[34:35], v[28:29], v[34:35], -v[26:27]
	v_div_fixup_f64 v[36:37], v[46:47], v[36:37], 1.0
	s_delay_alu instid0(VALU_DEP_1) | instskip(NEXT) | instid1(VALU_DEP_3)
	v_mul_f64_e32 v[46:47], v[48:49], v[36:37]
	v_mul_f64_e32 v[34:35], v[34:35], v[36:37]
.LBB128_163:                            ;   in Loop: Header=BB128_114 Depth=1
	s_or_b32 exec_lo, exec_lo, s1
	s_delay_alu instid0(VALU_DEP_1) | instskip(SKIP_2) | instid1(VALU_DEP_2)
	v_mul_f64_e32 v[36:37], s[10:11], v[34:35]
	v_mul_f64_e32 v[34:35], s[8:9], v[34:35]
	s_mov_b32 s1, 0
	v_fma_f64 v[36:37], s[8:9], v[46:47], -v[36:37]
	s_delay_alu instid0(VALU_DEP_2)
	v_fmac_f64_e32 v[34:35], s[10:11], v[46:47]
.LBB128_164:                            ;   in Loop: Header=BB128_114 Depth=1
	s_and_b32 vcc_lo, exec_lo, s1
	s_cbranch_vccz .LBB128_174
; %bb.165:                              ;   in Loop: Header=BB128_114 Depth=1
                                        ; implicit-def: $vgpr34_vgpr35
                                        ; implicit-def: $vgpr36_vgpr37
	s_and_saveexec_b32 s1, s0
	s_delay_alu instid0(SALU_CYCLE_1)
	s_xor_b32 s1, exec_lo, s1
	s_cbranch_execz .LBB128_171
; %bb.166:                              ;   in Loop: Header=BB128_114 Depth=1
	v_cmp_neq_f64_e32 vcc_lo, 0, v[30:31]
	v_cmp_neq_f64_e64 s0, 0, v[32:33]
                                        ; implicit-def: $vgpr34_vgpr35
                                        ; implicit-def: $vgpr36_vgpr37
	s_or_b32 s0, vcc_lo, s0
	s_delay_alu instid0(SALU_CYCLE_1) | instskip(NEXT) | instid1(SALU_CYCLE_1)
	s_and_saveexec_b32 s18, s0
	s_xor_b32 s0, exec_lo, s18
	s_cbranch_execz .LBB128_168
; %bb.167:                              ;   in Loop: Header=BB128_114 Depth=1
	v_div_scale_f64 v[34:35], null, v[30:31], v[30:31], v[32:33]
	v_div_scale_f64 v[40:41], vcc_lo, v[32:33], v[30:31], v[32:33]
	s_delay_alu instid0(VALU_DEP_2) | instskip(SKIP_1) | instid1(TRANS32_DEP_1)
	v_rcp_f64_e32 v[36:37], v[34:35]
	v_nop
	v_fma_f64 v[38:39], -v[34:35], v[36:37], 1.0
	s_delay_alu instid0(VALU_DEP_1) | instskip(NEXT) | instid1(VALU_DEP_1)
	v_fmac_f64_e32 v[36:37], v[36:37], v[38:39]
	v_fma_f64 v[38:39], -v[34:35], v[36:37], 1.0
	s_delay_alu instid0(VALU_DEP_1) | instskip(NEXT) | instid1(VALU_DEP_1)
	v_fmac_f64_e32 v[36:37], v[36:37], v[38:39]
	v_mul_f64_e32 v[38:39], v[40:41], v[36:37]
	s_delay_alu instid0(VALU_DEP_1) | instskip(NEXT) | instid1(VALU_DEP_1)
	v_fma_f64 v[34:35], -v[34:35], v[38:39], v[40:41]
	v_div_fmas_f64 v[34:35], v[34:35], v[36:37], v[38:39]
	s_delay_alu instid0(VALU_DEP_1) | instskip(NEXT) | instid1(VALU_DEP_1)
	v_div_fixup_f64 v[34:35], v[34:35], v[30:31], v[32:33]
	v_fmac_f64_e32 v[30:31], v[32:33], v[34:35]
	s_delay_alu instid0(VALU_DEP_1) | instskip(SKIP_1) | instid1(VALU_DEP_2)
	v_div_scale_f64 v[32:33], null, v[30:31], v[30:31], 1.0
	v_div_scale_f64 v[40:41], vcc_lo, 1.0, v[30:31], 1.0
	v_rcp_f64_e32 v[36:37], v[32:33]
	v_nop
	s_delay_alu instid0(TRANS32_DEP_1) | instskip(NEXT) | instid1(VALU_DEP_1)
	v_fma_f64 v[38:39], -v[32:33], v[36:37], 1.0
	v_fmac_f64_e32 v[36:37], v[36:37], v[38:39]
	s_delay_alu instid0(VALU_DEP_1) | instskip(NEXT) | instid1(VALU_DEP_1)
	v_fma_f64 v[38:39], -v[32:33], v[36:37], 1.0
	v_fmac_f64_e32 v[36:37], v[36:37], v[38:39]
	s_delay_alu instid0(VALU_DEP_1) | instskip(NEXT) | instid1(VALU_DEP_1)
	v_mul_f64_e32 v[38:39], v[40:41], v[36:37]
	v_fma_f64 v[32:33], -v[32:33], v[38:39], v[40:41]
                                        ; implicit-def: $vgpr40_vgpr41
	s_delay_alu instid0(VALU_DEP_1) | instskip(SKIP_2) | instid1(VALU_DEP_3)
	v_div_fmas_f64 v[32:33], v[32:33], v[36:37], v[38:39]
	v_fma_f64 v[36:37], v[28:29], v[34:35], v[26:27]
	v_fma_f64 v[26:27], -v[26:27], v[34:35], v[28:29]
                                        ; implicit-def: $vgpr38_vgpr39
	v_div_fixup_f64 v[30:31], v[32:33], v[30:31], 1.0
	s_delay_alu instid0(VALU_DEP_1) | instskip(NEXT) | instid1(VALU_DEP_3)
	v_mul_f64_e32 v[36:37], v[36:37], v[30:31]
	v_mul_f64_e32 v[34:35], v[26:27], v[30:31]
                                        ; implicit-def: $vgpr26_vgpr27
.LBB128_168:                            ;   in Loop: Header=BB128_114 Depth=1
	s_and_not1_saveexec_b32 s18, s0
	s_cbranch_execz .LBB128_170
; %bb.169:                              ;   in Loop: Header=BB128_114 Depth=1
	v_div_scale_f64 v[30:31], null, v[38:39], v[38:39], v[26:27]
	v_div_scale_f64 v[32:33], null, v[40:41], v[40:41], v[28:29]
	v_div_scale_f64 v[60:61], vcc_lo, v[26:27], v[38:39], v[26:27]
	s_delay_alu instid0(VALU_DEP_3) | instskip(NEXT) | instid1(VALU_DEP_2)
	v_rcp_f64_e32 v[34:35], v[30:31]
	v_rcp_f64_e32 v[36:37], v[32:33]
	s_delay_alu instid0(TRANS32_DEP_2) | instskip(NEXT) | instid1(TRANS32_DEP_1)
	v_fma_f64 v[46:47], -v[30:31], v[34:35], 1.0
	v_fma_f64 v[48:49], -v[32:33], v[36:37], 1.0
	s_delay_alu instid0(VALU_DEP_2) | instskip(NEXT) | instid1(VALU_DEP_2)
	v_fmac_f64_e32 v[34:35], v[34:35], v[46:47]
	v_fmac_f64_e32 v[36:37], v[36:37], v[48:49]
	s_delay_alu instid0(VALU_DEP_2) | instskip(NEXT) | instid1(VALU_DEP_2)
	v_fma_f64 v[46:47], -v[30:31], v[34:35], 1.0
	v_fma_f64 v[48:49], -v[32:33], v[36:37], 1.0
	s_delay_alu instid0(VALU_DEP_2) | instskip(SKIP_1) | instid1(VALU_DEP_3)
	v_fmac_f64_e32 v[34:35], v[34:35], v[46:47]
	v_div_scale_f64 v[46:47], s0, v[28:29], v[40:41], v[28:29]
	v_fmac_f64_e32 v[36:37], v[36:37], v[48:49]
	s_delay_alu instid0(VALU_DEP_3) | instskip(NEXT) | instid1(VALU_DEP_2)
	v_mul_f64_e32 v[48:49], v[60:61], v[34:35]
	v_mul_f64_e32 v[62:63], v[46:47], v[36:37]
	s_delay_alu instid0(VALU_DEP_2) | instskip(NEXT) | instid1(VALU_DEP_2)
	v_fma_f64 v[30:31], -v[30:31], v[48:49], v[60:61]
	v_fma_f64 v[32:33], -v[32:33], v[62:63], v[46:47]
	s_delay_alu instid0(VALU_DEP_2) | instskip(SKIP_1) | instid1(VALU_DEP_2)
	v_div_fmas_f64 v[30:31], v[30:31], v[34:35], v[48:49]
	s_mov_b32 vcc_lo, s0
	v_div_fmas_f64 v[32:33], v[32:33], v[36:37], v[62:63]
	s_delay_alu instid0(VALU_DEP_2) | instskip(NEXT) | instid1(VALU_DEP_2)
	v_div_fixup_f64 v[36:37], v[30:31], v[38:39], v[26:27]
	v_div_fixup_f64 v[34:35], v[32:33], v[40:41], v[28:29]
.LBB128_170:                            ;   in Loop: Header=BB128_114 Depth=1
	s_or_b32 exec_lo, exec_lo, s18
                                        ; implicit-def: $vgpr32_vgpr33
                                        ; implicit-def: $vgpr26_vgpr27
.LBB128_171:                            ;   in Loop: Header=BB128_114 Depth=1
	s_and_not1_saveexec_b32 s0, s1
	s_cbranch_execz .LBB128_173
; %bb.172:                              ;   in Loop: Header=BB128_114 Depth=1
	v_div_scale_f64 v[34:35], null, v[32:33], v[32:33], v[30:31]
	v_div_scale_f64 v[40:41], vcc_lo, v[30:31], v[32:33], v[30:31]
	s_delay_alu instid0(VALU_DEP_2) | instskip(SKIP_1) | instid1(TRANS32_DEP_1)
	v_rcp_f64_e32 v[36:37], v[34:35]
	v_nop
	v_fma_f64 v[38:39], -v[34:35], v[36:37], 1.0
	s_delay_alu instid0(VALU_DEP_1) | instskip(NEXT) | instid1(VALU_DEP_1)
	v_fmac_f64_e32 v[36:37], v[36:37], v[38:39]
	v_fma_f64 v[38:39], -v[34:35], v[36:37], 1.0
	s_delay_alu instid0(VALU_DEP_1) | instskip(NEXT) | instid1(VALU_DEP_1)
	v_fmac_f64_e32 v[36:37], v[36:37], v[38:39]
	v_mul_f64_e32 v[38:39], v[40:41], v[36:37]
	s_delay_alu instid0(VALU_DEP_1) | instskip(NEXT) | instid1(VALU_DEP_1)
	v_fma_f64 v[34:35], -v[34:35], v[38:39], v[40:41]
	v_div_fmas_f64 v[34:35], v[34:35], v[36:37], v[38:39]
	s_delay_alu instid0(VALU_DEP_1) | instskip(NEXT) | instid1(VALU_DEP_1)
	v_div_fixup_f64 v[34:35], v[34:35], v[32:33], v[30:31]
	v_fmac_f64_e32 v[32:33], v[30:31], v[34:35]
	s_delay_alu instid0(VALU_DEP_1) | instskip(SKIP_1) | instid1(VALU_DEP_2)
	v_div_scale_f64 v[30:31], null, v[32:33], v[32:33], 1.0
	v_div_scale_f64 v[40:41], vcc_lo, 1.0, v[32:33], 1.0
	v_rcp_f64_e32 v[36:37], v[30:31]
	v_nop
	s_delay_alu instid0(TRANS32_DEP_1) | instskip(NEXT) | instid1(VALU_DEP_1)
	v_fma_f64 v[38:39], -v[30:31], v[36:37], 1.0
	v_fmac_f64_e32 v[36:37], v[36:37], v[38:39]
	s_delay_alu instid0(VALU_DEP_1) | instskip(NEXT) | instid1(VALU_DEP_1)
	v_fma_f64 v[38:39], -v[30:31], v[36:37], 1.0
	v_fmac_f64_e32 v[36:37], v[36:37], v[38:39]
	s_delay_alu instid0(VALU_DEP_1) | instskip(NEXT) | instid1(VALU_DEP_1)
	v_mul_f64_e32 v[38:39], v[40:41], v[36:37]
	v_fma_f64 v[30:31], -v[30:31], v[38:39], v[40:41]
	s_delay_alu instid0(VALU_DEP_1) | instskip(SKIP_2) | instid1(VALU_DEP_3)
	v_div_fmas_f64 v[30:31], v[30:31], v[36:37], v[38:39]
	v_fma_f64 v[36:37], v[26:27], v[34:35], v[28:29]
	v_fma_f64 v[26:27], v[28:29], v[34:35], -v[26:27]
	v_div_fixup_f64 v[30:31], v[30:31], v[32:33], 1.0
	s_delay_alu instid0(VALU_DEP_1) | instskip(NEXT) | instid1(VALU_DEP_3)
	v_mul_f64_e32 v[36:37], v[36:37], v[30:31]
	v_mul_f64_e32 v[34:35], v[26:27], v[30:31]
.LBB128_173:                            ;   in Loop: Header=BB128_114 Depth=1
	s_or_b32 exec_lo, exec_lo, s0
.LBB128_174:                            ;   in Loop: Header=BB128_114 Depth=1
	v_cmp_gt_f64_e32 vcc_lo, 0, v[22:23]
	v_xor_b32_e32 v27, 0x80000000, v23
	v_mov_b32_e32 v26, v22
	v_xor_b32_e32 v28, 0x80000000, v25
	s_mov_b32 s1, -1
                                        ; implicit-def: $vgpr30_vgpr31
                                        ; implicit-def: $vgpr32_vgpr33
	s_delay_alu instid0(VALU_DEP_3) | instskip(SKIP_1) | instid1(VALU_DEP_3)
	v_cndmask_b32_e32 v27, v23, v27, vcc_lo
	v_cmp_gt_f64_e32 vcc_lo, 0, v[24:25]
	v_dual_cndmask_b32 v29, v25, v28 :: v_dual_mov_b32 v28, v24
	s_and_not1_b32 vcc_lo, exec_lo, s6
	s_delay_alu instid0(VALU_DEP_1)
	v_cmp_ge_f64_e64 s0, v[26:27], v[28:29]
	s_cbranch_vccnz .LBB128_184
; %bb.175:                              ;   in Loop: Header=BB128_114 Depth=1
                                        ; implicit-def: $vgpr30_vgpr31
                                        ; implicit-def: $vgpr38_vgpr39
	s_and_saveexec_b32 s1, s0
	s_delay_alu instid0(SALU_CYCLE_1)
	s_xor_b32 s18, exec_lo, s1
	s_cbranch_execz .LBB128_181
; %bb.176:                              ;   in Loop: Header=BB128_114 Depth=1
	v_cmp_neq_f64_e32 vcc_lo, 0, v[22:23]
	v_cmp_neq_f64_e64 s1, 0, v[24:25]
                                        ; implicit-def: $vgpr30_vgpr31
                                        ; implicit-def: $vgpr38_vgpr39
	s_or_b32 s1, vcc_lo, s1
	s_delay_alu instid0(SALU_CYCLE_1) | instskip(NEXT) | instid1(SALU_CYCLE_1)
	s_and_saveexec_b32 s19, s1
	s_xor_b32 s1, exec_lo, s19
	s_cbranch_execz .LBB128_178
; %bb.177:                              ;   in Loop: Header=BB128_114 Depth=1
	v_div_scale_f64 v[30:31], null, v[22:23], v[22:23], v[24:25]
	v_div_scale_f64 v[40:41], vcc_lo, v[24:25], v[22:23], v[24:25]
	s_delay_alu instid0(VALU_DEP_2) | instskip(SKIP_1) | instid1(TRANS32_DEP_1)
	v_rcp_f64_e32 v[32:33], v[30:31]
	v_nop
	v_fma_f64 v[38:39], -v[30:31], v[32:33], 1.0
	s_delay_alu instid0(VALU_DEP_1) | instskip(NEXT) | instid1(VALU_DEP_1)
	v_fmac_f64_e32 v[32:33], v[32:33], v[38:39]
	v_fma_f64 v[38:39], -v[30:31], v[32:33], 1.0
	s_delay_alu instid0(VALU_DEP_1) | instskip(NEXT) | instid1(VALU_DEP_1)
	v_fmac_f64_e32 v[32:33], v[32:33], v[38:39]
	v_mul_f64_e32 v[38:39], v[40:41], v[32:33]
	s_delay_alu instid0(VALU_DEP_1) | instskip(NEXT) | instid1(VALU_DEP_1)
	v_fma_f64 v[30:31], -v[30:31], v[38:39], v[40:41]
	v_div_fmas_f64 v[30:31], v[30:31], v[32:33], v[38:39]
	s_delay_alu instid0(VALU_DEP_1) | instskip(NEXT) | instid1(VALU_DEP_1)
	v_div_fixup_f64 v[30:31], v[30:31], v[22:23], v[24:25]
	v_fma_f64 v[32:33], v[24:25], v[30:31], v[22:23]
	s_delay_alu instid0(VALU_DEP_1) | instskip(SKIP_1) | instid1(VALU_DEP_2)
	v_div_scale_f64 v[38:39], null, v[32:33], v[32:33], 1.0
	v_div_scale_f64 v[48:49], vcc_lo, 1.0, v[32:33], 1.0
	v_rcp_f64_e32 v[40:41], v[38:39]
	v_nop
	s_delay_alu instid0(TRANS32_DEP_1) | instskip(NEXT) | instid1(VALU_DEP_1)
	v_fma_f64 v[46:47], -v[38:39], v[40:41], 1.0
	v_fmac_f64_e32 v[40:41], v[40:41], v[46:47]
	s_delay_alu instid0(VALU_DEP_1) | instskip(NEXT) | instid1(VALU_DEP_1)
	v_fma_f64 v[46:47], -v[38:39], v[40:41], 1.0
	v_fmac_f64_e32 v[40:41], v[40:41], v[46:47]
	s_delay_alu instid0(VALU_DEP_1) | instskip(NEXT) | instid1(VALU_DEP_1)
	v_mul_f64_e32 v[46:47], v[48:49], v[40:41]
	v_fma_f64 v[38:39], -v[38:39], v[46:47], v[48:49]
	s_delay_alu instid0(VALU_DEP_1) | instskip(SKIP_2) | instid1(VALU_DEP_3)
	v_div_fmas_f64 v[38:39], v[38:39], v[40:41], v[46:47]
	v_fma_f64 v[40:41], v[20:21], v[30:31], v[18:19]
	v_fma_f64 v[30:31], -v[18:19], v[30:31], v[20:21]
	v_div_fixup_f64 v[32:33], v[38:39], v[32:33], 1.0
	s_delay_alu instid0(VALU_DEP_1) | instskip(NEXT) | instid1(VALU_DEP_3)
	v_mul_f64_e32 v[38:39], v[40:41], v[32:33]
	v_mul_f64_e32 v[30:31], v[30:31], v[32:33]
.LBB128_178:                            ;   in Loop: Header=BB128_114 Depth=1
	s_and_not1_saveexec_b32 s19, s1
	s_cbranch_execz .LBB128_180
; %bb.179:                              ;   in Loop: Header=BB128_114 Depth=1
	v_div_scale_f64 v[30:31], null, v[26:27], v[26:27], v[18:19]
	v_div_scale_f64 v[32:33], null, v[28:29], v[28:29], v[20:21]
	v_div_scale_f64 v[60:61], vcc_lo, v[18:19], v[26:27], v[18:19]
	s_delay_alu instid0(VALU_DEP_3) | instskip(NEXT) | instid1(VALU_DEP_2)
	v_rcp_f64_e32 v[38:39], v[30:31]
	v_rcp_f64_e32 v[40:41], v[32:33]
	s_delay_alu instid0(TRANS32_DEP_2) | instskip(NEXT) | instid1(TRANS32_DEP_1)
	v_fma_f64 v[46:47], -v[30:31], v[38:39], 1.0
	v_fma_f64 v[48:49], -v[32:33], v[40:41], 1.0
	s_delay_alu instid0(VALU_DEP_2) | instskip(NEXT) | instid1(VALU_DEP_2)
	v_fmac_f64_e32 v[38:39], v[38:39], v[46:47]
	v_fmac_f64_e32 v[40:41], v[40:41], v[48:49]
	s_delay_alu instid0(VALU_DEP_2) | instskip(NEXT) | instid1(VALU_DEP_2)
	v_fma_f64 v[46:47], -v[30:31], v[38:39], 1.0
	v_fma_f64 v[48:49], -v[32:33], v[40:41], 1.0
	s_delay_alu instid0(VALU_DEP_2) | instskip(SKIP_1) | instid1(VALU_DEP_3)
	v_fmac_f64_e32 v[38:39], v[38:39], v[46:47]
	v_div_scale_f64 v[46:47], s1, v[20:21], v[28:29], v[20:21]
	v_fmac_f64_e32 v[40:41], v[40:41], v[48:49]
	s_delay_alu instid0(VALU_DEP_3) | instskip(NEXT) | instid1(VALU_DEP_2)
	v_mul_f64_e32 v[48:49], v[60:61], v[38:39]
	v_mul_f64_e32 v[62:63], v[46:47], v[40:41]
	s_delay_alu instid0(VALU_DEP_2) | instskip(NEXT) | instid1(VALU_DEP_2)
	v_fma_f64 v[30:31], -v[30:31], v[48:49], v[60:61]
	v_fma_f64 v[32:33], -v[32:33], v[62:63], v[46:47]
	s_delay_alu instid0(VALU_DEP_2) | instskip(SKIP_1) | instid1(VALU_DEP_2)
	v_div_fmas_f64 v[30:31], v[30:31], v[38:39], v[48:49]
	s_mov_b32 vcc_lo, s1
	v_div_fmas_f64 v[32:33], v[32:33], v[40:41], v[62:63]
	s_delay_alu instid0(VALU_DEP_2) | instskip(NEXT) | instid1(VALU_DEP_2)
	v_div_fixup_f64 v[38:39], v[30:31], v[26:27], v[18:19]
	v_div_fixup_f64 v[30:31], v[32:33], v[28:29], v[20:21]
.LBB128_180:                            ;   in Loop: Header=BB128_114 Depth=1
	s_or_b32 exec_lo, exec_lo, s19
.LBB128_181:                            ;   in Loop: Header=BB128_114 Depth=1
	s_and_not1_saveexec_b32 s1, s18
	s_cbranch_execz .LBB128_183
; %bb.182:                              ;   in Loop: Header=BB128_114 Depth=1
	v_div_scale_f64 v[30:31], null, v[24:25], v[24:25], v[22:23]
	v_div_scale_f64 v[40:41], vcc_lo, v[22:23], v[24:25], v[22:23]
	s_delay_alu instid0(VALU_DEP_2) | instskip(SKIP_1) | instid1(TRANS32_DEP_1)
	v_rcp_f64_e32 v[32:33], v[30:31]
	v_nop
	v_fma_f64 v[38:39], -v[30:31], v[32:33], 1.0
	s_delay_alu instid0(VALU_DEP_1) | instskip(NEXT) | instid1(VALU_DEP_1)
	v_fmac_f64_e32 v[32:33], v[32:33], v[38:39]
	v_fma_f64 v[38:39], -v[30:31], v[32:33], 1.0
	s_delay_alu instid0(VALU_DEP_1) | instskip(NEXT) | instid1(VALU_DEP_1)
	v_fmac_f64_e32 v[32:33], v[32:33], v[38:39]
	v_mul_f64_e32 v[38:39], v[40:41], v[32:33]
	s_delay_alu instid0(VALU_DEP_1) | instskip(NEXT) | instid1(VALU_DEP_1)
	v_fma_f64 v[30:31], -v[30:31], v[38:39], v[40:41]
	v_div_fmas_f64 v[30:31], v[30:31], v[32:33], v[38:39]
	s_delay_alu instid0(VALU_DEP_1) | instskip(NEXT) | instid1(VALU_DEP_1)
	v_div_fixup_f64 v[30:31], v[30:31], v[24:25], v[22:23]
	v_fma_f64 v[32:33], v[22:23], v[30:31], v[24:25]
	s_delay_alu instid0(VALU_DEP_1) | instskip(SKIP_1) | instid1(VALU_DEP_2)
	v_div_scale_f64 v[38:39], null, v[32:33], v[32:33], 1.0
	v_div_scale_f64 v[48:49], vcc_lo, 1.0, v[32:33], 1.0
	v_rcp_f64_e32 v[40:41], v[38:39]
	v_nop
	s_delay_alu instid0(TRANS32_DEP_1) | instskip(NEXT) | instid1(VALU_DEP_1)
	v_fma_f64 v[46:47], -v[38:39], v[40:41], 1.0
	v_fmac_f64_e32 v[40:41], v[40:41], v[46:47]
	s_delay_alu instid0(VALU_DEP_1) | instskip(NEXT) | instid1(VALU_DEP_1)
	v_fma_f64 v[46:47], -v[38:39], v[40:41], 1.0
	v_fmac_f64_e32 v[40:41], v[40:41], v[46:47]
	s_delay_alu instid0(VALU_DEP_1) | instskip(NEXT) | instid1(VALU_DEP_1)
	v_mul_f64_e32 v[46:47], v[48:49], v[40:41]
	v_fma_f64 v[38:39], -v[38:39], v[46:47], v[48:49]
	s_delay_alu instid0(VALU_DEP_1) | instskip(SKIP_2) | instid1(VALU_DEP_3)
	v_div_fmas_f64 v[38:39], v[38:39], v[40:41], v[46:47]
	v_fma_f64 v[40:41], v[18:19], v[30:31], v[20:21]
	v_fma_f64 v[30:31], v[20:21], v[30:31], -v[18:19]
	v_div_fixup_f64 v[32:33], v[38:39], v[32:33], 1.0
	s_delay_alu instid0(VALU_DEP_1) | instskip(NEXT) | instid1(VALU_DEP_3)
	v_mul_f64_e32 v[38:39], v[40:41], v[32:33]
	v_mul_f64_e32 v[30:31], v[30:31], v[32:33]
.LBB128_183:                            ;   in Loop: Header=BB128_114 Depth=1
	s_or_b32 exec_lo, exec_lo, s1
	s_delay_alu instid0(VALU_DEP_1) | instskip(SKIP_2) | instid1(VALU_DEP_2)
	v_mul_f64_e32 v[32:33], s[10:11], v[30:31]
	v_mul_f64_e32 v[30:31], s[8:9], v[30:31]
	s_mov_b32 s1, 0
	v_fma_f64 v[32:33], s[8:9], v[38:39], -v[32:33]
	s_delay_alu instid0(VALU_DEP_2)
	v_fmac_f64_e32 v[30:31], s[10:11], v[38:39]
.LBB128_184:                            ;   in Loop: Header=BB128_114 Depth=1
	s_and_b32 vcc_lo, exec_lo, s1
	s_cbranch_vccz .LBB128_113
; %bb.185:                              ;   in Loop: Header=BB128_114 Depth=1
                                        ; implicit-def: $vgpr30_vgpr31
                                        ; implicit-def: $vgpr32_vgpr33
	s_and_saveexec_b32 s1, s0
	s_delay_alu instid0(SALU_CYCLE_1)
	s_xor_b32 s1, exec_lo, s1
	s_cbranch_execz .LBB128_191
; %bb.186:                              ;   in Loop: Header=BB128_114 Depth=1
	v_cmp_neq_f64_e32 vcc_lo, 0, v[22:23]
	v_cmp_neq_f64_e64 s0, 0, v[24:25]
                                        ; implicit-def: $vgpr30_vgpr31
                                        ; implicit-def: $vgpr32_vgpr33
	s_or_b32 s0, vcc_lo, s0
	s_delay_alu instid0(SALU_CYCLE_1) | instskip(NEXT) | instid1(SALU_CYCLE_1)
	s_and_saveexec_b32 s18, s0
	s_xor_b32 s0, exec_lo, s18
	s_cbranch_execz .LBB128_188
; %bb.187:                              ;   in Loop: Header=BB128_114 Depth=1
	v_div_scale_f64 v[26:27], null, v[22:23], v[22:23], v[24:25]
	v_div_scale_f64 v[32:33], vcc_lo, v[24:25], v[22:23], v[24:25]
	s_delay_alu instid0(VALU_DEP_2) | instskip(SKIP_1) | instid1(TRANS32_DEP_1)
	v_rcp_f64_e32 v[28:29], v[26:27]
	v_nop
	v_fma_f64 v[30:31], -v[26:27], v[28:29], 1.0
	s_delay_alu instid0(VALU_DEP_1) | instskip(NEXT) | instid1(VALU_DEP_1)
	v_fmac_f64_e32 v[28:29], v[28:29], v[30:31]
	v_fma_f64 v[30:31], -v[26:27], v[28:29], 1.0
	s_delay_alu instid0(VALU_DEP_1) | instskip(NEXT) | instid1(VALU_DEP_1)
	v_fmac_f64_e32 v[28:29], v[28:29], v[30:31]
	v_mul_f64_e32 v[30:31], v[32:33], v[28:29]
	s_delay_alu instid0(VALU_DEP_1) | instskip(NEXT) | instid1(VALU_DEP_1)
	v_fma_f64 v[26:27], -v[26:27], v[30:31], v[32:33]
	v_div_fmas_f64 v[26:27], v[26:27], v[28:29], v[30:31]
	s_delay_alu instid0(VALU_DEP_1) | instskip(NEXT) | instid1(VALU_DEP_1)
	v_div_fixup_f64 v[26:27], v[26:27], v[22:23], v[24:25]
	v_fmac_f64_e32 v[22:23], v[24:25], v[26:27]
	s_delay_alu instid0(VALU_DEP_1) | instskip(SKIP_1) | instid1(VALU_DEP_2)
	v_div_scale_f64 v[24:25], null, v[22:23], v[22:23], 1.0
	v_div_scale_f64 v[32:33], vcc_lo, 1.0, v[22:23], 1.0
	v_rcp_f64_e32 v[28:29], v[24:25]
	v_nop
	s_delay_alu instid0(TRANS32_DEP_1) | instskip(NEXT) | instid1(VALU_DEP_1)
	v_fma_f64 v[30:31], -v[24:25], v[28:29], 1.0
	v_fmac_f64_e32 v[28:29], v[28:29], v[30:31]
	s_delay_alu instid0(VALU_DEP_1) | instskip(NEXT) | instid1(VALU_DEP_1)
	v_fma_f64 v[30:31], -v[24:25], v[28:29], 1.0
	v_fmac_f64_e32 v[28:29], v[28:29], v[30:31]
	s_delay_alu instid0(VALU_DEP_1) | instskip(NEXT) | instid1(VALU_DEP_1)
	v_mul_f64_e32 v[30:31], v[32:33], v[28:29]
	v_fma_f64 v[24:25], -v[24:25], v[30:31], v[32:33]
	s_delay_alu instid0(VALU_DEP_1) | instskip(SKIP_2) | instid1(VALU_DEP_3)
	v_div_fmas_f64 v[24:25], v[24:25], v[28:29], v[30:31]
	v_fma_f64 v[28:29], v[20:21], v[26:27], v[18:19]
	v_fma_f64 v[18:19], -v[18:19], v[26:27], v[20:21]
                                        ; implicit-def: $vgpr26_vgpr27
	v_div_fixup_f64 v[22:23], v[24:25], v[22:23], 1.0
	s_delay_alu instid0(VALU_DEP_1) | instskip(NEXT) | instid1(VALU_DEP_3)
	v_mul_f64_e32 v[32:33], v[28:29], v[22:23]
	v_mul_f64_e32 v[30:31], v[18:19], v[22:23]
                                        ; implicit-def: $vgpr18_vgpr19
                                        ; implicit-def: $vgpr28_vgpr29
.LBB128_188:                            ;   in Loop: Header=BB128_114 Depth=1
	s_and_not1_saveexec_b32 s18, s0
	s_cbranch_execz .LBB128_190
; %bb.189:                              ;   in Loop: Header=BB128_114 Depth=1
	v_div_scale_f64 v[22:23], null, v[26:27], v[26:27], v[18:19]
	v_div_scale_f64 v[24:25], null, v[28:29], v[28:29], v[20:21]
	v_div_scale_f64 v[46:47], vcc_lo, v[18:19], v[26:27], v[18:19]
	s_delay_alu instid0(VALU_DEP_3) | instskip(NEXT) | instid1(VALU_DEP_2)
	v_rcp_f64_e32 v[30:31], v[22:23]
	v_rcp_f64_e32 v[32:33], v[24:25]
	s_delay_alu instid0(TRANS32_DEP_2) | instskip(NEXT) | instid1(TRANS32_DEP_1)
	v_fma_f64 v[38:39], -v[22:23], v[30:31], 1.0
	v_fma_f64 v[40:41], -v[24:25], v[32:33], 1.0
	s_delay_alu instid0(VALU_DEP_2) | instskip(NEXT) | instid1(VALU_DEP_2)
	v_fmac_f64_e32 v[30:31], v[30:31], v[38:39]
	v_fmac_f64_e32 v[32:33], v[32:33], v[40:41]
	s_delay_alu instid0(VALU_DEP_2) | instskip(NEXT) | instid1(VALU_DEP_2)
	v_fma_f64 v[38:39], -v[22:23], v[30:31], 1.0
	v_fma_f64 v[40:41], -v[24:25], v[32:33], 1.0
	s_delay_alu instid0(VALU_DEP_2) | instskip(SKIP_1) | instid1(VALU_DEP_3)
	v_fmac_f64_e32 v[30:31], v[30:31], v[38:39]
	v_div_scale_f64 v[38:39], s0, v[20:21], v[28:29], v[20:21]
	v_fmac_f64_e32 v[32:33], v[32:33], v[40:41]
	s_delay_alu instid0(VALU_DEP_3) | instskip(NEXT) | instid1(VALU_DEP_2)
	v_mul_f64_e32 v[40:41], v[46:47], v[30:31]
	v_mul_f64_e32 v[48:49], v[38:39], v[32:33]
	s_delay_alu instid0(VALU_DEP_2) | instskip(NEXT) | instid1(VALU_DEP_2)
	v_fma_f64 v[22:23], -v[22:23], v[40:41], v[46:47]
	v_fma_f64 v[24:25], -v[24:25], v[48:49], v[38:39]
	s_delay_alu instid0(VALU_DEP_2) | instskip(SKIP_1) | instid1(VALU_DEP_2)
	v_div_fmas_f64 v[22:23], v[22:23], v[30:31], v[40:41]
	s_mov_b32 vcc_lo, s0
	v_div_fmas_f64 v[24:25], v[24:25], v[32:33], v[48:49]
	s_delay_alu instid0(VALU_DEP_2) | instskip(NEXT) | instid1(VALU_DEP_2)
	v_div_fixup_f64 v[32:33], v[22:23], v[26:27], v[18:19]
	v_div_fixup_f64 v[30:31], v[24:25], v[28:29], v[20:21]
.LBB128_190:                            ;   in Loop: Header=BB128_114 Depth=1
	s_or_b32 exec_lo, exec_lo, s18
                                        ; implicit-def: $vgpr24_vgpr25
                                        ; implicit-def: $vgpr18_vgpr19
.LBB128_191:                            ;   in Loop: Header=BB128_114 Depth=1
	s_and_not1_saveexec_b32 s0, s1
	s_cbranch_execz .LBB128_112
; %bb.192:                              ;   in Loop: Header=BB128_114 Depth=1
	v_div_scale_f64 v[26:27], null, v[24:25], v[24:25], v[22:23]
	v_div_scale_f64 v[32:33], vcc_lo, v[22:23], v[24:25], v[22:23]
	s_delay_alu instid0(VALU_DEP_2) | instskip(SKIP_1) | instid1(TRANS32_DEP_1)
	v_rcp_f64_e32 v[28:29], v[26:27]
	v_nop
	v_fma_f64 v[30:31], -v[26:27], v[28:29], 1.0
	s_delay_alu instid0(VALU_DEP_1) | instskip(NEXT) | instid1(VALU_DEP_1)
	v_fmac_f64_e32 v[28:29], v[28:29], v[30:31]
	v_fma_f64 v[30:31], -v[26:27], v[28:29], 1.0
	s_delay_alu instid0(VALU_DEP_1) | instskip(NEXT) | instid1(VALU_DEP_1)
	v_fmac_f64_e32 v[28:29], v[28:29], v[30:31]
	v_mul_f64_e32 v[30:31], v[32:33], v[28:29]
	s_delay_alu instid0(VALU_DEP_1) | instskip(NEXT) | instid1(VALU_DEP_1)
	v_fma_f64 v[26:27], -v[26:27], v[30:31], v[32:33]
	v_div_fmas_f64 v[26:27], v[26:27], v[28:29], v[30:31]
	s_delay_alu instid0(VALU_DEP_1) | instskip(NEXT) | instid1(VALU_DEP_1)
	v_div_fixup_f64 v[26:27], v[26:27], v[24:25], v[22:23]
	v_fmac_f64_e32 v[24:25], v[22:23], v[26:27]
	s_delay_alu instid0(VALU_DEP_1) | instskip(SKIP_1) | instid1(VALU_DEP_2)
	v_div_scale_f64 v[22:23], null, v[24:25], v[24:25], 1.0
	v_div_scale_f64 v[32:33], vcc_lo, 1.0, v[24:25], 1.0
	v_rcp_f64_e32 v[28:29], v[22:23]
	v_nop
	s_delay_alu instid0(TRANS32_DEP_1) | instskip(NEXT) | instid1(VALU_DEP_1)
	v_fma_f64 v[30:31], -v[22:23], v[28:29], 1.0
	v_fmac_f64_e32 v[28:29], v[28:29], v[30:31]
	s_delay_alu instid0(VALU_DEP_1) | instskip(NEXT) | instid1(VALU_DEP_1)
	v_fma_f64 v[30:31], -v[22:23], v[28:29], 1.0
	v_fmac_f64_e32 v[28:29], v[28:29], v[30:31]
	s_delay_alu instid0(VALU_DEP_1) | instskip(NEXT) | instid1(VALU_DEP_1)
	v_mul_f64_e32 v[30:31], v[32:33], v[28:29]
	v_fma_f64 v[22:23], -v[22:23], v[30:31], v[32:33]
	s_delay_alu instid0(VALU_DEP_1) | instskip(SKIP_2) | instid1(VALU_DEP_3)
	v_div_fmas_f64 v[22:23], v[22:23], v[28:29], v[30:31]
	v_fma_f64 v[28:29], v[18:19], v[26:27], v[20:21]
	v_fma_f64 v[18:19], v[20:21], v[26:27], -v[18:19]
	v_div_fixup_f64 v[22:23], v[22:23], v[24:25], 1.0
	s_delay_alu instid0(VALU_DEP_1) | instskip(NEXT) | instid1(VALU_DEP_3)
	v_mul_f64_e32 v[32:33], v[28:29], v[22:23]
	v_mul_f64_e32 v[30:31], v[18:19], v[22:23]
	s_branch .LBB128_112
.LBB128_193:
	s_sendmsg sendmsg(MSG_DEALLOC_VGPRS)
	s_endpgm
	.section	.rodata,"a",@progbits
	.p2align	6, 0x0
	.amdhsa_kernel _ZN2at6native12_GLOBAL__N_125multi_tensor_apply_kernelINS1_28TensorListScalarListMetadataIN3c107complexIdEELi3EEENS1_28PointwiseOpScalarListFunctorIS6_Li3ELi3ELi0EEEJSt7dividesIS6_EEEEvT_T0_DpT1_
		.amdhsa_group_segment_fixed_size 0
		.amdhsa_private_segment_fixed_size 0
		.amdhsa_kernarg_size 4168
		.amdhsa_user_sgpr_count 2
		.amdhsa_user_sgpr_dispatch_ptr 0
		.amdhsa_user_sgpr_queue_ptr 0
		.amdhsa_user_sgpr_kernarg_segment_ptr 1
		.amdhsa_user_sgpr_dispatch_id 0
		.amdhsa_user_sgpr_kernarg_preload_length 0
		.amdhsa_user_sgpr_kernarg_preload_offset 0
		.amdhsa_user_sgpr_private_segment_size 0
		.amdhsa_wavefront_size32 1
		.amdhsa_uses_dynamic_stack 0
		.amdhsa_enable_private_segment 0
		.amdhsa_system_sgpr_workgroup_id_x 1
		.amdhsa_system_sgpr_workgroup_id_y 0
		.amdhsa_system_sgpr_workgroup_id_z 0
		.amdhsa_system_sgpr_workgroup_info 0
		.amdhsa_system_vgpr_workitem_id 0
		.amdhsa_next_free_vgpr 82
		.amdhsa_next_free_sgpr 34
		.amdhsa_named_barrier_count 0
		.amdhsa_reserve_vcc 1
		.amdhsa_float_round_mode_32 0
		.amdhsa_float_round_mode_16_64 0
		.amdhsa_float_denorm_mode_32 3
		.amdhsa_float_denorm_mode_16_64 3
		.amdhsa_fp16_overflow 0
		.amdhsa_memory_ordered 1
		.amdhsa_forward_progress 1
		.amdhsa_inst_pref_size 108
		.amdhsa_round_robin_scheduling 0
		.amdhsa_exception_fp_ieee_invalid_op 0
		.amdhsa_exception_fp_denorm_src 0
		.amdhsa_exception_fp_ieee_div_zero 0
		.amdhsa_exception_fp_ieee_overflow 0
		.amdhsa_exception_fp_ieee_underflow 0
		.amdhsa_exception_fp_ieee_inexact 0
		.amdhsa_exception_int_div_zero 0
	.end_amdhsa_kernel
	.section	.text._ZN2at6native12_GLOBAL__N_125multi_tensor_apply_kernelINS1_28TensorListScalarListMetadataIN3c107complexIdEELi3EEENS1_28PointwiseOpScalarListFunctorIS6_Li3ELi3ELi0EEEJSt7dividesIS6_EEEEvT_T0_DpT1_,"axG",@progbits,_ZN2at6native12_GLOBAL__N_125multi_tensor_apply_kernelINS1_28TensorListScalarListMetadataIN3c107complexIdEELi3EEENS1_28PointwiseOpScalarListFunctorIS6_Li3ELi3ELi0EEEJSt7dividesIS6_EEEEvT_T0_DpT1_,comdat
.Lfunc_end128:
	.size	_ZN2at6native12_GLOBAL__N_125multi_tensor_apply_kernelINS1_28TensorListScalarListMetadataIN3c107complexIdEELi3EEENS1_28PointwiseOpScalarListFunctorIS6_Li3ELi3ELi0EEEJSt7dividesIS6_EEEEvT_T0_DpT1_, .Lfunc_end128-_ZN2at6native12_GLOBAL__N_125multi_tensor_apply_kernelINS1_28TensorListScalarListMetadataIN3c107complexIdEELi3EEENS1_28PointwiseOpScalarListFunctorIS6_Li3ELi3ELi0EEEJSt7dividesIS6_EEEEvT_T0_DpT1_
                                        ; -- End function
	.set _ZN2at6native12_GLOBAL__N_125multi_tensor_apply_kernelINS1_28TensorListScalarListMetadataIN3c107complexIdEELi3EEENS1_28PointwiseOpScalarListFunctorIS6_Li3ELi3ELi0EEEJSt7dividesIS6_EEEEvT_T0_DpT1_.num_vgpr, 82
	.set _ZN2at6native12_GLOBAL__N_125multi_tensor_apply_kernelINS1_28TensorListScalarListMetadataIN3c107complexIdEELi3EEENS1_28PointwiseOpScalarListFunctorIS6_Li3ELi3ELi0EEEJSt7dividesIS6_EEEEvT_T0_DpT1_.num_agpr, 0
	.set _ZN2at6native12_GLOBAL__N_125multi_tensor_apply_kernelINS1_28TensorListScalarListMetadataIN3c107complexIdEELi3EEENS1_28PointwiseOpScalarListFunctorIS6_Li3ELi3ELi0EEEJSt7dividesIS6_EEEEvT_T0_DpT1_.numbered_sgpr, 34
	.set _ZN2at6native12_GLOBAL__N_125multi_tensor_apply_kernelINS1_28TensorListScalarListMetadataIN3c107complexIdEELi3EEENS1_28PointwiseOpScalarListFunctorIS6_Li3ELi3ELi0EEEJSt7dividesIS6_EEEEvT_T0_DpT1_.num_named_barrier, 0
	.set _ZN2at6native12_GLOBAL__N_125multi_tensor_apply_kernelINS1_28TensorListScalarListMetadataIN3c107complexIdEELi3EEENS1_28PointwiseOpScalarListFunctorIS6_Li3ELi3ELi0EEEJSt7dividesIS6_EEEEvT_T0_DpT1_.private_seg_size, 0
	.set _ZN2at6native12_GLOBAL__N_125multi_tensor_apply_kernelINS1_28TensorListScalarListMetadataIN3c107complexIdEELi3EEENS1_28PointwiseOpScalarListFunctorIS6_Li3ELi3ELi0EEEJSt7dividesIS6_EEEEvT_T0_DpT1_.uses_vcc, 1
	.set _ZN2at6native12_GLOBAL__N_125multi_tensor_apply_kernelINS1_28TensorListScalarListMetadataIN3c107complexIdEELi3EEENS1_28PointwiseOpScalarListFunctorIS6_Li3ELi3ELi0EEEJSt7dividesIS6_EEEEvT_T0_DpT1_.uses_flat_scratch, 0
	.set _ZN2at6native12_GLOBAL__N_125multi_tensor_apply_kernelINS1_28TensorListScalarListMetadataIN3c107complexIdEELi3EEENS1_28PointwiseOpScalarListFunctorIS6_Li3ELi3ELi0EEEJSt7dividesIS6_EEEEvT_T0_DpT1_.has_dyn_sized_stack, 0
	.set _ZN2at6native12_GLOBAL__N_125multi_tensor_apply_kernelINS1_28TensorListScalarListMetadataIN3c107complexIdEELi3EEENS1_28PointwiseOpScalarListFunctorIS6_Li3ELi3ELi0EEEJSt7dividesIS6_EEEEvT_T0_DpT1_.has_recursion, 0
	.set _ZN2at6native12_GLOBAL__N_125multi_tensor_apply_kernelINS1_28TensorListScalarListMetadataIN3c107complexIdEELi3EEENS1_28PointwiseOpScalarListFunctorIS6_Li3ELi3ELi0EEEJSt7dividesIS6_EEEEvT_T0_DpT1_.has_indirect_call, 0
	.section	.AMDGPU.csdata,"",@progbits
; Kernel info:
; codeLenInByte = 13824
; TotalNumSgprs: 36
; NumVgprs: 82
; ScratchSize: 0
; MemoryBound: 1
; FloatMode: 240
; IeeeMode: 1
; LDSByteSize: 0 bytes/workgroup (compile time only)
; SGPRBlocks: 0
; VGPRBlocks: 5
; NumSGPRsForWavesPerEU: 36
; NumVGPRsForWavesPerEU: 82
; NamedBarCnt: 0
; Occupancy: 10
; WaveLimiterHint : 0
; COMPUTE_PGM_RSRC2:SCRATCH_EN: 0
; COMPUTE_PGM_RSRC2:USER_SGPR: 2
; COMPUTE_PGM_RSRC2:TRAP_HANDLER: 0
; COMPUTE_PGM_RSRC2:TGID_X_EN: 1
; COMPUTE_PGM_RSRC2:TGID_Y_EN: 0
; COMPUTE_PGM_RSRC2:TGID_Z_EN: 0
; COMPUTE_PGM_RSRC2:TIDIG_COMP_CNT: 0
	.section	.text._ZN2at6native12_GLOBAL__N_125multi_tensor_apply_kernelINS1_28TensorListScalarListMetadataIN3c107complexIfEELi3EEENS1_28PointwiseOpScalarListFunctorIS6_Li3ELi3ELi0EEEJSt7dividesIS6_EEEEvT_T0_DpT1_,"axG",@progbits,_ZN2at6native12_GLOBAL__N_125multi_tensor_apply_kernelINS1_28TensorListScalarListMetadataIN3c107complexIfEELi3EEENS1_28PointwiseOpScalarListFunctorIS6_Li3ELi3ELi0EEEJSt7dividesIS6_EEEEvT_T0_DpT1_,comdat
	.globl	_ZN2at6native12_GLOBAL__N_125multi_tensor_apply_kernelINS1_28TensorListScalarListMetadataIN3c107complexIfEELi3EEENS1_28PointwiseOpScalarListFunctorIS6_Li3ELi3ELi0EEEJSt7dividesIS6_EEEEvT_T0_DpT1_ ; -- Begin function _ZN2at6native12_GLOBAL__N_125multi_tensor_apply_kernelINS1_28TensorListScalarListMetadataIN3c107complexIfEELi3EEENS1_28PointwiseOpScalarListFunctorIS6_Li3ELi3ELi0EEEJSt7dividesIS6_EEEEvT_T0_DpT1_
	.p2align	8
	.type	_ZN2at6native12_GLOBAL__N_125multi_tensor_apply_kernelINS1_28TensorListScalarListMetadataIN3c107complexIfEELi3EEENS1_28PointwiseOpScalarListFunctorIS6_Li3ELi3ELi0EEEJSt7dividesIS6_EEEEvT_T0_DpT1_,@function
_ZN2at6native12_GLOBAL__N_125multi_tensor_apply_kernelINS1_28TensorListScalarListMetadataIN3c107complexIfEELi3EEENS1_28PointwiseOpScalarListFunctorIS6_Li3ELi3ELi0EEEJSt7dividesIS6_EEEEvT_T0_DpT1_: ; @_ZN2at6native12_GLOBAL__N_125multi_tensor_apply_kernelINS1_28TensorListScalarListMetadataIN3c107complexIfEELi3EEENS1_28PointwiseOpScalarListFunctorIS6_Li3ELi3ELi0EEEJSt7dividesIS6_EEEEvT_T0_DpT1_
; %bb.0:
	s_bfe_u32 s2, ttmp6, 0x4000c
	s_and_b32 s3, ttmp6, 15
	s_add_co_i32 s2, s2, 1
	s_getreg_b32 s4, hwreg(HW_REG_IB_STS2, 6, 4)
	s_mul_i32 s2, ttmp9, s2
	s_mov_b32 s19, 0
	s_add_co_i32 s3, s3, s2
	s_cmp_eq_u32 s4, 0
	s_cselect_b32 s18, ttmp9, s3
	s_load_u8 s12, s[0:1], s18 offset:0x780
	s_add_nc_u64 s[2:3], s[0:1], s[18:19]
	s_mul_u64 s[4:5], s[18:19], 3
	s_delay_alu instid0(SALU_CYCLE_1)
	s_add_nc_u64 s[10:11], s[2:3], s[4:5]
	s_load_b32 s20, s[10:11], 0x8c0
	s_wait_kmcnt 0x0
	s_clause 0x4
	s_load_b64 s[2:3], s[0:1], s12 offset:0x180 scale_offset
	s_load_b64 s[4:5], s[0:1], s12 offset:0x300 scale_offset
	;; [unrolled: 1-line block ×5, first 2 shown]
	s_ashr_i32 s21, s20, 31
	s_delay_alu instid0(SALU_CYCLE_1)
	s_lshl_b64 s[16:17], s[20:21], 19
	s_wait_kmcnt 0x0
	s_add_nc_u64 s[10:11], s[2:3], s[16:17]
	s_add_nc_u64 s[12:13], s[4:5], s[16:17]
	;; [unrolled: 1-line block ×3, first 2 shown]
	s_or_b32 s18, s12, s10
	s_and_b64 s[24:25], s[14:15], 31
	s_and_b32 s18, s18, 31
	s_delay_alu instid0(SALU_CYCLE_1) | instskip(SKIP_4) | instid1(SALU_CYCLE_1)
	s_cmp_eq_u32 s18, 0
	s_cselect_b32 s26, -1, 0
	s_and_b32 s18, s22, 3
	s_lshl_b64 s[20:21], s[20:21], 16
	s_or_b64 s[18:19], s[24:25], s[18:19]
	s_cmp_eq_u64 s[18:19], 0
	s_cselect_b32 s18, -1, 0
	s_delay_alu instid0(SALU_CYCLE_1)
	s_and_b32 s24, s26, s18
	s_sub_nc_u64 s[18:19], s[22:23], s[20:21]
	s_and_b32 vcc_lo, exec_lo, s24
	s_mov_b32 s20, -1
	s_cbranch_vccnz .LBB129_109
; %bb.1:
	v_cmp_lt_i64_e64 s20, s[18:19], 1
	s_and_b32 vcc_lo, exec_lo, s20
	s_cbranch_vccnz .LBB129_108
; %bb.2:
	s_load_b32 s20, s[0:1], 0xdd4
	v_min_i64 v[2:3], 0x10000, s[18:19]
	v_min_u64 v[4:5], 0x10000, s[18:19]
	v_dual_mov_b32 v1, 0 :: v_dual_lshlrev_b32 v18, 3, v0
	s_and_b32 s28, s9, 0x7fffffff
	s_mov_b32 s25, 0
	s_delay_alu instid0(VALU_DEP_1) | instskip(SKIP_3) | instid1(VALU_DEP_1)
	v_dual_mov_b32 v19, v1 :: v_dual_mov_b32 v35, v1
	s_mov_b32 s23, s25
	s_mov_b32 s29, s25
	;; [unrolled: 1-line block ×3, first 2 shown]
	v_add_nc_u64_e32 v[6:7], s[6:7], v[18:19]
	v_add_nc_u64_e32 v[8:9], s[2:3], v[18:19]
	;; [unrolled: 1-line block ×3, first 2 shown]
	s_mov_b32 s21, s25
	s_wait_kmcnt 0x0
	s_and_b32 s24, s20, 0xffff
	s_delay_alu instid0(SALU_CYCLE_1)
	s_lshl_b32 s22, s24, 1
	s_cmp_lg_u32 s28, 0
	v_add_nc_u64_e32 v[12:13], s[24:25], v[0:1]
	s_cselect_b32 s30, -1, 0
	s_cmp_neq_f32 s8, 1.0
	v_mad_nc_u64_u32 v[22:23], s24, 24, v[18:19]
	v_add_nc_u64_e32 v[16:17], s[22:23], v[0:1]
	s_mul_i32 s26, s24, 3
	s_cselect_b32 s22, -1, 0
	s_lshl_b32 s28, s24, 4
	v_lshlrev_b32_e32 v34, 3, v12
	v_add_nc_u64_e32 v[30:31], s[28:29], v[18:19]
	v_add_nc_u64_e32 v[14:15], s[26:27], v[0:1]
	s_lshl_b32 s20, s24, 2
	s_or_b32 s28, s22, s30
	v_add_nc_u64_e32 v[24:25], s[6:7], v[34:35]
	v_add_nc_u64_e32 v[18:19], s[6:7], v[22:23]
	;; [unrolled: 1-line block ×9, first 2 shown]
	s_mov_b32 s22, s9
	s_mov_b32 s23, s8
	s_lshl_b32 s24, s24, 5
	s_mov_b64 s[26:27], 0
	s_branch .LBB129_4
.LBB129_3:                              ;   in Loop: Header=BB129_4 Depth=1
	s_wait_xcnt 0x0
	s_or_b32 exec_lo, exec_lo, s2
	s_add_nc_u64 s[26:27], s[26:27], s[20:21]
	v_add_nc_u64_e32 v[6:7], s[24:25], v[6:7]
	v_cmp_ge_i64_e32 vcc_lo, s[26:27], v[2:3]
	v_add_nc_u64_e32 v[8:9], s[24:25], v[8:9]
	v_add_nc_u64_e32 v[10:11], s[24:25], v[10:11]
	;; [unrolled: 1-line block ×11, first 2 shown]
	s_cbranch_vccnz .LBB129_108
.LBB129_4:                              ; =>This Inner Loop Header: Depth=1
	v_add_nc_u64_e32 v[38:39], s[26:27], v[0:1]
	v_dual_mov_b32 v37, 0 :: v_dual_mov_b32 v36, 0
	v_dual_mov_b32 v54, 0 :: v_dual_mov_b32 v55, 0
	s_delay_alu instid0(VALU_DEP_3)
	v_cmp_lt_u64_e64 s2, v[38:39], v[4:5]
	s_and_saveexec_b32 s3, s2
	s_cbranch_execz .LBB129_6
; %bb.5:                                ;   in Loop: Header=BB129_4 Depth=1
	v_add_nc_u64_e32 v[38:39], s[16:17], v[8:9]
	v_add_nc_u64_e32 v[40:41], s[16:17], v[6:7]
	global_load_b64 v[42:43], v[38:39], off
	global_load_b64 v[36:37], v[40:41], off
	s_wait_loadcnt 0x1
	v_dual_mov_b32 v54, v43 :: v_dual_mov_b32 v55, v42
.LBB129_6:                              ;   in Loop: Header=BB129_4 Depth=1
	s_wait_xcnt 0x0
	s_or_b32 exec_lo, exec_lo, s3
	v_dual_mov_b32 v39, 0 :: v_dual_mov_b32 v61, 0
	v_mov_b32_e32 v60, 0
	s_and_saveexec_b32 s3, s2
	s_cbranch_execz .LBB129_8
; %bb.7:                                ;   in Loop: Header=BB129_4 Depth=1
	v_add_nc_u64_e32 v[40:41], s[16:17], v[10:11]
	global_load_b64 v[60:61], v[40:41], off
.LBB129_8:                              ;   in Loop: Header=BB129_4 Depth=1
	s_wait_xcnt 0x0
	s_or_b32 exec_lo, exec_lo, s3
	v_add_nc_u64_e32 v[40:41], s[26:27], v[12:13]
	v_dual_mov_b32 v38, 0 :: v_dual_mov_b32 v56, 0
	v_mov_b32_e32 v57, 0
	s_delay_alu instid0(VALU_DEP_3)
	v_cmp_lt_u64_e64 s3, v[40:41], v[4:5]
	s_and_saveexec_b32 s4, s3
	s_cbranch_execz .LBB129_10
; %bb.9:                                ;   in Loop: Header=BB129_4 Depth=1
	v_add_nc_u64_e32 v[40:41], s[16:17], v[32:33]
	v_add_nc_u64_e32 v[42:43], s[16:17], v[24:25]
	global_load_b64 v[44:45], v[40:41], off
	global_load_b64 v[38:39], v[42:43], off
	s_wait_loadcnt 0x1
	v_dual_mov_b32 v56, v45 :: v_dual_mov_b32 v57, v44
.LBB129_10:                             ;   in Loop: Header=BB129_4 Depth=1
	s_wait_xcnt 0x0
	s_or_b32 exec_lo, exec_lo, s4
	v_dual_mov_b32 v41, 0 :: v_dual_mov_b32 v59, 0
	v_mov_b32_e32 v58, 0
	s_and_saveexec_b32 s4, s3
	s_cbranch_execz .LBB129_12
; %bb.11:                               ;   in Loop: Header=BB129_4 Depth=1
	v_add_nc_u64_e32 v[42:43], s[16:17], v[34:35]
	global_load_b64 v[58:59], v[42:43], off
.LBB129_12:                             ;   in Loop: Header=BB129_4 Depth=1
	s_wait_xcnt 0x0
	s_or_b32 exec_lo, exec_lo, s4
	v_add_nc_u64_e32 v[42:43], s[26:27], v[16:17]
	v_dual_mov_b32 v40, 0 :: v_dual_mov_b32 v50, 0
	v_mov_b32_e32 v51, 0
	s_delay_alu instid0(VALU_DEP_3)
	v_cmp_lt_u64_e64 s4, v[42:43], v[4:5]
	s_and_saveexec_b32 s5, s4
	s_cbranch_execz .LBB129_14
; %bb.13:                               ;   in Loop: Header=BB129_4 Depth=1
	v_add_nc_u64_e32 v[42:43], s[16:17], v[28:29]
	v_add_nc_u64_e32 v[44:45], s[16:17], v[26:27]
	global_load_b64 v[46:47], v[42:43], off
	global_load_b64 v[40:41], v[44:45], off
	s_wait_loadcnt 0x1
	v_dual_mov_b32 v50, v47 :: v_dual_mov_b32 v51, v46
.LBB129_14:                             ;   in Loop: Header=BB129_4 Depth=1
	s_wait_xcnt 0x0
	s_or_b32 exec_lo, exec_lo, s5
	v_dual_mov_b32 v43, 0 :: v_dual_mov_b32 v53, 0
	v_mov_b32_e32 v52, 0
	s_and_saveexec_b32 s5, s4
	s_cbranch_execz .LBB129_16
; %bb.15:                               ;   in Loop: Header=BB129_4 Depth=1
	v_add_nc_u64_e32 v[44:45], s[16:17], v[30:31]
	global_load_b64 v[52:53], v[44:45], off
.LBB129_16:                             ;   in Loop: Header=BB129_4 Depth=1
	s_wait_xcnt 0x0
	s_or_b32 exec_lo, exec_lo, s5
	v_add_nc_u64_e32 v[44:45], s[26:27], v[14:15]
	v_mov_b32_e32 v42, 0
	s_delay_alu instid0(VALU_DEP_2)
	v_cmp_lt_u64_e64 s5, v[44:45], v[4:5]
	v_dual_mov_b32 v44, 0 :: v_dual_mov_b32 v45, 0
	s_and_saveexec_b32 s6, s5
	s_cbranch_execz .LBB129_18
; %bb.17:                               ;   in Loop: Header=BB129_4 Depth=1
	v_add_nc_u64_e32 v[44:45], s[16:17], v[20:21]
	v_add_nc_u64_e32 v[46:47], s[16:17], v[18:19]
	global_load_b64 v[48:49], v[44:45], off
	global_load_b64 v[42:43], v[46:47], off
	s_wait_loadcnt 0x1
	s_wait_xcnt 0x1
	v_dual_mov_b32 v44, v49 :: v_dual_mov_b32 v45, v48
.LBB129_18:                             ;   in Loop: Header=BB129_4 Depth=1
	s_wait_xcnt 0x0
	s_or_b32 exec_lo, exec_lo, s6
	v_dual_mov_b32 v47, 0 :: v_dual_mov_b32 v46, 0
	s_and_saveexec_b32 s6, s5
	s_cbranch_execz .LBB129_20
; %bb.19:                               ;   in Loop: Header=BB129_4 Depth=1
	v_add_nc_u64_e32 v[46:47], s[16:17], v[22:23]
	global_load_b64 v[46:47], v[46:47], off
.LBB129_20:                             ;   in Loop: Header=BB129_4 Depth=1
	s_wait_xcnt 0x0
	s_or_b32 exec_lo, exec_lo, s6
	s_wait_loadcnt 0x0
	v_cmp_gt_f32_e32 vcc_lo, 0, v60
	s_mov_b32 s7, -1
                                        ; implicit-def: $vgpr49
	v_cndmask_b32_e64 v63, v60, -v60, vcc_lo
	v_cmp_gt_f32_e32 vcc_lo, 0, v61
	v_cndmask_b32_e64 v64, v61, -v61, vcc_lo
	s_and_b32 vcc_lo, exec_lo, s28
	s_delay_alu instid0(VALU_DEP_1)
	v_cmp_ge_f32_e64 s6, v63, v64
	s_cbranch_vccz .LBB129_30
; %bb.21:                               ;   in Loop: Header=BB129_4 Depth=1
                                        ; implicit-def: $vgpr62
                                        ; implicit-def: $vgpr48
	s_and_saveexec_b32 s7, s6
	s_delay_alu instid0(SALU_CYCLE_1)
	s_xor_b32 s29, exec_lo, s7
	s_cbranch_execz .LBB129_27
; %bb.22:                               ;   in Loop: Header=BB129_4 Depth=1
	v_cmp_neq_f32_e32 vcc_lo, 0, v60
	v_cmp_neq_f32_e64 s7, 0, v61
                                        ; implicit-def: $vgpr62
                                        ; implicit-def: $vgpr48
	s_or_b32 s7, s7, vcc_lo
	s_delay_alu instid0(SALU_CYCLE_1) | instskip(NEXT) | instid1(SALU_CYCLE_1)
	s_and_saveexec_b32 s30, s7
	s_xor_b32 s7, exec_lo, s30
	s_cbranch_execz .LBB129_24
; %bb.23:                               ;   in Loop: Header=BB129_4 Depth=1
	v_div_scale_f32 v48, null, v60, v60, v61
	v_div_scale_f32 v65, vcc_lo, v61, v60, v61
	s_delay_alu instid0(VALU_DEP_2) | instskip(SKIP_1) | instid1(TRANS32_DEP_1)
	v_rcp_f32_e32 v49, v48
	v_nop
	v_fma_f32 v62, -v48, v49, 1.0
	s_delay_alu instid0(VALU_DEP_1) | instskip(NEXT) | instid1(VALU_DEP_1)
	v_fmac_f32_e32 v49, v62, v49
	v_mul_f32_e32 v62, v65, v49
	s_delay_alu instid0(VALU_DEP_1) | instskip(NEXT) | instid1(VALU_DEP_1)
	v_fma_f32 v66, -v48, v62, v65
	v_fmac_f32_e32 v62, v66, v49
	s_delay_alu instid0(VALU_DEP_1) | instskip(NEXT) | instid1(VALU_DEP_1)
	v_fma_f32 v48, -v48, v62, v65
	v_div_fmas_f32 v48, v48, v49, v62
	s_delay_alu instid0(VALU_DEP_1) | instskip(NEXT) | instid1(VALU_DEP_1)
	v_div_fixup_f32 v48, v48, v60, v61
	v_fma_f32 v49, v61, v48, v60
	s_delay_alu instid0(VALU_DEP_1) | instskip(SKIP_1) | instid1(VALU_DEP_2)
	v_div_scale_f32 v62, null, v49, v49, 1.0
	v_div_scale_f32 v67, vcc_lo, 1.0, v49, 1.0
	v_rcp_f32_e32 v65, v62
	v_nop
	s_delay_alu instid0(TRANS32_DEP_1) | instskip(NEXT) | instid1(VALU_DEP_1)
	v_fma_f32 v66, -v62, v65, 1.0
	v_fmac_f32_e32 v65, v66, v65
	s_delay_alu instid0(VALU_DEP_1) | instskip(NEXT) | instid1(VALU_DEP_1)
	v_mul_f32_e32 v66, v67, v65
	v_fma_f32 v68, -v62, v66, v67
	s_delay_alu instid0(VALU_DEP_1) | instskip(NEXT) | instid1(VALU_DEP_1)
	v_fmac_f32_e32 v66, v68, v65
	v_fma_f32 v62, -v62, v66, v67
	s_delay_alu instid0(VALU_DEP_1) | instskip(SKIP_1) | instid1(VALU_DEP_2)
	v_div_fmas_f32 v62, v62, v65, v66
	v_fma_f32 v65, v54, v48, v55
	v_div_fixup_f32 v49, v62, v49, 1.0
	s_delay_alu instid0(VALU_DEP_1) | instskip(NEXT) | instid1(VALU_DEP_1)
	v_dual_fma_f32 v62, -v55, v48, v54 :: v_dual_mul_f32 v48, v65, v49
	v_mul_f32_e32 v62, v62, v49
.LBB129_24:                             ;   in Loop: Header=BB129_4 Depth=1
	s_and_not1_saveexec_b32 s30, s7
	s_cbranch_execz .LBB129_26
; %bb.25:                               ;   in Loop: Header=BB129_4 Depth=1
	v_div_scale_f32 v48, null, v63, v63, v55
	v_div_scale_f32 v49, null, v64, v64, v54
	v_div_scale_f32 v68, vcc_lo, v55, v63, v55
	s_delay_alu instid0(VALU_DEP_3) | instskip(NEXT) | instid1(VALU_DEP_2)
	v_rcp_f32_e32 v62, v48
	v_rcp_f32_e32 v65, v49
	s_delay_alu instid0(TRANS32_DEP_2) | instskip(NEXT) | instid1(TRANS32_DEP_1)
	v_fma_f32 v66, -v48, v62, 1.0
	v_fma_f32 v67, -v49, v65, 1.0
	s_delay_alu instid0(VALU_DEP_1) | instskip(SKIP_1) | instid1(VALU_DEP_1)
	v_dual_fmac_f32 v62, v66, v62 :: v_dual_fmac_f32 v65, v67, v65
	v_div_scale_f32 v66, s7, v54, v64, v54
	v_dual_mul_f32 v67, v68, v62 :: v_dual_mul_f32 v69, v66, v65
	s_delay_alu instid0(VALU_DEP_1) | instskip(NEXT) | instid1(VALU_DEP_1)
	v_dual_fma_f32 v70, -v48, v67, v68 :: v_dual_fma_f32 v71, -v49, v69, v66
	v_dual_fmac_f32 v67, v70, v62 :: v_dual_fmac_f32 v69, v71, v65
	s_delay_alu instid0(VALU_DEP_1) | instskip(NEXT) | instid1(VALU_DEP_1)
	v_dual_fma_f32 v48, -v48, v67, v68 :: v_dual_fma_f32 v49, -v49, v69, v66
	v_div_fmas_f32 v48, v48, v62, v67
	s_mov_b32 vcc_lo, s7
	s_delay_alu instid0(VALU_DEP_2) | instskip(NEXT) | instid1(VALU_DEP_2)
	v_div_fmas_f32 v49, v49, v65, v69
	v_div_fixup_f32 v48, v48, v63, v55
	s_delay_alu instid0(VALU_DEP_2)
	v_div_fixup_f32 v62, v49, v64, v54
.LBB129_26:                             ;   in Loop: Header=BB129_4 Depth=1
	s_or_b32 exec_lo, exec_lo, s30
.LBB129_27:                             ;   in Loop: Header=BB129_4 Depth=1
	s_and_not1_saveexec_b32 s7, s29
	s_cbranch_execz .LBB129_29
; %bb.28:                               ;   in Loop: Header=BB129_4 Depth=1
	v_div_scale_f32 v48, null, v61, v61, v60
	v_div_scale_f32 v65, vcc_lo, v60, v61, v60
	s_delay_alu instid0(VALU_DEP_2) | instskip(SKIP_1) | instid1(TRANS32_DEP_1)
	v_rcp_f32_e32 v49, v48
	v_nop
	v_fma_f32 v62, -v48, v49, 1.0
	s_delay_alu instid0(VALU_DEP_1) | instskip(NEXT) | instid1(VALU_DEP_1)
	v_fmac_f32_e32 v49, v62, v49
	v_mul_f32_e32 v62, v65, v49
	s_delay_alu instid0(VALU_DEP_1) | instskip(NEXT) | instid1(VALU_DEP_1)
	v_fma_f32 v66, -v48, v62, v65
	v_fmac_f32_e32 v62, v66, v49
	s_delay_alu instid0(VALU_DEP_1) | instskip(NEXT) | instid1(VALU_DEP_1)
	v_fma_f32 v48, -v48, v62, v65
	v_div_fmas_f32 v48, v48, v49, v62
	s_delay_alu instid0(VALU_DEP_1) | instskip(NEXT) | instid1(VALU_DEP_1)
	v_div_fixup_f32 v48, v48, v61, v60
	v_fma_f32 v49, v60, v48, v61
	s_delay_alu instid0(VALU_DEP_1) | instskip(SKIP_1) | instid1(VALU_DEP_2)
	v_div_scale_f32 v62, null, v49, v49, 1.0
	v_div_scale_f32 v67, vcc_lo, 1.0, v49, 1.0
	v_rcp_f32_e32 v65, v62
	v_nop
	s_delay_alu instid0(TRANS32_DEP_1) | instskip(NEXT) | instid1(VALU_DEP_1)
	v_fma_f32 v66, -v62, v65, 1.0
	v_fmac_f32_e32 v65, v66, v65
	s_delay_alu instid0(VALU_DEP_1) | instskip(NEXT) | instid1(VALU_DEP_1)
	v_mul_f32_e32 v66, v67, v65
	v_fma_f32 v68, -v62, v66, v67
	s_delay_alu instid0(VALU_DEP_1) | instskip(NEXT) | instid1(VALU_DEP_1)
	v_fmac_f32_e32 v66, v68, v65
	v_fma_f32 v62, -v62, v66, v67
	s_delay_alu instid0(VALU_DEP_1) | instskip(SKIP_1) | instid1(VALU_DEP_2)
	v_div_fmas_f32 v62, v62, v65, v66
	v_fma_f32 v65, v55, v48, v54
	v_div_fixup_f32 v49, v62, v49, 1.0
	s_delay_alu instid0(VALU_DEP_1) | instskip(NEXT) | instid1(VALU_DEP_1)
	v_dual_fma_f32 v62, v54, v48, -v55 :: v_dual_mul_f32 v48, v65, v49
	v_mul_f32_e32 v62, v62, v49
.LBB129_29:                             ;   in Loop: Header=BB129_4 Depth=1
	s_or_b32 exec_lo, exec_lo, s7
	v_mov_b64_e32 v[66:67], s[8:9]
	v_mov_b64_e32 v[68:69], s[22:23]
	s_mov_b32 s7, 0
	s_delay_alu instid0(VALU_DEP_2) | instskip(NEXT) | instid1(VALU_DEP_2)
	v_pk_mul_f32 v[66:67], v[62:63], v[66:67] op_sel_hi:[0,1]
	v_pk_mul_f32 v[70:71], v[48:49], v[68:69] op_sel_hi:[0,1]
	s_delay_alu instid0(VALU_DEP_2) | instskip(NEXT) | instid1(VALU_DEP_2)
	v_pk_fma_f32 v[48:49], v[48:49], v[68:69], v[66:67] op_sel_hi:[0,1,1] neg_lo:[0,0,1] neg_hi:[0,0,1]
	v_add_f32_e32 v48, v70, v66
.LBB129_30:                             ;   in Loop: Header=BB129_4 Depth=1
	s_and_b32 vcc_lo, exec_lo, s7
	s_cbranch_vccz .LBB129_40
; %bb.31:                               ;   in Loop: Header=BB129_4 Depth=1
                                        ; implicit-def: $vgpr49
	s_and_saveexec_b32 s7, s6
	s_delay_alu instid0(SALU_CYCLE_1)
	s_xor_b32 s7, exec_lo, s7
	s_cbranch_execz .LBB129_37
; %bb.32:                               ;   in Loop: Header=BB129_4 Depth=1
	v_cmp_neq_f32_e32 vcc_lo, 0, v60
	v_cmp_neq_f32_e64 s6, 0, v61
                                        ; implicit-def: $vgpr49
	s_or_b32 s6, s6, vcc_lo
	s_delay_alu instid0(SALU_CYCLE_1) | instskip(NEXT) | instid1(SALU_CYCLE_1)
	s_and_saveexec_b32 s29, s6
	s_xor_b32 s6, exec_lo, s29
	s_cbranch_execz .LBB129_34
; %bb.33:                               ;   in Loop: Header=BB129_4 Depth=1
	v_div_scale_f32 v48, null, v60, v60, v61
	v_div_scale_f32 v63, vcc_lo, v61, v60, v61
	s_delay_alu instid0(VALU_DEP_2) | instskip(SKIP_1) | instid1(TRANS32_DEP_1)
	v_rcp_f32_e32 v49, v48
	v_nop
	v_fma_f32 v62, -v48, v49, 1.0
	s_delay_alu instid0(VALU_DEP_1) | instskip(NEXT) | instid1(VALU_DEP_1)
	v_fmac_f32_e32 v49, v62, v49
	v_mul_f32_e32 v62, v63, v49
	s_delay_alu instid0(VALU_DEP_1) | instskip(NEXT) | instid1(VALU_DEP_1)
	v_fma_f32 v64, -v48, v62, v63
	v_fmac_f32_e32 v62, v64, v49
	s_delay_alu instid0(VALU_DEP_1) | instskip(NEXT) | instid1(VALU_DEP_1)
	v_fma_f32 v48, -v48, v62, v63
	v_div_fmas_f32 v48, v48, v49, v62
	s_delay_alu instid0(VALU_DEP_1) | instskip(NEXT) | instid1(VALU_DEP_1)
	v_div_fixup_f32 v48, v48, v60, v61
	v_fmac_f32_e32 v60, v61, v48
	s_delay_alu instid0(VALU_DEP_1) | instskip(SKIP_1) | instid1(VALU_DEP_2)
	v_div_scale_f32 v49, null, v60, v60, 1.0
	v_div_scale_f32 v63, vcc_lo, 1.0, v60, 1.0
	v_rcp_f32_e32 v61, v49
	v_nop
	s_delay_alu instid0(TRANS32_DEP_1) | instskip(NEXT) | instid1(VALU_DEP_1)
	v_fma_f32 v62, -v49, v61, 1.0
	v_fmac_f32_e32 v61, v62, v61
	s_delay_alu instid0(VALU_DEP_1) | instskip(NEXT) | instid1(VALU_DEP_1)
	v_mul_f32_e32 v62, v63, v61
	v_fma_f32 v64, -v49, v62, v63
	s_delay_alu instid0(VALU_DEP_1) | instskip(NEXT) | instid1(VALU_DEP_1)
	v_fmac_f32_e32 v62, v64, v61
                                        ; implicit-def: $vgpr64
	v_fma_f32 v49, -v49, v62, v63
	s_delay_alu instid0(VALU_DEP_1) | instskip(SKIP_2) | instid1(VALU_DEP_3)
	v_div_fmas_f32 v61, v49, v61, v62
	v_pk_fma_f32 v[62:63], v[54:55], v[48:49], v[54:55] op_sel:[1,0,0] op_sel_hi:[0,0,1]
	v_pk_fma_f32 v[48:49], v[54:55], v[48:49], v[54:55] op_sel:[1,0,0] op_sel_hi:[0,1,1] neg_lo:[1,0,0] neg_hi:[1,0,0]
	v_div_fixup_f32 v54, v61, v60, 1.0
	s_delay_alu instid0(VALU_DEP_3) | instskip(NEXT) | instid1(VALU_DEP_1)
	v_mov_b32_e32 v49, v63
                                        ; implicit-def: $vgpr63
	v_pk_mul_f32 v[48:49], v[48:49], v[54:55] op_sel_hi:[1,0]
                                        ; implicit-def: $vgpr54_vgpr55
.LBB129_34:                             ;   in Loop: Header=BB129_4 Depth=1
	s_and_not1_saveexec_b32 s29, s6
	s_cbranch_execz .LBB129_36
; %bb.35:                               ;   in Loop: Header=BB129_4 Depth=1
	v_div_scale_f32 v48, null, v64, v64, v54
	v_div_scale_f32 v49, null, v63, v63, v55
	v_div_scale_f32 v66, vcc_lo, v54, v64, v54
	s_delay_alu instid0(VALU_DEP_3) | instskip(NEXT) | instid1(VALU_DEP_2)
	v_rcp_f32_e32 v60, v48
	v_rcp_f32_e32 v61, v49
	s_delay_alu instid0(TRANS32_DEP_2) | instskip(NEXT) | instid1(TRANS32_DEP_1)
	v_fma_f32 v62, -v48, v60, 1.0
	v_fma_f32 v65, -v49, v61, 1.0
	s_delay_alu instid0(VALU_DEP_1) | instskip(SKIP_1) | instid1(VALU_DEP_1)
	v_dual_fmac_f32 v60, v62, v60 :: v_dual_fmac_f32 v61, v65, v61
	v_div_scale_f32 v62, s6, v55, v63, v55
	v_mul_f32_e32 v67, v62, v61
	s_delay_alu instid0(VALU_DEP_1) | instskip(NEXT) | instid1(VALU_DEP_1)
	v_dual_mul_f32 v65, v66, v60 :: v_dual_fma_f32 v69, -v49, v67, v62
	v_fma_f32 v68, -v48, v65, v66
	s_delay_alu instid0(VALU_DEP_1) | instskip(NEXT) | instid1(VALU_DEP_1)
	v_dual_fmac_f32 v65, v68, v60 :: v_dual_fmac_f32 v67, v69, v61
	v_fma_f32 v48, -v48, v65, v66
	s_delay_alu instid0(VALU_DEP_2) | instskip(NEXT) | instid1(VALU_DEP_2)
	v_fma_f32 v49, -v49, v67, v62
	v_div_fmas_f32 v48, v48, v60, v65
	s_mov_b32 vcc_lo, s6
	s_delay_alu instid0(VALU_DEP_2) | instskip(NEXT) | instid1(VALU_DEP_2)
	v_div_fmas_f32 v49, v49, v61, v67
	v_div_fixup_f32 v48, v48, v64, v54
	s_delay_alu instid0(VALU_DEP_2)
	v_div_fixup_f32 v49, v49, v63, v55
.LBB129_36:                             ;   in Loop: Header=BB129_4 Depth=1
	s_or_b32 exec_lo, exec_lo, s29
                                        ; implicit-def: $vgpr61
                                        ; implicit-def: $vgpr54_vgpr55
.LBB129_37:                             ;   in Loop: Header=BB129_4 Depth=1
	s_and_not1_saveexec_b32 s6, s7
	s_cbranch_execz .LBB129_39
; %bb.38:                               ;   in Loop: Header=BB129_4 Depth=1
	v_div_scale_f32 v48, null, v61, v61, v60
	v_div_scale_f32 v63, vcc_lo, v60, v61, v60
	s_delay_alu instid0(VALU_DEP_2) | instskip(SKIP_1) | instid1(TRANS32_DEP_1)
	v_rcp_f32_e32 v49, v48
	v_nop
	v_fma_f32 v62, -v48, v49, 1.0
	s_delay_alu instid0(VALU_DEP_1) | instskip(NEXT) | instid1(VALU_DEP_1)
	v_fmac_f32_e32 v49, v62, v49
	v_mul_f32_e32 v62, v63, v49
	s_delay_alu instid0(VALU_DEP_1) | instskip(NEXT) | instid1(VALU_DEP_1)
	v_fma_f32 v64, -v48, v62, v63
	v_fmac_f32_e32 v62, v64, v49
	s_delay_alu instid0(VALU_DEP_1) | instskip(NEXT) | instid1(VALU_DEP_1)
	v_fma_f32 v48, -v48, v62, v63
	v_div_fmas_f32 v48, v48, v49, v62
	s_delay_alu instid0(VALU_DEP_1) | instskip(NEXT) | instid1(VALU_DEP_1)
	v_div_fixup_f32 v48, v48, v61, v60
	v_fmac_f32_e32 v61, v60, v48
	s_delay_alu instid0(VALU_DEP_1) | instskip(SKIP_1) | instid1(VALU_DEP_2)
	v_div_scale_f32 v49, null, v61, v61, 1.0
	v_div_scale_f32 v63, vcc_lo, 1.0, v61, 1.0
	v_rcp_f32_e32 v60, v49
	v_nop
	s_delay_alu instid0(TRANS32_DEP_1) | instskip(NEXT) | instid1(VALU_DEP_1)
	v_fma_f32 v62, -v49, v60, 1.0
	v_fmac_f32_e32 v60, v62, v60
	s_delay_alu instid0(VALU_DEP_1) | instskip(NEXT) | instid1(VALU_DEP_1)
	v_mul_f32_e32 v62, v63, v60
	v_fma_f32 v64, -v49, v62, v63
	s_delay_alu instid0(VALU_DEP_1) | instskip(NEXT) | instid1(VALU_DEP_1)
	v_fmac_f32_e32 v62, v64, v60
	v_fma_f32 v49, -v49, v62, v63
	s_delay_alu instid0(VALU_DEP_1) | instskip(SKIP_2) | instid1(VALU_DEP_3)
	v_div_fmas_f32 v60, v49, v60, v62
	v_pk_fma_f32 v[62:63], v[54:55], v[48:49], v[54:55] op_sel:[0,0,1] op_sel_hi:[1,0,0]
	v_pk_fma_f32 v[48:49], v[54:55], v[48:49], v[54:55] op_sel:[0,0,1] op_sel_hi:[1,1,0] neg_lo:[0,0,1] neg_hi:[0,0,1]
	v_div_fixup_f32 v54, v60, v61, 1.0
	s_delay_alu instid0(VALU_DEP_3) | instskip(NEXT) | instid1(VALU_DEP_1)
	v_mov_b32_e32 v49, v63
	v_pk_mul_f32 v[48:49], v[48:49], v[54:55] op_sel_hi:[1,0]
.LBB129_39:                             ;   in Loop: Header=BB129_4 Depth=1
	s_or_b32 exec_lo, exec_lo, s6
.LBB129_40:                             ;   in Loop: Header=BB129_4 Depth=1
	v_cmp_gt_f32_e32 vcc_lo, 0, v58
	s_mov_b32 s7, -1
                                        ; implicit-def: $vgpr55
	v_cndmask_b32_e64 v61, v58, -v58, vcc_lo
	v_cmp_gt_f32_e32 vcc_lo, 0, v59
	v_cndmask_b32_e64 v62, v59, -v59, vcc_lo
	s_and_not1_b32 vcc_lo, exec_lo, s28
	s_delay_alu instid0(VALU_DEP_1)
	v_cmp_ge_f32_e64 s6, v61, v62
	s_cbranch_vccnz .LBB129_50
; %bb.41:                               ;   in Loop: Header=BB129_4 Depth=1
                                        ; implicit-def: $vgpr60
                                        ; implicit-def: $vgpr54
	s_and_saveexec_b32 s7, s6
	s_delay_alu instid0(SALU_CYCLE_1)
	s_xor_b32 s29, exec_lo, s7
	s_cbranch_execz .LBB129_47
; %bb.42:                               ;   in Loop: Header=BB129_4 Depth=1
	v_cmp_neq_f32_e32 vcc_lo, 0, v58
	v_cmp_neq_f32_e64 s7, 0, v59
                                        ; implicit-def: $vgpr60
                                        ; implicit-def: $vgpr54
	s_or_b32 s7, s7, vcc_lo
	s_delay_alu instid0(SALU_CYCLE_1) | instskip(NEXT) | instid1(SALU_CYCLE_1)
	s_and_saveexec_b32 s30, s7
	s_xor_b32 s7, exec_lo, s30
	s_cbranch_execz .LBB129_44
; %bb.43:                               ;   in Loop: Header=BB129_4 Depth=1
	v_div_scale_f32 v54, null, v58, v58, v59
	v_div_scale_f32 v63, vcc_lo, v59, v58, v59
	s_delay_alu instid0(VALU_DEP_2) | instskip(SKIP_1) | instid1(TRANS32_DEP_1)
	v_rcp_f32_e32 v55, v54
	v_nop
	v_fma_f32 v60, -v54, v55, 1.0
	s_delay_alu instid0(VALU_DEP_1) | instskip(NEXT) | instid1(VALU_DEP_1)
	v_fmac_f32_e32 v55, v60, v55
	v_mul_f32_e32 v60, v63, v55
	s_delay_alu instid0(VALU_DEP_1) | instskip(NEXT) | instid1(VALU_DEP_1)
	v_fma_f32 v64, -v54, v60, v63
	v_fmac_f32_e32 v60, v64, v55
	s_delay_alu instid0(VALU_DEP_1) | instskip(NEXT) | instid1(VALU_DEP_1)
	v_fma_f32 v54, -v54, v60, v63
	v_div_fmas_f32 v54, v54, v55, v60
	s_delay_alu instid0(VALU_DEP_1) | instskip(NEXT) | instid1(VALU_DEP_1)
	v_div_fixup_f32 v54, v54, v58, v59
	v_fma_f32 v55, v59, v54, v58
	s_delay_alu instid0(VALU_DEP_1) | instskip(SKIP_1) | instid1(VALU_DEP_2)
	v_div_scale_f32 v60, null, v55, v55, 1.0
	v_div_scale_f32 v65, vcc_lo, 1.0, v55, 1.0
	v_rcp_f32_e32 v63, v60
	v_nop
	s_delay_alu instid0(TRANS32_DEP_1) | instskip(NEXT) | instid1(VALU_DEP_1)
	v_fma_f32 v64, -v60, v63, 1.0
	v_fmac_f32_e32 v63, v64, v63
	s_delay_alu instid0(VALU_DEP_1) | instskip(NEXT) | instid1(VALU_DEP_1)
	v_mul_f32_e32 v64, v65, v63
	v_fma_f32 v66, -v60, v64, v65
	s_delay_alu instid0(VALU_DEP_1) | instskip(NEXT) | instid1(VALU_DEP_1)
	v_fmac_f32_e32 v64, v66, v63
	v_fma_f32 v60, -v60, v64, v65
	s_delay_alu instid0(VALU_DEP_1) | instskip(SKIP_1) | instid1(VALU_DEP_2)
	v_div_fmas_f32 v60, v60, v63, v64
	v_fma_f32 v63, v56, v54, v57
	v_div_fixup_f32 v55, v60, v55, 1.0
	s_delay_alu instid0(VALU_DEP_1) | instskip(NEXT) | instid1(VALU_DEP_1)
	v_dual_fma_f32 v60, -v57, v54, v56 :: v_dual_mul_f32 v54, v63, v55
	v_mul_f32_e32 v60, v60, v55
.LBB129_44:                             ;   in Loop: Header=BB129_4 Depth=1
	s_and_not1_saveexec_b32 s30, s7
	s_cbranch_execz .LBB129_46
; %bb.45:                               ;   in Loop: Header=BB129_4 Depth=1
	v_div_scale_f32 v54, null, v61, v61, v57
	v_div_scale_f32 v55, null, v62, v62, v56
	v_div_scale_f32 v66, vcc_lo, v57, v61, v57
	s_delay_alu instid0(VALU_DEP_3) | instskip(NEXT) | instid1(VALU_DEP_2)
	v_rcp_f32_e32 v60, v54
	v_rcp_f32_e32 v63, v55
	s_delay_alu instid0(TRANS32_DEP_2) | instskip(NEXT) | instid1(TRANS32_DEP_1)
	v_fma_f32 v64, -v54, v60, 1.0
	v_fma_f32 v65, -v55, v63, 1.0
	s_delay_alu instid0(VALU_DEP_1) | instskip(SKIP_1) | instid1(VALU_DEP_1)
	v_dual_fmac_f32 v60, v64, v60 :: v_dual_fmac_f32 v63, v65, v63
	v_div_scale_f32 v64, s7, v56, v62, v56
	v_dual_mul_f32 v65, v66, v60 :: v_dual_mul_f32 v67, v64, v63
	s_delay_alu instid0(VALU_DEP_1) | instskip(NEXT) | instid1(VALU_DEP_1)
	v_dual_fma_f32 v68, -v54, v65, v66 :: v_dual_fma_f32 v69, -v55, v67, v64
	v_dual_fmac_f32 v65, v68, v60 :: v_dual_fmac_f32 v67, v69, v63
	s_delay_alu instid0(VALU_DEP_1) | instskip(NEXT) | instid1(VALU_DEP_1)
	v_dual_fma_f32 v54, -v54, v65, v66 :: v_dual_fma_f32 v55, -v55, v67, v64
	v_div_fmas_f32 v54, v54, v60, v65
	s_mov_b32 vcc_lo, s7
	s_delay_alu instid0(VALU_DEP_2) | instskip(NEXT) | instid1(VALU_DEP_2)
	v_div_fmas_f32 v55, v55, v63, v67
	v_div_fixup_f32 v54, v54, v61, v57
	s_delay_alu instid0(VALU_DEP_2)
	v_div_fixup_f32 v60, v55, v62, v56
.LBB129_46:                             ;   in Loop: Header=BB129_4 Depth=1
	s_or_b32 exec_lo, exec_lo, s30
.LBB129_47:                             ;   in Loop: Header=BB129_4 Depth=1
	s_and_not1_saveexec_b32 s7, s29
	s_cbranch_execz .LBB129_49
; %bb.48:                               ;   in Loop: Header=BB129_4 Depth=1
	v_div_scale_f32 v54, null, v59, v59, v58
	v_div_scale_f32 v63, vcc_lo, v58, v59, v58
	s_delay_alu instid0(VALU_DEP_2) | instskip(SKIP_1) | instid1(TRANS32_DEP_1)
	v_rcp_f32_e32 v55, v54
	v_nop
	v_fma_f32 v60, -v54, v55, 1.0
	s_delay_alu instid0(VALU_DEP_1) | instskip(NEXT) | instid1(VALU_DEP_1)
	v_fmac_f32_e32 v55, v60, v55
	v_mul_f32_e32 v60, v63, v55
	s_delay_alu instid0(VALU_DEP_1) | instskip(NEXT) | instid1(VALU_DEP_1)
	v_fma_f32 v64, -v54, v60, v63
	v_fmac_f32_e32 v60, v64, v55
	s_delay_alu instid0(VALU_DEP_1) | instskip(NEXT) | instid1(VALU_DEP_1)
	v_fma_f32 v54, -v54, v60, v63
	v_div_fmas_f32 v54, v54, v55, v60
	s_delay_alu instid0(VALU_DEP_1) | instskip(NEXT) | instid1(VALU_DEP_1)
	v_div_fixup_f32 v54, v54, v59, v58
	v_fma_f32 v55, v58, v54, v59
	s_delay_alu instid0(VALU_DEP_1) | instskip(SKIP_1) | instid1(VALU_DEP_2)
	v_div_scale_f32 v60, null, v55, v55, 1.0
	v_div_scale_f32 v65, vcc_lo, 1.0, v55, 1.0
	v_rcp_f32_e32 v63, v60
	v_nop
	s_delay_alu instid0(TRANS32_DEP_1) | instskip(NEXT) | instid1(VALU_DEP_1)
	v_fma_f32 v64, -v60, v63, 1.0
	v_fmac_f32_e32 v63, v64, v63
	s_delay_alu instid0(VALU_DEP_1) | instskip(NEXT) | instid1(VALU_DEP_1)
	v_mul_f32_e32 v64, v65, v63
	v_fma_f32 v66, -v60, v64, v65
	s_delay_alu instid0(VALU_DEP_1) | instskip(NEXT) | instid1(VALU_DEP_1)
	v_fmac_f32_e32 v64, v66, v63
	v_fma_f32 v60, -v60, v64, v65
	s_delay_alu instid0(VALU_DEP_1) | instskip(SKIP_1) | instid1(VALU_DEP_2)
	v_div_fmas_f32 v60, v60, v63, v64
	v_fma_f32 v63, v57, v54, v56
	v_div_fixup_f32 v55, v60, v55, 1.0
	s_delay_alu instid0(VALU_DEP_1) | instskip(NEXT) | instid1(VALU_DEP_1)
	v_dual_fma_f32 v60, v56, v54, -v57 :: v_dual_mul_f32 v54, v63, v55
	v_mul_f32_e32 v60, v60, v55
.LBB129_49:                             ;   in Loop: Header=BB129_4 Depth=1
	s_or_b32 exec_lo, exec_lo, s7
	v_mov_b64_e32 v[64:65], s[8:9]
	v_mov_b64_e32 v[66:67], s[22:23]
	s_mov_b32 s7, 0
	s_delay_alu instid0(VALU_DEP_2) | instskip(NEXT) | instid1(VALU_DEP_2)
	v_pk_mul_f32 v[64:65], v[60:61], v[64:65] op_sel_hi:[0,1]
	v_pk_mul_f32 v[68:69], v[54:55], v[66:67] op_sel_hi:[0,1]
	s_delay_alu instid0(VALU_DEP_2) | instskip(NEXT) | instid1(VALU_DEP_2)
	v_pk_fma_f32 v[54:55], v[54:55], v[66:67], v[64:65] op_sel_hi:[0,1,1] neg_lo:[0,0,1] neg_hi:[0,0,1]
	v_add_f32_e32 v54, v68, v64
.LBB129_50:                             ;   in Loop: Header=BB129_4 Depth=1
	s_and_b32 vcc_lo, exec_lo, s7
	s_cbranch_vccz .LBB129_60
; %bb.51:                               ;   in Loop: Header=BB129_4 Depth=1
                                        ; implicit-def: $vgpr55
	s_and_saveexec_b32 s7, s6
	s_delay_alu instid0(SALU_CYCLE_1)
	s_xor_b32 s7, exec_lo, s7
	s_cbranch_execz .LBB129_57
; %bb.52:                               ;   in Loop: Header=BB129_4 Depth=1
	v_cmp_neq_f32_e32 vcc_lo, 0, v58
	v_cmp_neq_f32_e64 s6, 0, v59
                                        ; implicit-def: $vgpr55
	s_or_b32 s6, s6, vcc_lo
	s_delay_alu instid0(SALU_CYCLE_1) | instskip(NEXT) | instid1(SALU_CYCLE_1)
	s_and_saveexec_b32 s29, s6
	s_xor_b32 s6, exec_lo, s29
	s_cbranch_execz .LBB129_54
; %bb.53:                               ;   in Loop: Header=BB129_4 Depth=1
	v_div_scale_f32 v54, null, v58, v58, v59
	v_div_scale_f32 v61, vcc_lo, v59, v58, v59
	s_delay_alu instid0(VALU_DEP_2) | instskip(SKIP_1) | instid1(TRANS32_DEP_1)
	v_rcp_f32_e32 v55, v54
	v_nop
	v_fma_f32 v60, -v54, v55, 1.0
	s_delay_alu instid0(VALU_DEP_1) | instskip(NEXT) | instid1(VALU_DEP_1)
	v_fmac_f32_e32 v55, v60, v55
	v_mul_f32_e32 v60, v61, v55
	s_delay_alu instid0(VALU_DEP_1) | instskip(NEXT) | instid1(VALU_DEP_1)
	v_fma_f32 v62, -v54, v60, v61
	v_fmac_f32_e32 v60, v62, v55
	s_delay_alu instid0(VALU_DEP_1) | instskip(NEXT) | instid1(VALU_DEP_1)
	v_fma_f32 v54, -v54, v60, v61
	v_div_fmas_f32 v54, v54, v55, v60
	s_delay_alu instid0(VALU_DEP_1) | instskip(NEXT) | instid1(VALU_DEP_1)
	v_div_fixup_f32 v54, v54, v58, v59
	v_fmac_f32_e32 v58, v59, v54
	s_delay_alu instid0(VALU_DEP_1) | instskip(SKIP_1) | instid1(VALU_DEP_2)
	v_div_scale_f32 v55, null, v58, v58, 1.0
	v_div_scale_f32 v61, vcc_lo, 1.0, v58, 1.0
	v_rcp_f32_e32 v59, v55
	v_nop
	s_delay_alu instid0(TRANS32_DEP_1) | instskip(NEXT) | instid1(VALU_DEP_1)
	v_fma_f32 v60, -v55, v59, 1.0
	v_fmac_f32_e32 v59, v60, v59
	s_delay_alu instid0(VALU_DEP_1) | instskip(NEXT) | instid1(VALU_DEP_1)
	v_mul_f32_e32 v60, v61, v59
	v_fma_f32 v62, -v55, v60, v61
	s_delay_alu instid0(VALU_DEP_1) | instskip(NEXT) | instid1(VALU_DEP_1)
	v_fmac_f32_e32 v60, v62, v59
                                        ; implicit-def: $vgpr62
	v_fma_f32 v55, -v55, v60, v61
	s_delay_alu instid0(VALU_DEP_1) | instskip(SKIP_2) | instid1(VALU_DEP_3)
	v_div_fmas_f32 v59, v55, v59, v60
	v_pk_fma_f32 v[60:61], v[56:57], v[54:55], v[56:57] op_sel:[1,0,0] op_sel_hi:[0,0,1]
	v_pk_fma_f32 v[54:55], v[56:57], v[54:55], v[56:57] op_sel:[1,0,0] op_sel_hi:[0,1,1] neg_lo:[1,0,0] neg_hi:[1,0,0]
	v_div_fixup_f32 v56, v59, v58, 1.0
	s_delay_alu instid0(VALU_DEP_3) | instskip(NEXT) | instid1(VALU_DEP_1)
	v_mov_b32_e32 v55, v61
                                        ; implicit-def: $vgpr61
	v_pk_mul_f32 v[54:55], v[54:55], v[56:57] op_sel_hi:[1,0]
                                        ; implicit-def: $vgpr56_vgpr57
.LBB129_54:                             ;   in Loop: Header=BB129_4 Depth=1
	s_and_not1_saveexec_b32 s29, s6
	s_cbranch_execz .LBB129_56
; %bb.55:                               ;   in Loop: Header=BB129_4 Depth=1
	v_div_scale_f32 v54, null, v62, v62, v56
	v_div_scale_f32 v55, null, v61, v61, v57
	v_div_scale_f32 v64, vcc_lo, v56, v62, v56
	s_delay_alu instid0(VALU_DEP_3) | instskip(NEXT) | instid1(VALU_DEP_2)
	v_rcp_f32_e32 v58, v54
	v_rcp_f32_e32 v59, v55
	s_delay_alu instid0(TRANS32_DEP_2) | instskip(NEXT) | instid1(TRANS32_DEP_1)
	v_fma_f32 v60, -v54, v58, 1.0
	v_fma_f32 v63, -v55, v59, 1.0
	s_delay_alu instid0(VALU_DEP_1) | instskip(SKIP_1) | instid1(VALU_DEP_1)
	v_dual_fmac_f32 v58, v60, v58 :: v_dual_fmac_f32 v59, v63, v59
	v_div_scale_f32 v60, s6, v57, v61, v57
	v_mul_f32_e32 v65, v60, v59
	s_delay_alu instid0(VALU_DEP_1) | instskip(NEXT) | instid1(VALU_DEP_1)
	v_dual_mul_f32 v63, v64, v58 :: v_dual_fma_f32 v67, -v55, v65, v60
	v_fma_f32 v66, -v54, v63, v64
	s_delay_alu instid0(VALU_DEP_1) | instskip(NEXT) | instid1(VALU_DEP_1)
	v_dual_fmac_f32 v63, v66, v58 :: v_dual_fmac_f32 v65, v67, v59
	v_fma_f32 v54, -v54, v63, v64
	s_delay_alu instid0(VALU_DEP_2) | instskip(NEXT) | instid1(VALU_DEP_2)
	v_fma_f32 v55, -v55, v65, v60
	v_div_fmas_f32 v54, v54, v58, v63
	s_mov_b32 vcc_lo, s6
	s_delay_alu instid0(VALU_DEP_2) | instskip(NEXT) | instid1(VALU_DEP_2)
	v_div_fmas_f32 v55, v55, v59, v65
	v_div_fixup_f32 v54, v54, v62, v56
	s_delay_alu instid0(VALU_DEP_2)
	v_div_fixup_f32 v55, v55, v61, v57
.LBB129_56:                             ;   in Loop: Header=BB129_4 Depth=1
	s_or_b32 exec_lo, exec_lo, s29
                                        ; implicit-def: $vgpr59
                                        ; implicit-def: $vgpr56_vgpr57
.LBB129_57:                             ;   in Loop: Header=BB129_4 Depth=1
	s_and_not1_saveexec_b32 s6, s7
	s_cbranch_execz .LBB129_59
; %bb.58:                               ;   in Loop: Header=BB129_4 Depth=1
	v_div_scale_f32 v54, null, v59, v59, v58
	v_div_scale_f32 v61, vcc_lo, v58, v59, v58
	s_delay_alu instid0(VALU_DEP_2) | instskip(SKIP_1) | instid1(TRANS32_DEP_1)
	v_rcp_f32_e32 v55, v54
	v_nop
	v_fma_f32 v60, -v54, v55, 1.0
	s_delay_alu instid0(VALU_DEP_1) | instskip(NEXT) | instid1(VALU_DEP_1)
	v_fmac_f32_e32 v55, v60, v55
	v_mul_f32_e32 v60, v61, v55
	s_delay_alu instid0(VALU_DEP_1) | instskip(NEXT) | instid1(VALU_DEP_1)
	v_fma_f32 v62, -v54, v60, v61
	v_fmac_f32_e32 v60, v62, v55
	s_delay_alu instid0(VALU_DEP_1) | instskip(NEXT) | instid1(VALU_DEP_1)
	v_fma_f32 v54, -v54, v60, v61
	v_div_fmas_f32 v54, v54, v55, v60
	s_delay_alu instid0(VALU_DEP_1) | instskip(NEXT) | instid1(VALU_DEP_1)
	v_div_fixup_f32 v54, v54, v59, v58
	v_fmac_f32_e32 v59, v58, v54
	s_delay_alu instid0(VALU_DEP_1) | instskip(SKIP_1) | instid1(VALU_DEP_2)
	v_div_scale_f32 v55, null, v59, v59, 1.0
	v_div_scale_f32 v61, vcc_lo, 1.0, v59, 1.0
	v_rcp_f32_e32 v58, v55
	v_nop
	s_delay_alu instid0(TRANS32_DEP_1) | instskip(NEXT) | instid1(VALU_DEP_1)
	v_fma_f32 v60, -v55, v58, 1.0
	v_fmac_f32_e32 v58, v60, v58
	s_delay_alu instid0(VALU_DEP_1) | instskip(NEXT) | instid1(VALU_DEP_1)
	v_mul_f32_e32 v60, v61, v58
	v_fma_f32 v62, -v55, v60, v61
	s_delay_alu instid0(VALU_DEP_1) | instskip(NEXT) | instid1(VALU_DEP_1)
	v_fmac_f32_e32 v60, v62, v58
	v_fma_f32 v55, -v55, v60, v61
	s_delay_alu instid0(VALU_DEP_1) | instskip(SKIP_2) | instid1(VALU_DEP_3)
	v_div_fmas_f32 v58, v55, v58, v60
	v_pk_fma_f32 v[60:61], v[56:57], v[54:55], v[56:57] op_sel:[0,0,1] op_sel_hi:[1,0,0]
	v_pk_fma_f32 v[54:55], v[56:57], v[54:55], v[56:57] op_sel:[0,0,1] op_sel_hi:[1,1,0] neg_lo:[0,0,1] neg_hi:[0,0,1]
	v_div_fixup_f32 v56, v58, v59, 1.0
	s_delay_alu instid0(VALU_DEP_3) | instskip(NEXT) | instid1(VALU_DEP_1)
	v_mov_b32_e32 v55, v61
	v_pk_mul_f32 v[54:55], v[54:55], v[56:57] op_sel_hi:[1,0]
.LBB129_59:                             ;   in Loop: Header=BB129_4 Depth=1
	s_or_b32 exec_lo, exec_lo, s6
.LBB129_60:                             ;   in Loop: Header=BB129_4 Depth=1
	v_cmp_gt_f32_e32 vcc_lo, 0, v52
	s_mov_b32 s7, -1
                                        ; implicit-def: $vgpr57
	v_cndmask_b32_e64 v59, v52, -v52, vcc_lo
	v_cmp_gt_f32_e32 vcc_lo, 0, v53
	v_cndmask_b32_e64 v60, v53, -v53, vcc_lo
	s_and_not1_b32 vcc_lo, exec_lo, s28
	s_delay_alu instid0(VALU_DEP_1)
	v_cmp_ge_f32_e64 s6, v59, v60
	s_cbranch_vccnz .LBB129_70
; %bb.61:                               ;   in Loop: Header=BB129_4 Depth=1
                                        ; implicit-def: $vgpr58
                                        ; implicit-def: $vgpr56
	s_and_saveexec_b32 s7, s6
	s_delay_alu instid0(SALU_CYCLE_1)
	s_xor_b32 s29, exec_lo, s7
	s_cbranch_execz .LBB129_67
; %bb.62:                               ;   in Loop: Header=BB129_4 Depth=1
	v_cmp_neq_f32_e32 vcc_lo, 0, v52
	v_cmp_neq_f32_e64 s7, 0, v53
                                        ; implicit-def: $vgpr58
                                        ; implicit-def: $vgpr56
	s_or_b32 s7, s7, vcc_lo
	s_delay_alu instid0(SALU_CYCLE_1) | instskip(NEXT) | instid1(SALU_CYCLE_1)
	s_and_saveexec_b32 s30, s7
	s_xor_b32 s7, exec_lo, s30
	s_cbranch_execz .LBB129_64
; %bb.63:                               ;   in Loop: Header=BB129_4 Depth=1
	v_div_scale_f32 v56, null, v52, v52, v53
	v_div_scale_f32 v61, vcc_lo, v53, v52, v53
	s_delay_alu instid0(VALU_DEP_2) | instskip(SKIP_1) | instid1(TRANS32_DEP_1)
	v_rcp_f32_e32 v57, v56
	v_nop
	v_fma_f32 v58, -v56, v57, 1.0
	s_delay_alu instid0(VALU_DEP_1) | instskip(NEXT) | instid1(VALU_DEP_1)
	v_fmac_f32_e32 v57, v58, v57
	v_mul_f32_e32 v58, v61, v57
	s_delay_alu instid0(VALU_DEP_1) | instskip(NEXT) | instid1(VALU_DEP_1)
	v_fma_f32 v62, -v56, v58, v61
	v_fmac_f32_e32 v58, v62, v57
	s_delay_alu instid0(VALU_DEP_1) | instskip(NEXT) | instid1(VALU_DEP_1)
	v_fma_f32 v56, -v56, v58, v61
	v_div_fmas_f32 v56, v56, v57, v58
	s_delay_alu instid0(VALU_DEP_1) | instskip(NEXT) | instid1(VALU_DEP_1)
	v_div_fixup_f32 v56, v56, v52, v53
	v_fma_f32 v57, v53, v56, v52
	s_delay_alu instid0(VALU_DEP_1) | instskip(SKIP_1) | instid1(VALU_DEP_2)
	v_div_scale_f32 v58, null, v57, v57, 1.0
	v_div_scale_f32 v63, vcc_lo, 1.0, v57, 1.0
	v_rcp_f32_e32 v61, v58
	v_nop
	s_delay_alu instid0(TRANS32_DEP_1) | instskip(NEXT) | instid1(VALU_DEP_1)
	v_fma_f32 v62, -v58, v61, 1.0
	v_fmac_f32_e32 v61, v62, v61
	s_delay_alu instid0(VALU_DEP_1) | instskip(NEXT) | instid1(VALU_DEP_1)
	v_mul_f32_e32 v62, v63, v61
	v_fma_f32 v64, -v58, v62, v63
	s_delay_alu instid0(VALU_DEP_1) | instskip(NEXT) | instid1(VALU_DEP_1)
	v_fmac_f32_e32 v62, v64, v61
	v_fma_f32 v58, -v58, v62, v63
	s_delay_alu instid0(VALU_DEP_1) | instskip(SKIP_1) | instid1(VALU_DEP_2)
	v_div_fmas_f32 v58, v58, v61, v62
	v_fma_f32 v61, v50, v56, v51
	v_div_fixup_f32 v57, v58, v57, 1.0
	s_delay_alu instid0(VALU_DEP_1) | instskip(NEXT) | instid1(VALU_DEP_1)
	v_dual_fma_f32 v58, -v51, v56, v50 :: v_dual_mul_f32 v56, v61, v57
	v_mul_f32_e32 v58, v58, v57
.LBB129_64:                             ;   in Loop: Header=BB129_4 Depth=1
	s_and_not1_saveexec_b32 s30, s7
	s_cbranch_execz .LBB129_66
; %bb.65:                               ;   in Loop: Header=BB129_4 Depth=1
	v_div_scale_f32 v56, null, v59, v59, v51
	v_div_scale_f32 v57, null, v60, v60, v50
	v_div_scale_f32 v64, vcc_lo, v51, v59, v51
	s_delay_alu instid0(VALU_DEP_3) | instskip(NEXT) | instid1(VALU_DEP_2)
	v_rcp_f32_e32 v58, v56
	v_rcp_f32_e32 v61, v57
	s_delay_alu instid0(TRANS32_DEP_2) | instskip(NEXT) | instid1(TRANS32_DEP_1)
	v_fma_f32 v62, -v56, v58, 1.0
	v_fma_f32 v63, -v57, v61, 1.0
	s_delay_alu instid0(VALU_DEP_1) | instskip(SKIP_1) | instid1(VALU_DEP_1)
	v_dual_fmac_f32 v58, v62, v58 :: v_dual_fmac_f32 v61, v63, v61
	v_div_scale_f32 v62, s7, v50, v60, v50
	v_dual_mul_f32 v63, v64, v58 :: v_dual_mul_f32 v65, v62, v61
	s_delay_alu instid0(VALU_DEP_1) | instskip(NEXT) | instid1(VALU_DEP_1)
	v_dual_fma_f32 v66, -v56, v63, v64 :: v_dual_fma_f32 v67, -v57, v65, v62
	v_dual_fmac_f32 v63, v66, v58 :: v_dual_fmac_f32 v65, v67, v61
	s_delay_alu instid0(VALU_DEP_1) | instskip(NEXT) | instid1(VALU_DEP_1)
	v_dual_fma_f32 v56, -v56, v63, v64 :: v_dual_fma_f32 v57, -v57, v65, v62
	v_div_fmas_f32 v56, v56, v58, v63
	s_mov_b32 vcc_lo, s7
	s_delay_alu instid0(VALU_DEP_2) | instskip(NEXT) | instid1(VALU_DEP_2)
	v_div_fmas_f32 v57, v57, v61, v65
	v_div_fixup_f32 v56, v56, v59, v51
	s_delay_alu instid0(VALU_DEP_2)
	v_div_fixup_f32 v58, v57, v60, v50
.LBB129_66:                             ;   in Loop: Header=BB129_4 Depth=1
	s_or_b32 exec_lo, exec_lo, s30
.LBB129_67:                             ;   in Loop: Header=BB129_4 Depth=1
	s_and_not1_saveexec_b32 s7, s29
	s_cbranch_execz .LBB129_69
; %bb.68:                               ;   in Loop: Header=BB129_4 Depth=1
	v_div_scale_f32 v56, null, v53, v53, v52
	v_div_scale_f32 v61, vcc_lo, v52, v53, v52
	s_delay_alu instid0(VALU_DEP_2) | instskip(SKIP_1) | instid1(TRANS32_DEP_1)
	v_rcp_f32_e32 v57, v56
	v_nop
	v_fma_f32 v58, -v56, v57, 1.0
	s_delay_alu instid0(VALU_DEP_1) | instskip(NEXT) | instid1(VALU_DEP_1)
	v_fmac_f32_e32 v57, v58, v57
	v_mul_f32_e32 v58, v61, v57
	s_delay_alu instid0(VALU_DEP_1) | instskip(NEXT) | instid1(VALU_DEP_1)
	v_fma_f32 v62, -v56, v58, v61
	v_fmac_f32_e32 v58, v62, v57
	s_delay_alu instid0(VALU_DEP_1) | instskip(NEXT) | instid1(VALU_DEP_1)
	v_fma_f32 v56, -v56, v58, v61
	v_div_fmas_f32 v56, v56, v57, v58
	s_delay_alu instid0(VALU_DEP_1) | instskip(NEXT) | instid1(VALU_DEP_1)
	v_div_fixup_f32 v56, v56, v53, v52
	v_fma_f32 v57, v52, v56, v53
	s_delay_alu instid0(VALU_DEP_1) | instskip(SKIP_1) | instid1(VALU_DEP_2)
	v_div_scale_f32 v58, null, v57, v57, 1.0
	v_div_scale_f32 v63, vcc_lo, 1.0, v57, 1.0
	v_rcp_f32_e32 v61, v58
	v_nop
	s_delay_alu instid0(TRANS32_DEP_1) | instskip(NEXT) | instid1(VALU_DEP_1)
	v_fma_f32 v62, -v58, v61, 1.0
	v_fmac_f32_e32 v61, v62, v61
	s_delay_alu instid0(VALU_DEP_1) | instskip(NEXT) | instid1(VALU_DEP_1)
	v_mul_f32_e32 v62, v63, v61
	v_fma_f32 v64, -v58, v62, v63
	s_delay_alu instid0(VALU_DEP_1) | instskip(NEXT) | instid1(VALU_DEP_1)
	v_fmac_f32_e32 v62, v64, v61
	v_fma_f32 v58, -v58, v62, v63
	s_delay_alu instid0(VALU_DEP_1) | instskip(SKIP_1) | instid1(VALU_DEP_2)
	v_div_fmas_f32 v58, v58, v61, v62
	v_fma_f32 v61, v51, v56, v50
	v_div_fixup_f32 v57, v58, v57, 1.0
	s_delay_alu instid0(VALU_DEP_1) | instskip(NEXT) | instid1(VALU_DEP_1)
	v_dual_fma_f32 v58, v50, v56, -v51 :: v_dual_mul_f32 v56, v61, v57
	v_mul_f32_e32 v58, v58, v57
.LBB129_69:                             ;   in Loop: Header=BB129_4 Depth=1
	s_or_b32 exec_lo, exec_lo, s7
	v_mov_b64_e32 v[62:63], s[8:9]
	v_mov_b64_e32 v[64:65], s[22:23]
	s_mov_b32 s7, 0
	s_delay_alu instid0(VALU_DEP_2) | instskip(NEXT) | instid1(VALU_DEP_2)
	v_pk_mul_f32 v[62:63], v[58:59], v[62:63] op_sel_hi:[0,1]
	v_pk_mul_f32 v[66:67], v[56:57], v[64:65] op_sel_hi:[0,1]
	s_delay_alu instid0(VALU_DEP_2) | instskip(NEXT) | instid1(VALU_DEP_2)
	v_pk_fma_f32 v[56:57], v[56:57], v[64:65], v[62:63] op_sel_hi:[0,1,1] neg_lo:[0,0,1] neg_hi:[0,0,1]
	v_add_f32_e32 v56, v66, v62
.LBB129_70:                             ;   in Loop: Header=BB129_4 Depth=1
	s_and_b32 vcc_lo, exec_lo, s7
	s_cbranch_vccz .LBB129_80
; %bb.71:                               ;   in Loop: Header=BB129_4 Depth=1
                                        ; implicit-def: $vgpr57
	s_and_saveexec_b32 s7, s6
	s_delay_alu instid0(SALU_CYCLE_1)
	s_xor_b32 s7, exec_lo, s7
	s_cbranch_execz .LBB129_77
; %bb.72:                               ;   in Loop: Header=BB129_4 Depth=1
	v_cmp_neq_f32_e32 vcc_lo, 0, v52
	v_cmp_neq_f32_e64 s6, 0, v53
                                        ; implicit-def: $vgpr57
	s_or_b32 s6, s6, vcc_lo
	s_delay_alu instid0(SALU_CYCLE_1) | instskip(NEXT) | instid1(SALU_CYCLE_1)
	s_and_saveexec_b32 s29, s6
	s_xor_b32 s6, exec_lo, s29
	s_cbranch_execz .LBB129_74
; %bb.73:                               ;   in Loop: Header=BB129_4 Depth=1
	v_div_scale_f32 v56, null, v52, v52, v53
	v_div_scale_f32 v59, vcc_lo, v53, v52, v53
	s_delay_alu instid0(VALU_DEP_2) | instskip(SKIP_1) | instid1(TRANS32_DEP_1)
	v_rcp_f32_e32 v57, v56
	v_nop
	v_fma_f32 v58, -v56, v57, 1.0
	s_delay_alu instid0(VALU_DEP_1) | instskip(NEXT) | instid1(VALU_DEP_1)
	v_fmac_f32_e32 v57, v58, v57
	v_mul_f32_e32 v58, v59, v57
	s_delay_alu instid0(VALU_DEP_1) | instskip(NEXT) | instid1(VALU_DEP_1)
	v_fma_f32 v60, -v56, v58, v59
	v_fmac_f32_e32 v58, v60, v57
	s_delay_alu instid0(VALU_DEP_1) | instskip(NEXT) | instid1(VALU_DEP_1)
	v_fma_f32 v56, -v56, v58, v59
	v_div_fmas_f32 v56, v56, v57, v58
	s_delay_alu instid0(VALU_DEP_1) | instskip(NEXT) | instid1(VALU_DEP_1)
	v_div_fixup_f32 v56, v56, v52, v53
	v_fmac_f32_e32 v52, v53, v56
	s_delay_alu instid0(VALU_DEP_1) | instskip(SKIP_1) | instid1(VALU_DEP_2)
	v_div_scale_f32 v53, null, v52, v52, 1.0
	v_div_scale_f32 v59, vcc_lo, 1.0, v52, 1.0
	v_rcp_f32_e32 v57, v53
	v_nop
	s_delay_alu instid0(TRANS32_DEP_1) | instskip(NEXT) | instid1(VALU_DEP_1)
	v_fma_f32 v58, -v53, v57, 1.0
	v_fmac_f32_e32 v57, v58, v57
	s_delay_alu instid0(VALU_DEP_1) | instskip(NEXT) | instid1(VALU_DEP_1)
	v_mul_f32_e32 v58, v59, v57
	v_fma_f32 v60, -v53, v58, v59
	s_delay_alu instid0(VALU_DEP_1) | instskip(NEXT) | instid1(VALU_DEP_1)
	v_fmac_f32_e32 v58, v60, v57
                                        ; implicit-def: $vgpr60
	v_fma_f32 v53, -v53, v58, v59
	s_delay_alu instid0(VALU_DEP_1) | instskip(SKIP_2) | instid1(VALU_DEP_3)
	v_div_fmas_f32 v53, v53, v57, v58
	v_pk_fma_f32 v[58:59], v[50:51], v[56:57], v[50:51] op_sel:[1,0,0] op_sel_hi:[0,0,1]
	v_pk_fma_f32 v[50:51], v[50:51], v[56:57], v[50:51] op_sel:[1,0,0] op_sel_hi:[0,1,1] neg_lo:[1,0,0] neg_hi:[1,0,0]
	v_div_fixup_f32 v52, v53, v52, 1.0
	s_delay_alu instid0(VALU_DEP_3) | instskip(NEXT) | instid1(VALU_DEP_1)
	v_mov_b32_e32 v51, v59
                                        ; implicit-def: $vgpr59
	v_pk_mul_f32 v[56:57], v[50:51], v[52:53] op_sel_hi:[1,0]
                                        ; implicit-def: $vgpr50_vgpr51
.LBB129_74:                             ;   in Loop: Header=BB129_4 Depth=1
	s_and_not1_saveexec_b32 s29, s6
	s_cbranch_execz .LBB129_76
; %bb.75:                               ;   in Loop: Header=BB129_4 Depth=1
	v_div_scale_f32 v52, null, v60, v60, v50
	v_div_scale_f32 v53, null, v59, v59, v51
	v_div_scale_f32 v62, vcc_lo, v50, v60, v50
	s_delay_alu instid0(VALU_DEP_3) | instskip(NEXT) | instid1(VALU_DEP_2)
	v_rcp_f32_e32 v56, v52
	v_rcp_f32_e32 v57, v53
	s_delay_alu instid0(TRANS32_DEP_2) | instskip(NEXT) | instid1(TRANS32_DEP_1)
	v_fma_f32 v58, -v52, v56, 1.0
	v_fma_f32 v61, -v53, v57, 1.0
	s_delay_alu instid0(VALU_DEP_1) | instskip(SKIP_1) | instid1(VALU_DEP_1)
	v_dual_fmac_f32 v56, v58, v56 :: v_dual_fmac_f32 v57, v61, v57
	v_div_scale_f32 v58, s6, v51, v59, v51
	v_mul_f32_e32 v63, v58, v57
	s_delay_alu instid0(VALU_DEP_1) | instskip(NEXT) | instid1(VALU_DEP_1)
	v_dual_mul_f32 v61, v62, v56 :: v_dual_fma_f32 v65, -v53, v63, v58
	v_fma_f32 v64, -v52, v61, v62
	s_delay_alu instid0(VALU_DEP_1) | instskip(NEXT) | instid1(VALU_DEP_1)
	v_dual_fmac_f32 v61, v64, v56 :: v_dual_fmac_f32 v63, v65, v57
	v_fma_f32 v52, -v52, v61, v62
	s_delay_alu instid0(VALU_DEP_2) | instskip(NEXT) | instid1(VALU_DEP_2)
	v_fma_f32 v53, -v53, v63, v58
	v_div_fmas_f32 v52, v52, v56, v61
	s_mov_b32 vcc_lo, s6
	s_delay_alu instid0(VALU_DEP_2) | instskip(NEXT) | instid1(VALU_DEP_2)
	v_div_fmas_f32 v53, v53, v57, v63
	v_div_fixup_f32 v56, v52, v60, v50
	s_delay_alu instid0(VALU_DEP_2)
	v_div_fixup_f32 v57, v53, v59, v51
.LBB129_76:                             ;   in Loop: Header=BB129_4 Depth=1
	s_or_b32 exec_lo, exec_lo, s29
                                        ; implicit-def: $vgpr53
                                        ; implicit-def: $vgpr50_vgpr51
.LBB129_77:                             ;   in Loop: Header=BB129_4 Depth=1
	s_and_not1_saveexec_b32 s6, s7
	s_cbranch_execz .LBB129_79
; %bb.78:                               ;   in Loop: Header=BB129_4 Depth=1
	v_div_scale_f32 v56, null, v53, v53, v52
	v_div_scale_f32 v59, vcc_lo, v52, v53, v52
	s_delay_alu instid0(VALU_DEP_2) | instskip(SKIP_1) | instid1(TRANS32_DEP_1)
	v_rcp_f32_e32 v57, v56
	v_nop
	v_fma_f32 v58, -v56, v57, 1.0
	s_delay_alu instid0(VALU_DEP_1) | instskip(NEXT) | instid1(VALU_DEP_1)
	v_fmac_f32_e32 v57, v58, v57
	v_mul_f32_e32 v58, v59, v57
	s_delay_alu instid0(VALU_DEP_1) | instskip(NEXT) | instid1(VALU_DEP_1)
	v_fma_f32 v60, -v56, v58, v59
	v_fmac_f32_e32 v58, v60, v57
	s_delay_alu instid0(VALU_DEP_1) | instskip(NEXT) | instid1(VALU_DEP_1)
	v_fma_f32 v56, -v56, v58, v59
	v_div_fmas_f32 v56, v56, v57, v58
	s_delay_alu instid0(VALU_DEP_1) | instskip(NEXT) | instid1(VALU_DEP_1)
	v_div_fixup_f32 v56, v56, v53, v52
	v_fmac_f32_e32 v53, v52, v56
	s_delay_alu instid0(VALU_DEP_1) | instskip(SKIP_1) | instid1(VALU_DEP_2)
	v_div_scale_f32 v52, null, v53, v53, 1.0
	v_div_scale_f32 v59, vcc_lo, 1.0, v53, 1.0
	v_rcp_f32_e32 v57, v52
	v_nop
	s_delay_alu instid0(TRANS32_DEP_1) | instskip(NEXT) | instid1(VALU_DEP_1)
	v_fma_f32 v58, -v52, v57, 1.0
	v_fmac_f32_e32 v57, v58, v57
	s_delay_alu instid0(VALU_DEP_1) | instskip(NEXT) | instid1(VALU_DEP_1)
	v_mul_f32_e32 v58, v59, v57
	v_fma_f32 v60, -v52, v58, v59
	s_delay_alu instid0(VALU_DEP_1) | instskip(NEXT) | instid1(VALU_DEP_1)
	v_fmac_f32_e32 v58, v60, v57
	v_fma_f32 v52, -v52, v58, v59
	s_delay_alu instid0(VALU_DEP_1) | instskip(SKIP_2) | instid1(VALU_DEP_3)
	v_div_fmas_f32 v52, v52, v57, v58
	v_pk_fma_f32 v[58:59], v[50:51], v[56:57], v[50:51] op_sel:[0,0,1] op_sel_hi:[1,0,0]
	v_pk_fma_f32 v[50:51], v[50:51], v[56:57], v[50:51] op_sel:[0,0,1] op_sel_hi:[1,1,0] neg_lo:[0,0,1] neg_hi:[0,0,1]
	v_div_fixup_f32 v52, v52, v53, 1.0
	s_delay_alu instid0(VALU_DEP_3) | instskip(NEXT) | instid1(VALU_DEP_1)
	v_mov_b32_e32 v51, v59
	v_pk_mul_f32 v[56:57], v[50:51], v[52:53] op_sel_hi:[1,0]
.LBB129_79:                             ;   in Loop: Header=BB129_4 Depth=1
	s_or_b32 exec_lo, exec_lo, s6
.LBB129_80:                             ;   in Loop: Header=BB129_4 Depth=1
	v_cmp_gt_f32_e32 vcc_lo, 0, v46
	s_mov_b32 s7, -1
                                        ; implicit-def: $vgpr51
	v_cndmask_b32_e64 v53, v46, -v46, vcc_lo
	v_cmp_gt_f32_e32 vcc_lo, 0, v47
	v_cndmask_b32_e64 v58, v47, -v47, vcc_lo
	s_and_not1_b32 vcc_lo, exec_lo, s28
	s_delay_alu instid0(VALU_DEP_1)
	v_cmp_ge_f32_e64 s6, v53, v58
	s_cbranch_vccz .LBB129_86
; %bb.81:                               ;   in Loop: Header=BB129_4 Depth=1
	s_and_b32 vcc_lo, exec_lo, s7
	s_cbranch_vccnz .LBB129_95
.LBB129_82:                             ;   in Loop: Header=BB129_4 Depth=1
	s_and_saveexec_b32 s6, s2
	s_delay_alu instid0(SALU_CYCLE_1)
	s_xor_b32 s2, exec_lo, s6
	s_cbranch_execnz .LBB129_104
.LBB129_83:                             ;   in Loop: Header=BB129_4 Depth=1
	s_or_b32 exec_lo, exec_lo, s2
	s_and_saveexec_b32 s2, s3
	s_cbranch_execnz .LBB129_105
.LBB129_84:                             ;   in Loop: Header=BB129_4 Depth=1
	s_or_b32 exec_lo, exec_lo, s2
	s_and_saveexec_b32 s2, s4
	s_cbranch_execnz .LBB129_106
.LBB129_85:                             ;   in Loop: Header=BB129_4 Depth=1
	s_or_b32 exec_lo, exec_lo, s2
	s_and_saveexec_b32 s2, s5
	s_cbranch_execz .LBB129_3
	s_branch .LBB129_107
.LBB129_86:                             ;   in Loop: Header=BB129_4 Depth=1
                                        ; implicit-def: $vgpr52
                                        ; implicit-def: $vgpr50
	s_and_saveexec_b32 s7, s6
	s_delay_alu instid0(SALU_CYCLE_1)
	s_xor_b32 s29, exec_lo, s7
	s_cbranch_execz .LBB129_92
; %bb.87:                               ;   in Loop: Header=BB129_4 Depth=1
	v_cmp_neq_f32_e32 vcc_lo, 0, v46
	v_cmp_neq_f32_e64 s7, 0, v47
                                        ; implicit-def: $vgpr52
                                        ; implicit-def: $vgpr50
	s_or_b32 s7, s7, vcc_lo
	s_delay_alu instid0(SALU_CYCLE_1) | instskip(NEXT) | instid1(SALU_CYCLE_1)
	s_and_saveexec_b32 s30, s7
	s_xor_b32 s7, exec_lo, s30
	s_cbranch_execz .LBB129_89
; %bb.88:                               ;   in Loop: Header=BB129_4 Depth=1
	v_div_scale_f32 v50, null, v46, v46, v47
	v_div_scale_f32 v59, vcc_lo, v47, v46, v47
	s_delay_alu instid0(VALU_DEP_2) | instskip(SKIP_1) | instid1(TRANS32_DEP_1)
	v_rcp_f32_e32 v51, v50
	v_nop
	v_fma_f32 v52, -v50, v51, 1.0
	s_delay_alu instid0(VALU_DEP_1) | instskip(NEXT) | instid1(VALU_DEP_1)
	v_fmac_f32_e32 v51, v52, v51
	v_mul_f32_e32 v52, v59, v51
	s_delay_alu instid0(VALU_DEP_1) | instskip(NEXT) | instid1(VALU_DEP_1)
	v_fma_f32 v60, -v50, v52, v59
	v_fmac_f32_e32 v52, v60, v51
	s_delay_alu instid0(VALU_DEP_1) | instskip(NEXT) | instid1(VALU_DEP_1)
	v_fma_f32 v50, -v50, v52, v59
	v_div_fmas_f32 v50, v50, v51, v52
	s_delay_alu instid0(VALU_DEP_1) | instskip(NEXT) | instid1(VALU_DEP_1)
	v_div_fixup_f32 v50, v50, v46, v47
	v_fma_f32 v51, v47, v50, v46
	s_delay_alu instid0(VALU_DEP_1) | instskip(SKIP_1) | instid1(VALU_DEP_2)
	v_div_scale_f32 v52, null, v51, v51, 1.0
	v_div_scale_f32 v61, vcc_lo, 1.0, v51, 1.0
	v_rcp_f32_e32 v59, v52
	v_nop
	s_delay_alu instid0(TRANS32_DEP_1) | instskip(NEXT) | instid1(VALU_DEP_1)
	v_fma_f32 v60, -v52, v59, 1.0
	v_fmac_f32_e32 v59, v60, v59
	s_delay_alu instid0(VALU_DEP_1) | instskip(NEXT) | instid1(VALU_DEP_1)
	v_mul_f32_e32 v60, v61, v59
	v_fma_f32 v62, -v52, v60, v61
	s_delay_alu instid0(VALU_DEP_1) | instskip(NEXT) | instid1(VALU_DEP_1)
	v_fmac_f32_e32 v60, v62, v59
	v_fma_f32 v52, -v52, v60, v61
	s_delay_alu instid0(VALU_DEP_1) | instskip(SKIP_1) | instid1(VALU_DEP_2)
	v_div_fmas_f32 v52, v52, v59, v60
	v_fma_f32 v59, v44, v50, v45
	v_div_fixup_f32 v51, v52, v51, 1.0
	s_delay_alu instid0(VALU_DEP_1) | instskip(NEXT) | instid1(VALU_DEP_1)
	v_dual_fma_f32 v52, -v45, v50, v44 :: v_dual_mul_f32 v50, v59, v51
	v_mul_f32_e32 v52, v52, v51
.LBB129_89:                             ;   in Loop: Header=BB129_4 Depth=1
	s_and_not1_saveexec_b32 s30, s7
	s_cbranch_execz .LBB129_91
; %bb.90:                               ;   in Loop: Header=BB129_4 Depth=1
	v_div_scale_f32 v50, null, v53, v53, v45
	v_div_scale_f32 v51, null, v58, v58, v44
	v_div_scale_f32 v62, vcc_lo, v45, v53, v45
	s_delay_alu instid0(VALU_DEP_3) | instskip(NEXT) | instid1(VALU_DEP_2)
	v_rcp_f32_e32 v52, v50
	v_rcp_f32_e32 v59, v51
	s_delay_alu instid0(TRANS32_DEP_2) | instskip(NEXT) | instid1(TRANS32_DEP_1)
	v_fma_f32 v60, -v50, v52, 1.0
	v_fma_f32 v61, -v51, v59, 1.0
	s_delay_alu instid0(VALU_DEP_1) | instskip(SKIP_1) | instid1(VALU_DEP_1)
	v_dual_fmac_f32 v52, v60, v52 :: v_dual_fmac_f32 v59, v61, v59
	v_div_scale_f32 v60, s7, v44, v58, v44
	v_dual_mul_f32 v61, v62, v52 :: v_dual_mul_f32 v63, v60, v59
	s_delay_alu instid0(VALU_DEP_1) | instskip(NEXT) | instid1(VALU_DEP_1)
	v_dual_fma_f32 v64, -v50, v61, v62 :: v_dual_fma_f32 v65, -v51, v63, v60
	v_dual_fmac_f32 v61, v64, v52 :: v_dual_fmac_f32 v63, v65, v59
	s_delay_alu instid0(VALU_DEP_1) | instskip(NEXT) | instid1(VALU_DEP_1)
	v_dual_fma_f32 v50, -v50, v61, v62 :: v_dual_fma_f32 v51, -v51, v63, v60
	v_div_fmas_f32 v50, v50, v52, v61
	s_mov_b32 vcc_lo, s7
	s_delay_alu instid0(VALU_DEP_2) | instskip(NEXT) | instid1(VALU_DEP_2)
	v_div_fmas_f32 v51, v51, v59, v63
	v_div_fixup_f32 v50, v50, v53, v45
	s_delay_alu instid0(VALU_DEP_2)
	v_div_fixup_f32 v52, v51, v58, v44
.LBB129_91:                             ;   in Loop: Header=BB129_4 Depth=1
	s_or_b32 exec_lo, exec_lo, s30
.LBB129_92:                             ;   in Loop: Header=BB129_4 Depth=1
	s_and_not1_saveexec_b32 s7, s29
	s_cbranch_execz .LBB129_94
; %bb.93:                               ;   in Loop: Header=BB129_4 Depth=1
	v_div_scale_f32 v50, null, v47, v47, v46
	v_div_scale_f32 v59, vcc_lo, v46, v47, v46
	s_delay_alu instid0(VALU_DEP_2) | instskip(SKIP_1) | instid1(TRANS32_DEP_1)
	v_rcp_f32_e32 v51, v50
	v_nop
	v_fma_f32 v52, -v50, v51, 1.0
	s_delay_alu instid0(VALU_DEP_1) | instskip(NEXT) | instid1(VALU_DEP_1)
	v_fmac_f32_e32 v51, v52, v51
	v_mul_f32_e32 v52, v59, v51
	s_delay_alu instid0(VALU_DEP_1) | instskip(NEXT) | instid1(VALU_DEP_1)
	v_fma_f32 v60, -v50, v52, v59
	v_fmac_f32_e32 v52, v60, v51
	s_delay_alu instid0(VALU_DEP_1) | instskip(NEXT) | instid1(VALU_DEP_1)
	v_fma_f32 v50, -v50, v52, v59
	v_div_fmas_f32 v50, v50, v51, v52
	s_delay_alu instid0(VALU_DEP_1) | instskip(NEXT) | instid1(VALU_DEP_1)
	v_div_fixup_f32 v50, v50, v47, v46
	v_fma_f32 v51, v46, v50, v47
	s_delay_alu instid0(VALU_DEP_1) | instskip(SKIP_1) | instid1(VALU_DEP_2)
	v_div_scale_f32 v52, null, v51, v51, 1.0
	v_div_scale_f32 v61, vcc_lo, 1.0, v51, 1.0
	v_rcp_f32_e32 v59, v52
	v_nop
	s_delay_alu instid0(TRANS32_DEP_1) | instskip(NEXT) | instid1(VALU_DEP_1)
	v_fma_f32 v60, -v52, v59, 1.0
	v_fmac_f32_e32 v59, v60, v59
	s_delay_alu instid0(VALU_DEP_1) | instskip(NEXT) | instid1(VALU_DEP_1)
	v_mul_f32_e32 v60, v61, v59
	v_fma_f32 v62, -v52, v60, v61
	s_delay_alu instid0(VALU_DEP_1) | instskip(NEXT) | instid1(VALU_DEP_1)
	v_fmac_f32_e32 v60, v62, v59
	v_fma_f32 v52, -v52, v60, v61
	s_delay_alu instid0(VALU_DEP_1) | instskip(SKIP_1) | instid1(VALU_DEP_2)
	v_div_fmas_f32 v52, v52, v59, v60
	v_fma_f32 v59, v45, v50, v44
	v_div_fixup_f32 v51, v52, v51, 1.0
	s_delay_alu instid0(VALU_DEP_1) | instskip(NEXT) | instid1(VALU_DEP_1)
	v_dual_fma_f32 v52, v44, v50, -v45 :: v_dual_mul_f32 v50, v59, v51
	v_mul_f32_e32 v52, v52, v51
.LBB129_94:                             ;   in Loop: Header=BB129_4 Depth=1
	s_or_b32 exec_lo, exec_lo, s7
	v_mov_b64_e32 v[60:61], s[8:9]
	v_mov_b64_e32 v[62:63], s[22:23]
	s_delay_alu instid0(VALU_DEP_2) | instskip(NEXT) | instid1(VALU_DEP_2)
	v_pk_mul_f32 v[60:61], v[52:53], v[60:61] op_sel_hi:[0,1]
	v_pk_mul_f32 v[64:65], v[50:51], v[62:63] op_sel_hi:[0,1]
	s_delay_alu instid0(VALU_DEP_2) | instskip(NEXT) | instid1(VALU_DEP_2)
	v_pk_fma_f32 v[50:51], v[50:51], v[62:63], v[60:61] op_sel_hi:[0,1,1] neg_lo:[0,0,1] neg_hi:[0,0,1]
	v_add_f32_e32 v50, v64, v60
	s_branch .LBB129_82
.LBB129_95:                             ;   in Loop: Header=BB129_4 Depth=1
                                        ; implicit-def: $vgpr51
	s_and_saveexec_b32 s7, s6
	s_delay_alu instid0(SALU_CYCLE_1)
	s_xor_b32 s7, exec_lo, s7
	s_cbranch_execz .LBB129_101
; %bb.96:                               ;   in Loop: Header=BB129_4 Depth=1
	v_cmp_neq_f32_e32 vcc_lo, 0, v46
	v_cmp_neq_f32_e64 s6, 0, v47
                                        ; implicit-def: $vgpr51
	s_or_b32 s6, s6, vcc_lo
	s_delay_alu instid0(SALU_CYCLE_1) | instskip(NEXT) | instid1(SALU_CYCLE_1)
	s_and_saveexec_b32 s29, s6
	s_xor_b32 s6, exec_lo, s29
	s_cbranch_execz .LBB129_98
; %bb.97:                               ;   in Loop: Header=BB129_4 Depth=1
	v_div_scale_f32 v50, null, v46, v46, v47
	v_div_scale_f32 v53, vcc_lo, v47, v46, v47
	s_delay_alu instid0(VALU_DEP_2) | instskip(SKIP_1) | instid1(TRANS32_DEP_1)
	v_rcp_f32_e32 v51, v50
	v_nop
	v_fma_f32 v52, -v50, v51, 1.0
	s_delay_alu instid0(VALU_DEP_1) | instskip(NEXT) | instid1(VALU_DEP_1)
	v_fmac_f32_e32 v51, v52, v51
	v_mul_f32_e32 v52, v53, v51
	s_delay_alu instid0(VALU_DEP_1) | instskip(NEXT) | instid1(VALU_DEP_1)
	v_fma_f32 v58, -v50, v52, v53
	v_fmac_f32_e32 v52, v58, v51
	s_delay_alu instid0(VALU_DEP_1) | instskip(NEXT) | instid1(VALU_DEP_1)
	v_fma_f32 v50, -v50, v52, v53
	v_div_fmas_f32 v50, v50, v51, v52
	s_delay_alu instid0(VALU_DEP_1) | instskip(NEXT) | instid1(VALU_DEP_1)
	v_div_fixup_f32 v50, v50, v46, v47
	v_fmac_f32_e32 v46, v47, v50
	s_delay_alu instid0(VALU_DEP_1) | instskip(SKIP_1) | instid1(VALU_DEP_2)
	v_div_scale_f32 v47, null, v46, v46, 1.0
	v_div_scale_f32 v53, vcc_lo, 1.0, v46, 1.0
	v_rcp_f32_e32 v51, v47
	v_nop
	s_delay_alu instid0(TRANS32_DEP_1) | instskip(NEXT) | instid1(VALU_DEP_1)
	v_fma_f32 v52, -v47, v51, 1.0
	v_fmac_f32_e32 v51, v52, v51
	s_delay_alu instid0(VALU_DEP_1) | instskip(NEXT) | instid1(VALU_DEP_1)
	v_mul_f32_e32 v52, v53, v51
	v_fma_f32 v58, -v47, v52, v53
	s_delay_alu instid0(VALU_DEP_1) | instskip(NEXT) | instid1(VALU_DEP_1)
	v_fmac_f32_e32 v52, v58, v51
                                        ; implicit-def: $vgpr58
	v_fma_f32 v47, -v47, v52, v53
	s_delay_alu instid0(VALU_DEP_1) | instskip(SKIP_2) | instid1(VALU_DEP_3)
	v_div_fmas_f32 v47, v47, v51, v52
	v_pk_fma_f32 v[52:53], v[44:45], v[50:51], v[44:45] op_sel:[1,0,0] op_sel_hi:[0,0,1]
	v_pk_fma_f32 v[44:45], v[44:45], v[50:51], v[44:45] op_sel:[1,0,0] op_sel_hi:[0,1,1] neg_lo:[1,0,0] neg_hi:[1,0,0]
	v_div_fixup_f32 v46, v47, v46, 1.0
	s_delay_alu instid0(VALU_DEP_3) | instskip(NEXT) | instid1(VALU_DEP_1)
	v_mov_b32_e32 v45, v53
                                        ; implicit-def: $vgpr53
	v_pk_mul_f32 v[50:51], v[44:45], v[46:47] op_sel_hi:[1,0]
                                        ; implicit-def: $vgpr44_vgpr45
.LBB129_98:                             ;   in Loop: Header=BB129_4 Depth=1
	s_and_not1_saveexec_b32 s29, s6
	s_cbranch_execz .LBB129_100
; %bb.99:                               ;   in Loop: Header=BB129_4 Depth=1
	v_div_scale_f32 v46, null, v58, v58, v44
	v_div_scale_f32 v47, null, v53, v53, v45
	v_div_scale_f32 v60, vcc_lo, v44, v58, v44
	s_delay_alu instid0(VALU_DEP_3) | instskip(NEXT) | instid1(VALU_DEP_2)
	v_rcp_f32_e32 v50, v46
	v_rcp_f32_e32 v51, v47
	s_delay_alu instid0(TRANS32_DEP_2) | instskip(NEXT) | instid1(TRANS32_DEP_1)
	v_fma_f32 v52, -v46, v50, 1.0
	v_fma_f32 v59, -v47, v51, 1.0
	s_delay_alu instid0(VALU_DEP_1) | instskip(SKIP_1) | instid1(VALU_DEP_1)
	v_dual_fmac_f32 v50, v52, v50 :: v_dual_fmac_f32 v51, v59, v51
	v_div_scale_f32 v52, s6, v45, v53, v45
	v_mul_f32_e32 v61, v52, v51
	s_delay_alu instid0(VALU_DEP_1) | instskip(NEXT) | instid1(VALU_DEP_1)
	v_dual_mul_f32 v59, v60, v50 :: v_dual_fma_f32 v63, -v47, v61, v52
	v_fma_f32 v62, -v46, v59, v60
	s_delay_alu instid0(VALU_DEP_1) | instskip(NEXT) | instid1(VALU_DEP_1)
	v_dual_fmac_f32 v59, v62, v50 :: v_dual_fmac_f32 v61, v63, v51
	v_fma_f32 v46, -v46, v59, v60
	s_delay_alu instid0(VALU_DEP_2) | instskip(NEXT) | instid1(VALU_DEP_2)
	v_fma_f32 v47, -v47, v61, v52
	v_div_fmas_f32 v46, v46, v50, v59
	s_mov_b32 vcc_lo, s6
	s_delay_alu instid0(VALU_DEP_2) | instskip(NEXT) | instid1(VALU_DEP_2)
	v_div_fmas_f32 v47, v47, v51, v61
	v_div_fixup_f32 v50, v46, v58, v44
	s_delay_alu instid0(VALU_DEP_2)
	v_div_fixup_f32 v51, v47, v53, v45
.LBB129_100:                            ;   in Loop: Header=BB129_4 Depth=1
	s_or_b32 exec_lo, exec_lo, s29
                                        ; implicit-def: $vgpr47
                                        ; implicit-def: $vgpr44_vgpr45
.LBB129_101:                            ;   in Loop: Header=BB129_4 Depth=1
	s_and_not1_saveexec_b32 s6, s7
	s_cbranch_execz .LBB129_103
; %bb.102:                              ;   in Loop: Header=BB129_4 Depth=1
	v_div_scale_f32 v50, null, v47, v47, v46
	v_div_scale_f32 v53, vcc_lo, v46, v47, v46
	s_delay_alu instid0(VALU_DEP_2) | instskip(SKIP_1) | instid1(TRANS32_DEP_1)
	v_rcp_f32_e32 v51, v50
	v_nop
	v_fma_f32 v52, -v50, v51, 1.0
	s_delay_alu instid0(VALU_DEP_1) | instskip(NEXT) | instid1(VALU_DEP_1)
	v_fmac_f32_e32 v51, v52, v51
	v_mul_f32_e32 v52, v53, v51
	s_delay_alu instid0(VALU_DEP_1) | instskip(NEXT) | instid1(VALU_DEP_1)
	v_fma_f32 v58, -v50, v52, v53
	v_fmac_f32_e32 v52, v58, v51
	s_delay_alu instid0(VALU_DEP_1) | instskip(NEXT) | instid1(VALU_DEP_1)
	v_fma_f32 v50, -v50, v52, v53
	v_div_fmas_f32 v50, v50, v51, v52
	s_delay_alu instid0(VALU_DEP_1) | instskip(NEXT) | instid1(VALU_DEP_1)
	v_div_fixup_f32 v50, v50, v47, v46
	v_fmac_f32_e32 v47, v46, v50
	s_delay_alu instid0(VALU_DEP_1) | instskip(SKIP_1) | instid1(VALU_DEP_2)
	v_div_scale_f32 v46, null, v47, v47, 1.0
	v_div_scale_f32 v53, vcc_lo, 1.0, v47, 1.0
	v_rcp_f32_e32 v51, v46
	v_nop
	s_delay_alu instid0(TRANS32_DEP_1) | instskip(NEXT) | instid1(VALU_DEP_1)
	v_fma_f32 v52, -v46, v51, 1.0
	v_fmac_f32_e32 v51, v52, v51
	s_delay_alu instid0(VALU_DEP_1) | instskip(NEXT) | instid1(VALU_DEP_1)
	v_mul_f32_e32 v52, v53, v51
	v_fma_f32 v58, -v46, v52, v53
	s_delay_alu instid0(VALU_DEP_1) | instskip(NEXT) | instid1(VALU_DEP_1)
	v_fmac_f32_e32 v52, v58, v51
	v_fma_f32 v46, -v46, v52, v53
	s_delay_alu instid0(VALU_DEP_1) | instskip(SKIP_2) | instid1(VALU_DEP_3)
	v_div_fmas_f32 v46, v46, v51, v52
	v_pk_fma_f32 v[52:53], v[44:45], v[50:51], v[44:45] op_sel:[0,0,1] op_sel_hi:[1,0,0]
	v_pk_fma_f32 v[44:45], v[44:45], v[50:51], v[44:45] op_sel:[0,0,1] op_sel_hi:[1,1,0] neg_lo:[0,0,1] neg_hi:[0,0,1]
	v_div_fixup_f32 v46, v46, v47, 1.0
	s_delay_alu instid0(VALU_DEP_3) | instskip(NEXT) | instid1(VALU_DEP_1)
	v_mov_b32_e32 v45, v53
	v_pk_mul_f32 v[50:51], v[44:45], v[46:47] op_sel_hi:[1,0]
.LBB129_103:                            ;   in Loop: Header=BB129_4 Depth=1
	s_or_b32 exec_lo, exec_lo, s6
	s_and_saveexec_b32 s6, s2
	s_delay_alu instid0(SALU_CYCLE_1)
	s_xor_b32 s2, exec_lo, s6
	s_cbranch_execz .LBB129_83
.LBB129_104:                            ;   in Loop: Header=BB129_4 Depth=1
	v_add_nc_u64_e32 v[44:45], s[16:17], v[6:7]
	v_dual_add_f32 v36, v36, v49 :: v_dual_add_f32 v37, v37, v48
	global_store_b64 v[44:45], v[36:37], off
	s_wait_xcnt 0x0
	s_or_b32 exec_lo, exec_lo, s2
	s_and_saveexec_b32 s2, s3
	s_cbranch_execz .LBB129_84
.LBB129_105:                            ;   in Loop: Header=BB129_4 Depth=1
	v_add_nc_u64_e32 v[36:37], s[16:17], v[24:25]
	v_dual_add_f32 v38, v38, v55 :: v_dual_add_f32 v39, v39, v54
	global_store_b64 v[36:37], v[38:39], off
	s_wait_xcnt 0x0
	s_or_b32 exec_lo, exec_lo, s2
	s_and_saveexec_b32 s2, s4
	s_cbranch_execz .LBB129_85
.LBB129_106:                            ;   in Loop: Header=BB129_4 Depth=1
	v_add_nc_u64_e32 v[36:37], s[16:17], v[26:27]
	v_dual_add_f32 v38, v40, v57 :: v_dual_add_f32 v39, v41, v56
	global_store_b64 v[36:37], v[38:39], off
	s_wait_xcnt 0x0
	s_or_b32 exec_lo, exec_lo, s2
	s_and_saveexec_b32 s2, s5
	s_cbranch_execz .LBB129_3
.LBB129_107:                            ;   in Loop: Header=BB129_4 Depth=1
	v_add_nc_u64_e32 v[36:37], s[16:17], v[18:19]
	v_dual_add_f32 v38, v42, v51 :: v_dual_add_f32 v39, v43, v50
	global_store_b64 v[36:37], v[38:39], off
	s_branch .LBB129_3
.LBB129_108:
	s_mov_b32 s20, 0
.LBB129_109:
	s_delay_alu instid0(SALU_CYCLE_1)
	s_and_not1_b32 vcc_lo, exec_lo, s20
	s_cbranch_vccnz .LBB129_193
; %bb.110:
	v_min_i64 v[26:27], 0x10000, s[18:19]
	v_dual_mov_b32 v29, 0 :: v_dual_lshlrev_b32 v28, 2, v0
	s_mov_b32 s2, exec_lo
	s_delay_alu instid0(VALU_DEP_1)
	v_cmpx_lt_i64_e64 v[28:29], v[26:27]
	s_cbranch_execz .LBB129_193
; %bb.111:
	s_load_b32 s0, s[0:1], 0xdd4
	s_cmp_neq_f32 s8, 1.0
	v_dual_mov_b32 v1, v29 :: v_dual_lshlrev_b32 v28, 5, v0
	s_mov_b32 s3, 0
	s_wait_xcnt 0x0
	s_cselect_b32 s1, -1, 0
	s_and_b32 s2, s9, 0x7fffffff
	s_mov_b32 s4, s9
	s_cmp_lg_u32 s2, 0
	s_mov_b32 s5, s8
	s_cselect_b32 s6, -1, 0
	s_mov_b32 s7, s3
	s_or_b32 s16, s1, s6
	s_mov_b32 s17, s3
	s_wait_kmcnt 0x0
	s_and_b32 s2, s0, 0xffff
	s_delay_alu instid0(SALU_CYCLE_1)
	s_lshl_b32 s6, s2, 5
	s_branch .LBB129_114
.LBB129_112:                            ;   in Loop: Header=BB129_114 Depth=1
	s_or_b32 exec_lo, exec_lo, s0
.LBB129_113:                            ;   in Loop: Header=BB129_114 Depth=1
	v_add_nc_u64_e32 v[0:1], s[2:3], v[0:1]
	s_wait_loadcnt 0x0
	v_dual_add_f32 v8, v8, v18 :: v_dual_add_f32 v9, v9, v19
	v_dual_add_f32 v6, v6, v32 :: v_dual_add_f32 v7, v7, v33
	;; [unrolled: 1-line block ×3, first 2 shown]
	s_delay_alu instid0(VALU_DEP_4)
	v_lshlrev_b64_e32 v[12:13], 2, v[0:1]
	v_dual_add_f32 v4, v4, v10 :: v_dual_add_f32 v5, v5, v11
	s_add_nc_u64 s[12:13], s[12:13], s[6:7]
	s_add_nc_u64 s[14:15], s[14:15], s[6:7]
	s_add_nc_u64 s[10:11], s[10:11], s[6:7]
	s_clause 0x1
	global_store_b128 v[30:31], v[6:9], off
	global_store_b128 v[30:31], v[2:5], off offset:16
	v_cmp_ge_i64_e32 vcc_lo, v[12:13], v[26:27]
	s_or_b32 s17, vcc_lo, s17
	s_wait_xcnt 0x0
	s_and_not1_b32 exec_lo, exec_lo, s17
	s_cbranch_execz .LBB129_193
.LBB129_114:                            ; =>This Inner Loop Header: Depth=1
	v_add_nc_u64_e32 v[32:33], s[12:13], v[28:29]
	v_add_nc_u64_e32 v[30:31], s[14:15], v[28:29]
	;; [unrolled: 1-line block ×3, first 2 shown]
	s_mov_b32 s1, -1
	s_clause 0x1
	global_load_b128 v[22:25], v[32:33], off
	global_load_b128 v[14:17], v[32:33], off offset:16
	s_clause 0x1
	global_load_b128 v[2:5], v[30:31], off offset:16
	global_load_b128 v[6:9], v[30:31], off
	s_clause 0x1
	global_load_b128 v[10:13], v[34:35], off offset:16
	global_load_b128 v[18:21], v[34:35], off
                                        ; implicit-def: $vgpr33
	s_wait_loadcnt 0x5
	v_cmp_gt_f32_e32 vcc_lo, 0, v23
	s_wait_xcnt 0x0
	v_cndmask_b32_e64 v35, v23, -v23, vcc_lo
	v_cmp_gt_f32_e32 vcc_lo, 0, v22
	v_cndmask_b32_e64 v36, v22, -v22, vcc_lo
	s_and_b32 vcc_lo, exec_lo, s16
	s_delay_alu instid0(VALU_DEP_1)
	v_cmp_ge_f32_e64 s0, v36, v35
	s_cbranch_vccz .LBB129_124
; %bb.115:                              ;   in Loop: Header=BB129_114 Depth=1
                                        ; implicit-def: $vgpr34
                                        ; implicit-def: $vgpr32
	s_and_saveexec_b32 s1, s0
	s_delay_alu instid0(SALU_CYCLE_1)
	s_xor_b32 s18, exec_lo, s1
	s_cbranch_execz .LBB129_121
; %bb.116:                              ;   in Loop: Header=BB129_114 Depth=1
	v_cmp_neq_f32_e32 vcc_lo, 0, v22
	v_cmp_neq_f32_e64 s1, 0, v23
                                        ; implicit-def: $vgpr34
                                        ; implicit-def: $vgpr32
	s_or_b32 s1, vcc_lo, s1
	s_delay_alu instid0(SALU_CYCLE_1) | instskip(NEXT) | instid1(SALU_CYCLE_1)
	s_and_saveexec_b32 s19, s1
	s_xor_b32 s1, exec_lo, s19
	s_cbranch_execz .LBB129_118
; %bb.117:                              ;   in Loop: Header=BB129_114 Depth=1
	v_div_scale_f32 v32, null, v22, v22, v23
	v_div_scale_f32 v37, vcc_lo, v23, v22, v23
	s_delay_alu instid0(VALU_DEP_2) | instskip(SKIP_1) | instid1(TRANS32_DEP_1)
	v_rcp_f32_e32 v33, v32
	v_nop
	v_fma_f32 v34, -v32, v33, 1.0
	s_delay_alu instid0(VALU_DEP_1) | instskip(NEXT) | instid1(VALU_DEP_1)
	v_fmac_f32_e32 v33, v34, v33
	v_mul_f32_e32 v34, v37, v33
	s_delay_alu instid0(VALU_DEP_1) | instskip(NEXT) | instid1(VALU_DEP_1)
	v_fma_f32 v38, -v32, v34, v37
	v_fmac_f32_e32 v34, v38, v33
	s_delay_alu instid0(VALU_DEP_1) | instskip(NEXT) | instid1(VALU_DEP_1)
	v_fma_f32 v32, -v32, v34, v37
	v_div_fmas_f32 v32, v32, v33, v34
	s_delay_alu instid0(VALU_DEP_1) | instskip(NEXT) | instid1(VALU_DEP_1)
	v_div_fixup_f32 v32, v32, v22, v23
	v_fma_f32 v33, v23, v32, v22
	s_delay_alu instid0(VALU_DEP_1) | instskip(SKIP_1) | instid1(VALU_DEP_2)
	v_div_scale_f32 v34, null, v33, v33, 1.0
	v_div_scale_f32 v39, vcc_lo, 1.0, v33, 1.0
	v_rcp_f32_e32 v37, v34
	v_nop
	s_delay_alu instid0(TRANS32_DEP_1) | instskip(NEXT) | instid1(VALU_DEP_1)
	v_fma_f32 v38, -v34, v37, 1.0
	v_fmac_f32_e32 v37, v38, v37
	s_delay_alu instid0(VALU_DEP_1) | instskip(NEXT) | instid1(VALU_DEP_1)
	v_mul_f32_e32 v38, v39, v37
	v_fma_f32 v40, -v34, v38, v39
	s_delay_alu instid0(VALU_DEP_1) | instskip(NEXT) | instid1(VALU_DEP_1)
	v_fmac_f32_e32 v38, v40, v37
	v_fma_f32 v34, -v34, v38, v39
	s_delay_alu instid0(VALU_DEP_1) | instskip(SKIP_2) | instid1(VALU_DEP_2)
	v_div_fmas_f32 v34, v34, v37, v38
	s_wait_loadcnt 0x0
	v_fma_f32 v37, v19, v32, v18
	v_div_fixup_f32 v33, v34, v33, 1.0
	s_delay_alu instid0(VALU_DEP_1) | instskip(NEXT) | instid1(VALU_DEP_1)
	v_dual_fma_f32 v34, -v18, v32, v19 :: v_dual_mul_f32 v32, v37, v33
	v_mul_f32_e32 v34, v34, v33
.LBB129_118:                            ;   in Loop: Header=BB129_114 Depth=1
	s_and_not1_saveexec_b32 s19, s1
	s_cbranch_execz .LBB129_120
; %bb.119:                              ;   in Loop: Header=BB129_114 Depth=1
	s_wait_loadcnt 0x0
	v_div_scale_f32 v32, null, v36, v36, v18
	v_div_scale_f32 v33, null, v35, v35, v19
	v_div_scale_f32 v40, vcc_lo, v18, v36, v18
	s_delay_alu instid0(VALU_DEP_3) | instskip(NEXT) | instid1(VALU_DEP_2)
	v_rcp_f32_e32 v34, v32
	v_rcp_f32_e32 v37, v33
	s_delay_alu instid0(TRANS32_DEP_2) | instskip(NEXT) | instid1(TRANS32_DEP_1)
	v_fma_f32 v38, -v32, v34, 1.0
	v_fma_f32 v39, -v33, v37, 1.0
	s_delay_alu instid0(VALU_DEP_1) | instskip(SKIP_1) | instid1(VALU_DEP_1)
	v_dual_fmac_f32 v34, v38, v34 :: v_dual_fmac_f32 v37, v39, v37
	v_div_scale_f32 v38, s1, v19, v35, v19
	v_dual_mul_f32 v39, v40, v34 :: v_dual_mul_f32 v41, v38, v37
	s_delay_alu instid0(VALU_DEP_1) | instskip(NEXT) | instid1(VALU_DEP_1)
	v_dual_fma_f32 v42, -v32, v39, v40 :: v_dual_fma_f32 v43, -v33, v41, v38
	v_dual_fmac_f32 v39, v42, v34 :: v_dual_fmac_f32 v41, v43, v37
	s_delay_alu instid0(VALU_DEP_1) | instskip(NEXT) | instid1(VALU_DEP_1)
	v_dual_fma_f32 v32, -v32, v39, v40 :: v_dual_fma_f32 v33, -v33, v41, v38
	v_div_fmas_f32 v32, v32, v34, v39
	s_mov_b32 vcc_lo, s1
	s_delay_alu instid0(VALU_DEP_2) | instskip(NEXT) | instid1(VALU_DEP_2)
	v_div_fmas_f32 v33, v33, v37, v41
	v_div_fixup_f32 v32, v32, v36, v18
	s_delay_alu instid0(VALU_DEP_2)
	v_div_fixup_f32 v34, v33, v35, v19
.LBB129_120:                            ;   in Loop: Header=BB129_114 Depth=1
	s_or_b32 exec_lo, exec_lo, s19
.LBB129_121:                            ;   in Loop: Header=BB129_114 Depth=1
	s_and_not1_saveexec_b32 s1, s18
	s_cbranch_execz .LBB129_123
; %bb.122:                              ;   in Loop: Header=BB129_114 Depth=1
	v_div_scale_f32 v32, null, v23, v23, v22
	v_div_scale_f32 v37, vcc_lo, v22, v23, v22
	s_delay_alu instid0(VALU_DEP_2) | instskip(SKIP_1) | instid1(TRANS32_DEP_1)
	v_rcp_f32_e32 v33, v32
	v_nop
	v_fma_f32 v34, -v32, v33, 1.0
	s_delay_alu instid0(VALU_DEP_1) | instskip(NEXT) | instid1(VALU_DEP_1)
	v_fmac_f32_e32 v33, v34, v33
	v_mul_f32_e32 v34, v37, v33
	s_delay_alu instid0(VALU_DEP_1) | instskip(NEXT) | instid1(VALU_DEP_1)
	v_fma_f32 v38, -v32, v34, v37
	v_fmac_f32_e32 v34, v38, v33
	s_delay_alu instid0(VALU_DEP_1) | instskip(NEXT) | instid1(VALU_DEP_1)
	v_fma_f32 v32, -v32, v34, v37
	v_div_fmas_f32 v32, v32, v33, v34
	s_delay_alu instid0(VALU_DEP_1) | instskip(NEXT) | instid1(VALU_DEP_1)
	v_div_fixup_f32 v32, v32, v23, v22
	v_fma_f32 v33, v22, v32, v23
	s_delay_alu instid0(VALU_DEP_1) | instskip(SKIP_1) | instid1(VALU_DEP_2)
	v_div_scale_f32 v34, null, v33, v33, 1.0
	v_div_scale_f32 v39, vcc_lo, 1.0, v33, 1.0
	v_rcp_f32_e32 v37, v34
	v_nop
	s_delay_alu instid0(TRANS32_DEP_1) | instskip(NEXT) | instid1(VALU_DEP_1)
	v_fma_f32 v38, -v34, v37, 1.0
	v_fmac_f32_e32 v37, v38, v37
	s_delay_alu instid0(VALU_DEP_1) | instskip(NEXT) | instid1(VALU_DEP_1)
	v_mul_f32_e32 v38, v39, v37
	v_fma_f32 v40, -v34, v38, v39
	s_delay_alu instid0(VALU_DEP_1) | instskip(NEXT) | instid1(VALU_DEP_1)
	v_fmac_f32_e32 v38, v40, v37
	v_fma_f32 v34, -v34, v38, v39
	s_delay_alu instid0(VALU_DEP_1) | instskip(SKIP_2) | instid1(VALU_DEP_2)
	v_div_fmas_f32 v34, v34, v37, v38
	s_wait_loadcnt 0x0
	v_fma_f32 v37, v18, v32, v19
	v_div_fixup_f32 v33, v34, v33, 1.0
	s_delay_alu instid0(VALU_DEP_1) | instskip(NEXT) | instid1(VALU_DEP_1)
	v_dual_fma_f32 v34, v19, v32, -v18 :: v_dual_mul_f32 v32, v37, v33
	v_mul_f32_e32 v34, v34, v33
.LBB129_123:                            ;   in Loop: Header=BB129_114 Depth=1
	s_or_b32 exec_lo, exec_lo, s1
	v_mov_b64_e32 v[38:39], s[4:5]
	v_mov_b64_e32 v[40:41], s[8:9]
	s_mov_b32 s1, 0
	s_delay_alu instid0(VALU_DEP_2) | instskip(NEXT) | instid1(VALU_DEP_2)
	v_pk_mul_f32 v[38:39], v[34:35], v[38:39] op_sel_hi:[0,1]
	v_pk_mul_f32 v[42:43], v[32:33], v[40:41] op_sel_hi:[0,1]
	s_delay_alu instid0(VALU_DEP_2) | instskip(NEXT) | instid1(VALU_DEP_2)
	v_pk_fma_f32 v[32:33], v[32:33], v[40:41], v[38:39] op_sel_hi:[0,1,1]
	v_sub_f32_e32 v32, v42, v38
.LBB129_124:                            ;   in Loop: Header=BB129_114 Depth=1
	s_and_b32 vcc_lo, exec_lo, s1
	s_cbranch_vccz .LBB129_134
; %bb.125:                              ;   in Loop: Header=BB129_114 Depth=1
                                        ; implicit-def: $vgpr33
	s_and_saveexec_b32 s1, s0
	s_delay_alu instid0(SALU_CYCLE_1)
	s_xor_b32 s1, exec_lo, s1
	s_cbranch_execz .LBB129_131
; %bb.126:                              ;   in Loop: Header=BB129_114 Depth=1
	v_cmp_neq_f32_e32 vcc_lo, 0, v22
	v_cmp_neq_f32_e64 s0, 0, v23
                                        ; implicit-def: $vgpr33
	s_or_b32 s0, vcc_lo, s0
	s_delay_alu instid0(SALU_CYCLE_1) | instskip(NEXT) | instid1(SALU_CYCLE_1)
	s_and_saveexec_b32 s18, s0
	s_xor_b32 s0, exec_lo, s18
	s_cbranch_execz .LBB129_128
; %bb.127:                              ;   in Loop: Header=BB129_114 Depth=1
	v_div_scale_f32 v32, null, v22, v22, v23
	v_div_scale_f32 v35, vcc_lo, v23, v22, v23
	s_delay_alu instid0(VALU_DEP_2) | instskip(SKIP_1) | instid1(TRANS32_DEP_1)
	v_rcp_f32_e32 v33, v32
	v_nop
	v_fma_f32 v34, -v32, v33, 1.0
	s_delay_alu instid0(VALU_DEP_1) | instskip(NEXT) | instid1(VALU_DEP_1)
	v_fmac_f32_e32 v33, v34, v33
	v_mul_f32_e32 v34, v35, v33
	s_delay_alu instid0(VALU_DEP_1) | instskip(NEXT) | instid1(VALU_DEP_1)
	v_fma_f32 v36, -v32, v34, v35
	v_fmac_f32_e32 v34, v36, v33
	s_delay_alu instid0(VALU_DEP_1) | instskip(NEXT) | instid1(VALU_DEP_1)
	v_fma_f32 v32, -v32, v34, v35
	v_div_fmas_f32 v32, v32, v33, v34
	s_delay_alu instid0(VALU_DEP_1) | instskip(NEXT) | instid1(VALU_DEP_1)
	v_div_fixup_f32 v32, v32, v22, v23
	v_fma_f32 v36, v23, v32, v22
	s_delay_alu instid0(VALU_DEP_1) | instskip(SKIP_1) | instid1(VALU_DEP_2)
	v_div_scale_f32 v33, null, v36, v36, 1.0
	v_div_scale_f32 v37, vcc_lo, 1.0, v36, 1.0
	v_rcp_f32_e32 v34, v33
	v_nop
	s_delay_alu instid0(TRANS32_DEP_1) | instskip(NEXT) | instid1(VALU_DEP_1)
	v_fma_f32 v35, -v33, v34, 1.0
	v_fmac_f32_e32 v34, v35, v34
	s_delay_alu instid0(VALU_DEP_1) | instskip(NEXT) | instid1(VALU_DEP_1)
	v_mul_f32_e32 v35, v37, v34
	v_fma_f32 v38, -v33, v35, v37
	s_delay_alu instid0(VALU_DEP_1) | instskip(NEXT) | instid1(VALU_DEP_1)
	v_fmac_f32_e32 v35, v38, v34
	v_fma_f32 v33, -v33, v35, v37
	s_delay_alu instid0(VALU_DEP_1) | instskip(SKIP_3) | instid1(VALU_DEP_3)
	v_div_fmas_f32 v37, v33, v34, v35
	s_wait_loadcnt 0x0
	v_pk_fma_f32 v[34:35], v[18:19], v[32:33], v[18:19] op_sel:[1,0,0] op_sel_hi:[0,0,1] neg_lo:[1,0,0] neg_hi:[1,0,0]
	v_pk_fma_f32 v[32:33], v[18:19], v[32:33], v[18:19] op_sel:[1,0,0] op_sel_hi:[0,0,1]
	v_div_fixup_f32 v34, v37, v36, 1.0
	s_delay_alu instid0(VALU_DEP_3) | instskip(NEXT) | instid1(VALU_DEP_1)
	v_mov_b32_e32 v33, v35
                                        ; implicit-def: $vgpr36
	v_pk_mul_f32 v[32:33], v[32:33], v[34:35] op_sel_hi:[1,0]
                                        ; implicit-def: $vgpr35
.LBB129_128:                            ;   in Loop: Header=BB129_114 Depth=1
	s_and_not1_saveexec_b32 s18, s0
	s_cbranch_execz .LBB129_130
; %bb.129:                              ;   in Loop: Header=BB129_114 Depth=1
	s_wait_loadcnt 0x0
	v_div_scale_f32 v32, null, v36, v36, v18
	v_div_scale_f32 v33, null, v35, v35, v19
	v_div_scale_f32 v40, vcc_lo, v18, v36, v18
	s_delay_alu instid0(VALU_DEP_3) | instskip(NEXT) | instid1(VALU_DEP_2)
	v_rcp_f32_e32 v34, v32
	v_rcp_f32_e32 v37, v33
	s_delay_alu instid0(TRANS32_DEP_2) | instskip(NEXT) | instid1(TRANS32_DEP_1)
	v_fma_f32 v38, -v32, v34, 1.0
	v_fma_f32 v39, -v33, v37, 1.0
	s_delay_alu instid0(VALU_DEP_1) | instskip(SKIP_1) | instid1(VALU_DEP_1)
	v_dual_fmac_f32 v34, v38, v34 :: v_dual_fmac_f32 v37, v39, v37
	v_div_scale_f32 v38, s0, v19, v35, v19
	v_dual_mul_f32 v39, v40, v34 :: v_dual_mul_f32 v41, v38, v37
	s_delay_alu instid0(VALU_DEP_1) | instskip(NEXT) | instid1(VALU_DEP_1)
	v_dual_fma_f32 v42, -v32, v39, v40 :: v_dual_fma_f32 v43, -v33, v41, v38
	v_dual_fmac_f32 v39, v42, v34 :: v_dual_fmac_f32 v41, v43, v37
	s_delay_alu instid0(VALU_DEP_1) | instskip(NEXT) | instid1(VALU_DEP_1)
	v_dual_fma_f32 v32, -v32, v39, v40 :: v_dual_fma_f32 v33, -v33, v41, v38
	v_div_fmas_f32 v32, v32, v34, v39
	s_mov_b32 vcc_lo, s0
	s_delay_alu instid0(VALU_DEP_2) | instskip(NEXT) | instid1(VALU_DEP_2)
	v_div_fmas_f32 v33, v33, v37, v41
	v_div_fixup_f32 v32, v32, v36, v18
	s_delay_alu instid0(VALU_DEP_2)
	v_div_fixup_f32 v33, v33, v35, v19
.LBB129_130:                            ;   in Loop: Header=BB129_114 Depth=1
	s_or_b32 exec_lo, exec_lo, s18
.LBB129_131:                            ;   in Loop: Header=BB129_114 Depth=1
	s_and_not1_saveexec_b32 s0, s1
	s_cbranch_execz .LBB129_133
; %bb.132:                              ;   in Loop: Header=BB129_114 Depth=1
	v_div_scale_f32 v32, null, v23, v23, v22
	v_div_scale_f32 v35, vcc_lo, v22, v23, v22
	s_delay_alu instid0(VALU_DEP_2) | instskip(SKIP_1) | instid1(TRANS32_DEP_1)
	v_rcp_f32_e32 v33, v32
	v_nop
	v_fma_f32 v34, -v32, v33, 1.0
	s_delay_alu instid0(VALU_DEP_1) | instskip(NEXT) | instid1(VALU_DEP_1)
	v_fmac_f32_e32 v33, v34, v33
	v_mul_f32_e32 v34, v35, v33
	s_delay_alu instid0(VALU_DEP_1) | instskip(NEXT) | instid1(VALU_DEP_1)
	v_fma_f32 v36, -v32, v34, v35
	v_fmac_f32_e32 v34, v36, v33
	s_delay_alu instid0(VALU_DEP_1) | instskip(NEXT) | instid1(VALU_DEP_1)
	v_fma_f32 v32, -v32, v34, v35
	v_div_fmas_f32 v32, v32, v33, v34
	s_delay_alu instid0(VALU_DEP_1) | instskip(NEXT) | instid1(VALU_DEP_1)
	v_div_fixup_f32 v32, v32, v23, v22
	v_fma_f32 v33, v22, v32, v23
	s_delay_alu instid0(VALU_DEP_1) | instskip(SKIP_1) | instid1(VALU_DEP_2)
	v_div_scale_f32 v22, null, v33, v33, 1.0
	v_div_scale_f32 v35, vcc_lo, 1.0, v33, 1.0
	v_rcp_f32_e32 v23, v22
	v_nop
	s_delay_alu instid0(TRANS32_DEP_1) | instskip(NEXT) | instid1(VALU_DEP_1)
	v_fma_f32 v34, -v22, v23, 1.0
	v_fmac_f32_e32 v23, v34, v23
	s_delay_alu instid0(VALU_DEP_1) | instskip(NEXT) | instid1(VALU_DEP_1)
	v_mul_f32_e32 v34, v35, v23
	v_fma_f32 v36, -v22, v34, v35
	s_delay_alu instid0(VALU_DEP_1) | instskip(NEXT) | instid1(VALU_DEP_1)
	v_fmac_f32_e32 v34, v36, v23
	v_fma_f32 v22, -v22, v34, v35
	s_delay_alu instid0(VALU_DEP_1) | instskip(SKIP_3) | instid1(VALU_DEP_3)
	v_div_fmas_f32 v34, v22, v23, v34
	s_wait_loadcnt 0x0
	v_pk_fma_f32 v[22:23], v[18:19], v[32:33], v[18:19] op_sel:[0,0,1] op_sel_hi:[1,0,0] neg_lo:[0,0,1] neg_hi:[0,0,1]
	v_pk_fma_f32 v[18:19], v[18:19], v[32:33], v[18:19] op_sel:[0,0,1] op_sel_hi:[1,0,0]
	v_div_fixup_f32 v22, v34, v33, 1.0
	s_delay_alu instid0(VALU_DEP_3) | instskip(NEXT) | instid1(VALU_DEP_1)
	v_mov_b32_e32 v19, v23
	v_pk_mul_f32 v[32:33], v[18:19], v[22:23] op_sel_hi:[1,0]
.LBB129_133:                            ;   in Loop: Header=BB129_114 Depth=1
	s_or_b32 exec_lo, exec_lo, s0
.LBB129_134:                            ;   in Loop: Header=BB129_114 Depth=1
	v_cmp_gt_f32_e32 vcc_lo, 0, v25
	s_mov_b32 s1, -1
                                        ; implicit-def: $vgpr19
	v_cndmask_b32_e64 v23, v25, -v25, vcc_lo
	v_cmp_gt_f32_e32 vcc_lo, 0, v24
	v_cndmask_b32_e64 v34, v24, -v24, vcc_lo
	s_and_not1_b32 vcc_lo, exec_lo, s16
	s_delay_alu instid0(VALU_DEP_1)
	v_cmp_ge_f32_e64 s0, v34, v23
	s_cbranch_vccnz .LBB129_144
; %bb.135:                              ;   in Loop: Header=BB129_114 Depth=1
                                        ; implicit-def: $vgpr22
                                        ; implicit-def: $vgpr18
	s_and_saveexec_b32 s1, s0
	s_delay_alu instid0(SALU_CYCLE_1)
	s_xor_b32 s18, exec_lo, s1
	s_cbranch_execz .LBB129_141
; %bb.136:                              ;   in Loop: Header=BB129_114 Depth=1
	v_cmp_neq_f32_e32 vcc_lo, 0, v24
	v_cmp_neq_f32_e64 s1, 0, v25
                                        ; implicit-def: $vgpr22
                                        ; implicit-def: $vgpr18
	s_or_b32 s1, vcc_lo, s1
	s_delay_alu instid0(SALU_CYCLE_1) | instskip(NEXT) | instid1(SALU_CYCLE_1)
	s_and_saveexec_b32 s19, s1
	s_xor_b32 s1, exec_lo, s19
	s_cbranch_execz .LBB129_138
; %bb.137:                              ;   in Loop: Header=BB129_114 Depth=1
	s_wait_loadcnt 0x0
	v_div_scale_f32 v18, null, v24, v24, v25
	v_div_scale_f32 v35, vcc_lo, v25, v24, v25
	s_delay_alu instid0(VALU_DEP_2) | instskip(SKIP_1) | instid1(TRANS32_DEP_1)
	v_rcp_f32_e32 v19, v18
	v_nop
	v_fma_f32 v22, -v18, v19, 1.0
	s_delay_alu instid0(VALU_DEP_1) | instskip(NEXT) | instid1(VALU_DEP_1)
	v_fmac_f32_e32 v19, v22, v19
	v_mul_f32_e32 v22, v35, v19
	s_delay_alu instid0(VALU_DEP_1) | instskip(NEXT) | instid1(VALU_DEP_1)
	v_fma_f32 v36, -v18, v22, v35
	v_fmac_f32_e32 v22, v36, v19
	s_delay_alu instid0(VALU_DEP_1) | instskip(NEXT) | instid1(VALU_DEP_1)
	v_fma_f32 v18, -v18, v22, v35
	v_div_fmas_f32 v18, v18, v19, v22
	s_delay_alu instid0(VALU_DEP_1) | instskip(NEXT) | instid1(VALU_DEP_1)
	v_div_fixup_f32 v18, v18, v24, v25
	v_fma_f32 v19, v25, v18, v24
	s_delay_alu instid0(VALU_DEP_1) | instskip(SKIP_1) | instid1(VALU_DEP_2)
	v_div_scale_f32 v22, null, v19, v19, 1.0
	v_div_scale_f32 v37, vcc_lo, 1.0, v19, 1.0
	v_rcp_f32_e32 v35, v22
	v_nop
	s_delay_alu instid0(TRANS32_DEP_1) | instskip(NEXT) | instid1(VALU_DEP_1)
	v_fma_f32 v36, -v22, v35, 1.0
	v_fmac_f32_e32 v35, v36, v35
	s_delay_alu instid0(VALU_DEP_1) | instskip(NEXT) | instid1(VALU_DEP_1)
	v_mul_f32_e32 v36, v37, v35
	v_fma_f32 v38, -v22, v36, v37
	s_delay_alu instid0(VALU_DEP_1) | instskip(NEXT) | instid1(VALU_DEP_1)
	v_fmac_f32_e32 v36, v38, v35
	v_fma_f32 v22, -v22, v36, v37
	s_delay_alu instid0(VALU_DEP_1) | instskip(SKIP_1) | instid1(VALU_DEP_2)
	v_div_fmas_f32 v22, v22, v35, v36
	v_fma_f32 v35, v21, v18, v20
	v_div_fixup_f32 v19, v22, v19, 1.0
	s_delay_alu instid0(VALU_DEP_1) | instskip(NEXT) | instid1(VALU_DEP_1)
	v_dual_fma_f32 v22, -v20, v18, v21 :: v_dual_mul_f32 v18, v35, v19
	v_mul_f32_e32 v22, v22, v19
.LBB129_138:                            ;   in Loop: Header=BB129_114 Depth=1
	s_and_not1_saveexec_b32 s19, s1
	s_cbranch_execz .LBB129_140
; %bb.139:                              ;   in Loop: Header=BB129_114 Depth=1
	s_wait_loadcnt 0x0
	v_div_scale_f32 v18, null, v34, v34, v20
	v_div_scale_f32 v19, null, v23, v23, v21
	v_div_scale_f32 v38, vcc_lo, v20, v34, v20
	s_delay_alu instid0(VALU_DEP_3) | instskip(NEXT) | instid1(VALU_DEP_2)
	v_rcp_f32_e32 v22, v18
	v_rcp_f32_e32 v35, v19
	s_delay_alu instid0(TRANS32_DEP_2) | instskip(NEXT) | instid1(TRANS32_DEP_1)
	v_fma_f32 v36, -v18, v22, 1.0
	v_fma_f32 v37, -v19, v35, 1.0
	s_delay_alu instid0(VALU_DEP_1) | instskip(SKIP_1) | instid1(VALU_DEP_1)
	v_dual_fmac_f32 v22, v36, v22 :: v_dual_fmac_f32 v35, v37, v35
	v_div_scale_f32 v36, s1, v21, v23, v21
	v_dual_mul_f32 v37, v38, v22 :: v_dual_mul_f32 v39, v36, v35
	s_delay_alu instid0(VALU_DEP_1) | instskip(NEXT) | instid1(VALU_DEP_1)
	v_dual_fma_f32 v40, -v18, v37, v38 :: v_dual_fma_f32 v41, -v19, v39, v36
	v_dual_fmac_f32 v37, v40, v22 :: v_dual_fmac_f32 v39, v41, v35
	s_delay_alu instid0(VALU_DEP_1) | instskip(NEXT) | instid1(VALU_DEP_1)
	v_dual_fma_f32 v18, -v18, v37, v38 :: v_dual_fma_f32 v19, -v19, v39, v36
	v_div_fmas_f32 v18, v18, v22, v37
	s_mov_b32 vcc_lo, s1
	s_delay_alu instid0(VALU_DEP_2) | instskip(NEXT) | instid1(VALU_DEP_2)
	v_div_fmas_f32 v19, v19, v35, v39
	v_div_fixup_f32 v18, v18, v34, v20
	s_delay_alu instid0(VALU_DEP_2)
	v_div_fixup_f32 v22, v19, v23, v21
.LBB129_140:                            ;   in Loop: Header=BB129_114 Depth=1
	s_or_b32 exec_lo, exec_lo, s19
.LBB129_141:                            ;   in Loop: Header=BB129_114 Depth=1
	s_and_not1_saveexec_b32 s1, s18
	s_cbranch_execz .LBB129_143
; %bb.142:                              ;   in Loop: Header=BB129_114 Depth=1
	s_wait_loadcnt 0x0
	v_div_scale_f32 v18, null, v25, v25, v24
	v_div_scale_f32 v35, vcc_lo, v24, v25, v24
	s_delay_alu instid0(VALU_DEP_2) | instskip(SKIP_1) | instid1(TRANS32_DEP_1)
	v_rcp_f32_e32 v19, v18
	v_nop
	v_fma_f32 v22, -v18, v19, 1.0
	s_delay_alu instid0(VALU_DEP_1) | instskip(NEXT) | instid1(VALU_DEP_1)
	v_fmac_f32_e32 v19, v22, v19
	v_mul_f32_e32 v22, v35, v19
	s_delay_alu instid0(VALU_DEP_1) | instskip(NEXT) | instid1(VALU_DEP_1)
	v_fma_f32 v36, -v18, v22, v35
	v_fmac_f32_e32 v22, v36, v19
	s_delay_alu instid0(VALU_DEP_1) | instskip(NEXT) | instid1(VALU_DEP_1)
	v_fma_f32 v18, -v18, v22, v35
	v_div_fmas_f32 v18, v18, v19, v22
	s_delay_alu instid0(VALU_DEP_1) | instskip(NEXT) | instid1(VALU_DEP_1)
	v_div_fixup_f32 v18, v18, v25, v24
	v_fma_f32 v19, v24, v18, v25
	s_delay_alu instid0(VALU_DEP_1) | instskip(SKIP_1) | instid1(VALU_DEP_2)
	v_div_scale_f32 v22, null, v19, v19, 1.0
	v_div_scale_f32 v37, vcc_lo, 1.0, v19, 1.0
	v_rcp_f32_e32 v35, v22
	v_nop
	s_delay_alu instid0(TRANS32_DEP_1) | instskip(NEXT) | instid1(VALU_DEP_1)
	v_fma_f32 v36, -v22, v35, 1.0
	v_fmac_f32_e32 v35, v36, v35
	s_delay_alu instid0(VALU_DEP_1) | instskip(NEXT) | instid1(VALU_DEP_1)
	v_mul_f32_e32 v36, v37, v35
	v_fma_f32 v38, -v22, v36, v37
	s_delay_alu instid0(VALU_DEP_1) | instskip(NEXT) | instid1(VALU_DEP_1)
	v_fmac_f32_e32 v36, v38, v35
	v_fma_f32 v22, -v22, v36, v37
	s_delay_alu instid0(VALU_DEP_1) | instskip(SKIP_1) | instid1(VALU_DEP_2)
	v_div_fmas_f32 v22, v22, v35, v36
	v_fma_f32 v35, v20, v18, v21
	v_div_fixup_f32 v19, v22, v19, 1.0
	s_delay_alu instid0(VALU_DEP_1) | instskip(NEXT) | instid1(VALU_DEP_1)
	v_dual_fma_f32 v22, v21, v18, -v20 :: v_dual_mul_f32 v18, v35, v19
	v_mul_f32_e32 v22, v22, v19
.LBB129_143:                            ;   in Loop: Header=BB129_114 Depth=1
	s_or_b32 exec_lo, exec_lo, s1
	v_mov_b64_e32 v[36:37], s[4:5]
	v_mov_b64_e32 v[38:39], s[8:9]
	s_mov_b32 s1, 0
	s_delay_alu instid0(VALU_DEP_2) | instskip(SKIP_1) | instid1(VALU_DEP_2)
	v_pk_mul_f32 v[36:37], v[22:23], v[36:37] op_sel_hi:[0,1]
	s_wait_loadcnt 0x0
	v_pk_mul_f32 v[40:41], v[18:19], v[38:39] op_sel_hi:[0,1]
	s_delay_alu instid0(VALU_DEP_2) | instskip(NEXT) | instid1(VALU_DEP_2)
	v_pk_fma_f32 v[18:19], v[18:19], v[38:39], v[36:37] op_sel_hi:[0,1,1]
	v_sub_f32_e32 v18, v40, v36
.LBB129_144:                            ;   in Loop: Header=BB129_114 Depth=1
	s_and_b32 vcc_lo, exec_lo, s1
	s_cbranch_vccz .LBB129_154
; %bb.145:                              ;   in Loop: Header=BB129_114 Depth=1
                                        ; implicit-def: $vgpr19
	s_and_saveexec_b32 s1, s0
	s_delay_alu instid0(SALU_CYCLE_1)
	s_xor_b32 s1, exec_lo, s1
	s_cbranch_execz .LBB129_151
; %bb.146:                              ;   in Loop: Header=BB129_114 Depth=1
	v_cmp_neq_f32_e32 vcc_lo, 0, v24
	v_cmp_neq_f32_e64 s0, 0, v25
                                        ; implicit-def: $vgpr19
	s_or_b32 s0, vcc_lo, s0
	s_delay_alu instid0(SALU_CYCLE_1) | instskip(NEXT) | instid1(SALU_CYCLE_1)
	s_and_saveexec_b32 s18, s0
	s_xor_b32 s0, exec_lo, s18
	s_cbranch_execz .LBB129_148
; %bb.147:                              ;   in Loop: Header=BB129_114 Depth=1
	s_wait_loadcnt 0x0
	v_div_scale_f32 v18, null, v24, v24, v25
	v_div_scale_f32 v23, vcc_lo, v25, v24, v25
	s_delay_alu instid0(VALU_DEP_2) | instskip(SKIP_1) | instid1(TRANS32_DEP_1)
	v_rcp_f32_e32 v19, v18
	v_nop
	v_fma_f32 v22, -v18, v19, 1.0
	s_delay_alu instid0(VALU_DEP_1) | instskip(NEXT) | instid1(VALU_DEP_1)
	v_fmac_f32_e32 v19, v22, v19
	v_mul_f32_e32 v22, v23, v19
	s_delay_alu instid0(VALU_DEP_1) | instskip(NEXT) | instid1(VALU_DEP_1)
	v_fma_f32 v34, -v18, v22, v23
	v_fmac_f32_e32 v22, v34, v19
	s_delay_alu instid0(VALU_DEP_1) | instskip(NEXT) | instid1(VALU_DEP_1)
	v_fma_f32 v18, -v18, v22, v23
	v_div_fmas_f32 v18, v18, v19, v22
	s_delay_alu instid0(VALU_DEP_1) | instskip(NEXT) | instid1(VALU_DEP_1)
	v_div_fixup_f32 v18, v18, v24, v25
	v_fmac_f32_e32 v24, v25, v18
	s_delay_alu instid0(VALU_DEP_1) | instskip(SKIP_1) | instid1(VALU_DEP_2)
	v_div_scale_f32 v19, null, v24, v24, 1.0
	v_div_scale_f32 v25, vcc_lo, 1.0, v24, 1.0
	v_rcp_f32_e32 v22, v19
	v_nop
	s_delay_alu instid0(TRANS32_DEP_1) | instskip(NEXT) | instid1(VALU_DEP_1)
	v_fma_f32 v23, -v19, v22, 1.0
	v_fmac_f32_e32 v22, v23, v22
	s_delay_alu instid0(VALU_DEP_1) | instskip(NEXT) | instid1(VALU_DEP_1)
	v_mul_f32_e32 v23, v25, v22
	v_fma_f32 v34, -v19, v23, v25
	s_delay_alu instid0(VALU_DEP_1) | instskip(NEXT) | instid1(VALU_DEP_1)
	v_fmac_f32_e32 v23, v34, v22
                                        ; implicit-def: $vgpr34
	v_fma_f32 v19, -v19, v23, v25
	s_delay_alu instid0(VALU_DEP_1) | instskip(SKIP_2) | instid1(VALU_DEP_3)
	v_div_fmas_f32 v25, v19, v22, v23
	v_pk_fma_f32 v[22:23], v[20:21], v[18:19], v[20:21] op_sel:[1,0,0] op_sel_hi:[0,0,1] neg_lo:[1,0,0] neg_hi:[1,0,0]
	v_pk_fma_f32 v[18:19], v[20:21], v[18:19], v[20:21] op_sel:[1,0,0] op_sel_hi:[0,0,1]
	v_div_fixup_f32 v20, v25, v24, 1.0
	s_delay_alu instid0(VALU_DEP_3) | instskip(NEXT) | instid1(VALU_DEP_1)
	v_mov_b32_e32 v19, v23
                                        ; implicit-def: $vgpr23
	v_pk_mul_f32 v[18:19], v[18:19], v[20:21] op_sel_hi:[1,0]
                                        ; implicit-def: $vgpr20_vgpr21
.LBB129_148:                            ;   in Loop: Header=BB129_114 Depth=1
	s_and_not1_saveexec_b32 s18, s0
	s_cbranch_execz .LBB129_150
; %bb.149:                              ;   in Loop: Header=BB129_114 Depth=1
	s_wait_loadcnt 0x0
	v_div_scale_f32 v18, null, v34, v34, v20
	v_div_scale_f32 v19, null, v23, v23, v21
	v_div_scale_f32 v36, vcc_lo, v20, v34, v20
	s_delay_alu instid0(VALU_DEP_3) | instskip(NEXT) | instid1(VALU_DEP_2)
	v_rcp_f32_e32 v22, v18
	v_rcp_f32_e32 v24, v19
	s_delay_alu instid0(TRANS32_DEP_2) | instskip(NEXT) | instid1(TRANS32_DEP_1)
	v_fma_f32 v25, -v18, v22, 1.0
	v_fma_f32 v35, -v19, v24, 1.0
	s_delay_alu instid0(VALU_DEP_1) | instskip(SKIP_1) | instid1(VALU_DEP_1)
	v_dual_fmac_f32 v22, v25, v22 :: v_dual_fmac_f32 v24, v35, v24
	v_div_scale_f32 v25, s0, v21, v23, v21
	v_dual_mul_f32 v35, v36, v22 :: v_dual_mul_f32 v37, v25, v24
	s_delay_alu instid0(VALU_DEP_1) | instskip(NEXT) | instid1(VALU_DEP_1)
	v_dual_fma_f32 v38, -v18, v35, v36 :: v_dual_fma_f32 v39, -v19, v37, v25
	v_dual_fmac_f32 v35, v38, v22 :: v_dual_fmac_f32 v37, v39, v24
	s_delay_alu instid0(VALU_DEP_1) | instskip(NEXT) | instid1(VALU_DEP_1)
	v_dual_fma_f32 v18, -v18, v35, v36 :: v_dual_fma_f32 v19, -v19, v37, v25
	v_div_fmas_f32 v18, v18, v22, v35
	s_mov_b32 vcc_lo, s0
	s_delay_alu instid0(VALU_DEP_2) | instskip(NEXT) | instid1(VALU_DEP_2)
	v_div_fmas_f32 v19, v19, v24, v37
	v_div_fixup_f32 v18, v18, v34, v20
	s_delay_alu instid0(VALU_DEP_2)
	v_div_fixup_f32 v19, v19, v23, v21
.LBB129_150:                            ;   in Loop: Header=BB129_114 Depth=1
	s_or_b32 exec_lo, exec_lo, s18
                                        ; implicit-def: $vgpr22_vgpr23_vgpr24_vgpr25
                                        ; implicit-def: $vgpr20_vgpr21
.LBB129_151:                            ;   in Loop: Header=BB129_114 Depth=1
	s_and_not1_saveexec_b32 s0, s1
	s_cbranch_execz .LBB129_153
; %bb.152:                              ;   in Loop: Header=BB129_114 Depth=1
	s_wait_loadcnt 0x0
	v_div_scale_f32 v18, null, v25, v25, v24
	v_div_scale_f32 v23, vcc_lo, v24, v25, v24
	s_delay_alu instid0(VALU_DEP_2) | instskip(SKIP_1) | instid1(TRANS32_DEP_1)
	v_rcp_f32_e32 v19, v18
	v_nop
	v_fma_f32 v22, -v18, v19, 1.0
	s_delay_alu instid0(VALU_DEP_1) | instskip(NEXT) | instid1(VALU_DEP_1)
	v_fmac_f32_e32 v19, v22, v19
	v_mul_f32_e32 v22, v23, v19
	s_delay_alu instid0(VALU_DEP_1) | instskip(NEXT) | instid1(VALU_DEP_1)
	v_fma_f32 v34, -v18, v22, v23
	v_fmac_f32_e32 v22, v34, v19
	s_delay_alu instid0(VALU_DEP_1) | instskip(NEXT) | instid1(VALU_DEP_1)
	v_fma_f32 v18, -v18, v22, v23
	v_div_fmas_f32 v18, v18, v19, v22
	s_delay_alu instid0(VALU_DEP_1) | instskip(NEXT) | instid1(VALU_DEP_1)
	v_div_fixup_f32 v18, v18, v25, v24
	v_fmac_f32_e32 v25, v24, v18
	s_delay_alu instid0(VALU_DEP_1) | instskip(SKIP_1) | instid1(VALU_DEP_2)
	v_div_scale_f32 v19, null, v25, v25, 1.0
	v_div_scale_f32 v24, vcc_lo, 1.0, v25, 1.0
	v_rcp_f32_e32 v22, v19
	v_nop
	s_delay_alu instid0(TRANS32_DEP_1) | instskip(NEXT) | instid1(VALU_DEP_1)
	v_fma_f32 v23, -v19, v22, 1.0
	v_fmac_f32_e32 v22, v23, v22
	s_delay_alu instid0(VALU_DEP_1) | instskip(NEXT) | instid1(VALU_DEP_1)
	v_mul_f32_e32 v23, v24, v22
	v_fma_f32 v34, -v19, v23, v24
	s_delay_alu instid0(VALU_DEP_1) | instskip(NEXT) | instid1(VALU_DEP_1)
	v_fmac_f32_e32 v23, v34, v22
	v_fma_f32 v19, -v19, v23, v24
	s_delay_alu instid0(VALU_DEP_1) | instskip(SKIP_2) | instid1(VALU_DEP_3)
	v_div_fmas_f32 v24, v19, v22, v23
	v_pk_fma_f32 v[22:23], v[20:21], v[18:19], v[20:21] op_sel:[0,0,1] op_sel_hi:[1,0,0] neg_lo:[0,0,1] neg_hi:[0,0,1]
	v_pk_fma_f32 v[18:19], v[20:21], v[18:19], v[20:21] op_sel:[0,0,1] op_sel_hi:[1,0,0]
	v_div_fixup_f32 v20, v24, v25, 1.0
	s_delay_alu instid0(VALU_DEP_3) | instskip(NEXT) | instid1(VALU_DEP_1)
	v_mov_b32_e32 v19, v23
	v_pk_mul_f32 v[18:19], v[18:19], v[20:21] op_sel_hi:[1,0]
.LBB129_153:                            ;   in Loop: Header=BB129_114 Depth=1
	s_or_b32 exec_lo, exec_lo, s0
.LBB129_154:                            ;   in Loop: Header=BB129_114 Depth=1
	s_wait_loadcnt 0x4
	v_cmp_gt_f32_e32 vcc_lo, 0, v15
	s_mov_b32 s1, -1
                                        ; implicit-def: $vgpr21
	v_cndmask_b32_e64 v23, v15, -v15, vcc_lo
	v_cmp_gt_f32_e32 vcc_lo, 0, v14
	v_cndmask_b32_e64 v24, v14, -v14, vcc_lo
	s_and_not1_b32 vcc_lo, exec_lo, s16
	s_delay_alu instid0(VALU_DEP_1)
	v_cmp_ge_f32_e64 s0, v24, v23
	s_cbranch_vccnz .LBB129_164
; %bb.155:                              ;   in Loop: Header=BB129_114 Depth=1
                                        ; implicit-def: $vgpr22
                                        ; implicit-def: $vgpr20
	s_and_saveexec_b32 s1, s0
	s_delay_alu instid0(SALU_CYCLE_1)
	s_xor_b32 s18, exec_lo, s1
	s_cbranch_execz .LBB129_161
; %bb.156:                              ;   in Loop: Header=BB129_114 Depth=1
	v_cmp_neq_f32_e32 vcc_lo, 0, v14
	v_cmp_neq_f32_e64 s1, 0, v15
                                        ; implicit-def: $vgpr22
                                        ; implicit-def: $vgpr20
	s_or_b32 s1, vcc_lo, s1
	s_delay_alu instid0(SALU_CYCLE_1) | instskip(NEXT) | instid1(SALU_CYCLE_1)
	s_and_saveexec_b32 s19, s1
	s_xor_b32 s1, exec_lo, s19
	s_cbranch_execz .LBB129_158
; %bb.157:                              ;   in Loop: Header=BB129_114 Depth=1
	s_wait_loadcnt 0x0
	v_div_scale_f32 v20, null, v14, v14, v15
	v_div_scale_f32 v25, vcc_lo, v15, v14, v15
	s_delay_alu instid0(VALU_DEP_2) | instskip(SKIP_1) | instid1(TRANS32_DEP_1)
	v_rcp_f32_e32 v21, v20
	v_nop
	v_fma_f32 v22, -v20, v21, 1.0
	s_delay_alu instid0(VALU_DEP_1) | instskip(NEXT) | instid1(VALU_DEP_1)
	v_fmac_f32_e32 v21, v22, v21
	v_mul_f32_e32 v22, v25, v21
	s_delay_alu instid0(VALU_DEP_1) | instskip(NEXT) | instid1(VALU_DEP_1)
	v_fma_f32 v34, -v20, v22, v25
	v_fmac_f32_e32 v22, v34, v21
	s_delay_alu instid0(VALU_DEP_1) | instskip(NEXT) | instid1(VALU_DEP_1)
	v_fma_f32 v20, -v20, v22, v25
	v_div_fmas_f32 v20, v20, v21, v22
	s_delay_alu instid0(VALU_DEP_1) | instskip(NEXT) | instid1(VALU_DEP_1)
	v_div_fixup_f32 v20, v20, v14, v15
	v_fma_f32 v21, v15, v20, v14
	s_delay_alu instid0(VALU_DEP_1) | instskip(SKIP_1) | instid1(VALU_DEP_2)
	v_div_scale_f32 v22, null, v21, v21, 1.0
	v_div_scale_f32 v35, vcc_lo, 1.0, v21, 1.0
	v_rcp_f32_e32 v25, v22
	v_nop
	s_delay_alu instid0(TRANS32_DEP_1) | instskip(NEXT) | instid1(VALU_DEP_1)
	v_fma_f32 v34, -v22, v25, 1.0
	v_fmac_f32_e32 v25, v34, v25
	s_delay_alu instid0(VALU_DEP_1) | instskip(NEXT) | instid1(VALU_DEP_1)
	v_mul_f32_e32 v34, v35, v25
	v_fma_f32 v36, -v22, v34, v35
	s_delay_alu instid0(VALU_DEP_1) | instskip(NEXT) | instid1(VALU_DEP_1)
	v_fmac_f32_e32 v34, v36, v25
	v_fma_f32 v22, -v22, v34, v35
	s_delay_alu instid0(VALU_DEP_1) | instskip(SKIP_1) | instid1(VALU_DEP_2)
	v_div_fmas_f32 v22, v22, v25, v34
	v_fma_f32 v25, v11, v20, v10
	v_div_fixup_f32 v21, v22, v21, 1.0
	s_delay_alu instid0(VALU_DEP_1) | instskip(NEXT) | instid1(VALU_DEP_1)
	v_dual_fma_f32 v22, -v10, v20, v11 :: v_dual_mul_f32 v20, v25, v21
	v_mul_f32_e32 v22, v22, v21
.LBB129_158:                            ;   in Loop: Header=BB129_114 Depth=1
	s_and_not1_saveexec_b32 s19, s1
	s_cbranch_execz .LBB129_160
; %bb.159:                              ;   in Loop: Header=BB129_114 Depth=1
	s_wait_loadcnt 0x0
	v_div_scale_f32 v20, null, v24, v24, v10
	v_div_scale_f32 v21, null, v23, v23, v11
	v_div_scale_f32 v36, vcc_lo, v10, v24, v10
	s_delay_alu instid0(VALU_DEP_3) | instskip(NEXT) | instid1(VALU_DEP_2)
	v_rcp_f32_e32 v22, v20
	v_rcp_f32_e32 v25, v21
	s_delay_alu instid0(TRANS32_DEP_2) | instskip(NEXT) | instid1(TRANS32_DEP_1)
	v_fma_f32 v34, -v20, v22, 1.0
	v_fma_f32 v35, -v21, v25, 1.0
	s_delay_alu instid0(VALU_DEP_1) | instskip(SKIP_1) | instid1(VALU_DEP_1)
	v_dual_fmac_f32 v22, v34, v22 :: v_dual_fmac_f32 v25, v35, v25
	v_div_scale_f32 v34, s1, v11, v23, v11
	v_dual_mul_f32 v35, v36, v22 :: v_dual_mul_f32 v37, v34, v25
	s_delay_alu instid0(VALU_DEP_1) | instskip(NEXT) | instid1(VALU_DEP_1)
	v_dual_fma_f32 v38, -v20, v35, v36 :: v_dual_fma_f32 v39, -v21, v37, v34
	v_dual_fmac_f32 v35, v38, v22 :: v_dual_fmac_f32 v37, v39, v25
	s_delay_alu instid0(VALU_DEP_1) | instskip(NEXT) | instid1(VALU_DEP_1)
	v_dual_fma_f32 v20, -v20, v35, v36 :: v_dual_fma_f32 v21, -v21, v37, v34
	v_div_fmas_f32 v20, v20, v22, v35
	s_mov_b32 vcc_lo, s1
	s_delay_alu instid0(VALU_DEP_2) | instskip(NEXT) | instid1(VALU_DEP_2)
	v_div_fmas_f32 v21, v21, v25, v37
	v_div_fixup_f32 v20, v20, v24, v10
	s_delay_alu instid0(VALU_DEP_2)
	v_div_fixup_f32 v22, v21, v23, v11
.LBB129_160:                            ;   in Loop: Header=BB129_114 Depth=1
	s_or_b32 exec_lo, exec_lo, s19
.LBB129_161:                            ;   in Loop: Header=BB129_114 Depth=1
	s_and_not1_saveexec_b32 s1, s18
	s_cbranch_execz .LBB129_163
; %bb.162:                              ;   in Loop: Header=BB129_114 Depth=1
	s_wait_loadcnt 0x0
	v_div_scale_f32 v20, null, v15, v15, v14
	v_div_scale_f32 v25, vcc_lo, v14, v15, v14
	s_delay_alu instid0(VALU_DEP_2) | instskip(SKIP_1) | instid1(TRANS32_DEP_1)
	v_rcp_f32_e32 v21, v20
	v_nop
	v_fma_f32 v22, -v20, v21, 1.0
	s_delay_alu instid0(VALU_DEP_1) | instskip(NEXT) | instid1(VALU_DEP_1)
	v_fmac_f32_e32 v21, v22, v21
	v_mul_f32_e32 v22, v25, v21
	s_delay_alu instid0(VALU_DEP_1) | instskip(NEXT) | instid1(VALU_DEP_1)
	v_fma_f32 v34, -v20, v22, v25
	v_fmac_f32_e32 v22, v34, v21
	s_delay_alu instid0(VALU_DEP_1) | instskip(NEXT) | instid1(VALU_DEP_1)
	v_fma_f32 v20, -v20, v22, v25
	v_div_fmas_f32 v20, v20, v21, v22
	s_delay_alu instid0(VALU_DEP_1) | instskip(NEXT) | instid1(VALU_DEP_1)
	v_div_fixup_f32 v20, v20, v15, v14
	v_fma_f32 v21, v14, v20, v15
	s_delay_alu instid0(VALU_DEP_1) | instskip(SKIP_1) | instid1(VALU_DEP_2)
	v_div_scale_f32 v22, null, v21, v21, 1.0
	v_div_scale_f32 v35, vcc_lo, 1.0, v21, 1.0
	v_rcp_f32_e32 v25, v22
	v_nop
	s_delay_alu instid0(TRANS32_DEP_1) | instskip(NEXT) | instid1(VALU_DEP_1)
	v_fma_f32 v34, -v22, v25, 1.0
	v_fmac_f32_e32 v25, v34, v25
	s_delay_alu instid0(VALU_DEP_1) | instskip(NEXT) | instid1(VALU_DEP_1)
	v_mul_f32_e32 v34, v35, v25
	v_fma_f32 v36, -v22, v34, v35
	s_delay_alu instid0(VALU_DEP_1) | instskip(NEXT) | instid1(VALU_DEP_1)
	v_fmac_f32_e32 v34, v36, v25
	v_fma_f32 v22, -v22, v34, v35
	s_delay_alu instid0(VALU_DEP_1) | instskip(SKIP_1) | instid1(VALU_DEP_2)
	v_div_fmas_f32 v22, v22, v25, v34
	v_fma_f32 v25, v10, v20, v11
	v_div_fixup_f32 v21, v22, v21, 1.0
	s_delay_alu instid0(VALU_DEP_1) | instskip(NEXT) | instid1(VALU_DEP_1)
	v_dual_fma_f32 v22, v11, v20, -v10 :: v_dual_mul_f32 v20, v25, v21
	v_mul_f32_e32 v22, v22, v21
.LBB129_163:                            ;   in Loop: Header=BB129_114 Depth=1
	s_or_b32 exec_lo, exec_lo, s1
	v_mov_b64_e32 v[34:35], s[4:5]
	v_mov_b64_e32 v[36:37], s[8:9]
	s_mov_b32 s1, 0
	s_delay_alu instid0(VALU_DEP_2) | instskip(SKIP_1) | instid1(VALU_DEP_2)
	v_pk_mul_f32 v[34:35], v[22:23], v[34:35] op_sel_hi:[0,1]
	s_wait_loadcnt 0x0
	v_pk_mul_f32 v[38:39], v[20:21], v[36:37] op_sel_hi:[0,1]
	s_delay_alu instid0(VALU_DEP_2) | instskip(NEXT) | instid1(VALU_DEP_2)
	v_pk_fma_f32 v[20:21], v[20:21], v[36:37], v[34:35] op_sel_hi:[0,1,1]
	v_sub_f32_e32 v20, v38, v34
.LBB129_164:                            ;   in Loop: Header=BB129_114 Depth=1
	s_and_b32 vcc_lo, exec_lo, s1
	s_cbranch_vccz .LBB129_174
; %bb.165:                              ;   in Loop: Header=BB129_114 Depth=1
                                        ; implicit-def: $vgpr21
	s_and_saveexec_b32 s1, s0
	s_delay_alu instid0(SALU_CYCLE_1)
	s_xor_b32 s1, exec_lo, s1
	s_cbranch_execz .LBB129_171
; %bb.166:                              ;   in Loop: Header=BB129_114 Depth=1
	v_cmp_neq_f32_e32 vcc_lo, 0, v14
	v_cmp_neq_f32_e64 s0, 0, v15
                                        ; implicit-def: $vgpr21
	s_or_b32 s0, vcc_lo, s0
	s_delay_alu instid0(SALU_CYCLE_1) | instskip(NEXT) | instid1(SALU_CYCLE_1)
	s_and_saveexec_b32 s18, s0
	s_xor_b32 s0, exec_lo, s18
	s_cbranch_execz .LBB129_168
; %bb.167:                              ;   in Loop: Header=BB129_114 Depth=1
	s_wait_loadcnt 0x0
	v_div_scale_f32 v20, null, v14, v14, v15
	v_div_scale_f32 v23, vcc_lo, v15, v14, v15
	s_delay_alu instid0(VALU_DEP_2) | instskip(SKIP_1) | instid1(TRANS32_DEP_1)
	v_rcp_f32_e32 v21, v20
	v_nop
	v_fma_f32 v22, -v20, v21, 1.0
	s_delay_alu instid0(VALU_DEP_1) | instskip(NEXT) | instid1(VALU_DEP_1)
	v_fmac_f32_e32 v21, v22, v21
	v_mul_f32_e32 v22, v23, v21
	s_delay_alu instid0(VALU_DEP_1) | instskip(NEXT) | instid1(VALU_DEP_1)
	v_fma_f32 v24, -v20, v22, v23
	v_fmac_f32_e32 v22, v24, v21
	s_delay_alu instid0(VALU_DEP_1) | instskip(NEXT) | instid1(VALU_DEP_1)
	v_fma_f32 v20, -v20, v22, v23
	v_div_fmas_f32 v20, v20, v21, v22
	s_delay_alu instid0(VALU_DEP_1) | instskip(NEXT) | instid1(VALU_DEP_1)
	v_div_fixup_f32 v20, v20, v14, v15
	v_fma_f32 v24, v15, v20, v14
	s_delay_alu instid0(VALU_DEP_1) | instskip(SKIP_1) | instid1(VALU_DEP_2)
	v_div_scale_f32 v21, null, v24, v24, 1.0
	v_div_scale_f32 v25, vcc_lo, 1.0, v24, 1.0
	v_rcp_f32_e32 v22, v21
	v_nop
	s_delay_alu instid0(TRANS32_DEP_1) | instskip(NEXT) | instid1(VALU_DEP_1)
	v_fma_f32 v23, -v21, v22, 1.0
	v_fmac_f32_e32 v22, v23, v22
	s_delay_alu instid0(VALU_DEP_1) | instskip(NEXT) | instid1(VALU_DEP_1)
	v_mul_f32_e32 v23, v25, v22
	v_fma_f32 v34, -v21, v23, v25
	s_delay_alu instid0(VALU_DEP_1) | instskip(NEXT) | instid1(VALU_DEP_1)
	v_fmac_f32_e32 v23, v34, v22
	v_fma_f32 v21, -v21, v23, v25
	s_delay_alu instid0(VALU_DEP_1) | instskip(SKIP_2) | instid1(VALU_DEP_3)
	v_div_fmas_f32 v25, v21, v22, v23
	v_pk_fma_f32 v[22:23], v[10:11], v[20:21], v[10:11] op_sel:[1,0,0] op_sel_hi:[0,0,1] neg_lo:[1,0,0] neg_hi:[1,0,0]
	v_pk_fma_f32 v[20:21], v[10:11], v[20:21], v[10:11] op_sel:[1,0,0] op_sel_hi:[0,0,1]
	v_div_fixup_f32 v22, v25, v24, 1.0
	s_delay_alu instid0(VALU_DEP_3) | instskip(NEXT) | instid1(VALU_DEP_1)
	v_mov_b32_e32 v21, v23
                                        ; implicit-def: $vgpr24
	v_pk_mul_f32 v[20:21], v[20:21], v[22:23] op_sel_hi:[1,0]
                                        ; implicit-def: $vgpr23
.LBB129_168:                            ;   in Loop: Header=BB129_114 Depth=1
	s_and_not1_saveexec_b32 s18, s0
	s_cbranch_execz .LBB129_170
; %bb.169:                              ;   in Loop: Header=BB129_114 Depth=1
	s_wait_loadcnt 0x0
	v_div_scale_f32 v20, null, v24, v24, v10
	v_div_scale_f32 v21, null, v23, v23, v11
	v_div_scale_f32 v36, vcc_lo, v10, v24, v10
	s_delay_alu instid0(VALU_DEP_3) | instskip(NEXT) | instid1(VALU_DEP_2)
	v_rcp_f32_e32 v22, v20
	v_rcp_f32_e32 v25, v21
	s_delay_alu instid0(TRANS32_DEP_2) | instskip(NEXT) | instid1(TRANS32_DEP_1)
	v_fma_f32 v34, -v20, v22, 1.0
	v_fma_f32 v35, -v21, v25, 1.0
	s_delay_alu instid0(VALU_DEP_1) | instskip(SKIP_1) | instid1(VALU_DEP_1)
	v_dual_fmac_f32 v22, v34, v22 :: v_dual_fmac_f32 v25, v35, v25
	v_div_scale_f32 v34, s0, v11, v23, v11
	v_dual_mul_f32 v35, v36, v22 :: v_dual_mul_f32 v37, v34, v25
	s_delay_alu instid0(VALU_DEP_1) | instskip(NEXT) | instid1(VALU_DEP_1)
	v_dual_fma_f32 v38, -v20, v35, v36 :: v_dual_fma_f32 v39, -v21, v37, v34
	v_dual_fmac_f32 v35, v38, v22 :: v_dual_fmac_f32 v37, v39, v25
	s_delay_alu instid0(VALU_DEP_1) | instskip(NEXT) | instid1(VALU_DEP_1)
	v_dual_fma_f32 v20, -v20, v35, v36 :: v_dual_fma_f32 v21, -v21, v37, v34
	v_div_fmas_f32 v20, v20, v22, v35
	s_mov_b32 vcc_lo, s0
	s_delay_alu instid0(VALU_DEP_2) | instskip(NEXT) | instid1(VALU_DEP_2)
	v_div_fmas_f32 v21, v21, v25, v37
	v_div_fixup_f32 v20, v20, v24, v10
	s_delay_alu instid0(VALU_DEP_2)
	v_div_fixup_f32 v21, v21, v23, v11
.LBB129_170:                            ;   in Loop: Header=BB129_114 Depth=1
	s_or_b32 exec_lo, exec_lo, s18
.LBB129_171:                            ;   in Loop: Header=BB129_114 Depth=1
	s_and_not1_saveexec_b32 s0, s1
	s_cbranch_execz .LBB129_173
; %bb.172:                              ;   in Loop: Header=BB129_114 Depth=1
	s_wait_loadcnt 0x0
	v_div_scale_f32 v20, null, v15, v15, v14
	v_div_scale_f32 v23, vcc_lo, v14, v15, v14
	s_delay_alu instid0(VALU_DEP_2) | instskip(SKIP_1) | instid1(TRANS32_DEP_1)
	v_rcp_f32_e32 v21, v20
	v_nop
	v_fma_f32 v22, -v20, v21, 1.0
	s_delay_alu instid0(VALU_DEP_1) | instskip(NEXT) | instid1(VALU_DEP_1)
	v_fmac_f32_e32 v21, v22, v21
	v_mul_f32_e32 v22, v23, v21
	s_delay_alu instid0(VALU_DEP_1) | instskip(NEXT) | instid1(VALU_DEP_1)
	v_fma_f32 v24, -v20, v22, v23
	v_fmac_f32_e32 v22, v24, v21
	s_delay_alu instid0(VALU_DEP_1) | instskip(NEXT) | instid1(VALU_DEP_1)
	v_fma_f32 v20, -v20, v22, v23
	v_div_fmas_f32 v20, v20, v21, v22
	s_delay_alu instid0(VALU_DEP_1) | instskip(NEXT) | instid1(VALU_DEP_1)
	v_div_fixup_f32 v20, v20, v15, v14
	v_fma_f32 v21, v14, v20, v15
	s_delay_alu instid0(VALU_DEP_1) | instskip(SKIP_1) | instid1(VALU_DEP_2)
	v_div_scale_f32 v14, null, v21, v21, 1.0
	v_div_scale_f32 v23, vcc_lo, 1.0, v21, 1.0
	v_rcp_f32_e32 v15, v14
	v_nop
	s_delay_alu instid0(TRANS32_DEP_1) | instskip(NEXT) | instid1(VALU_DEP_1)
	v_fma_f32 v22, -v14, v15, 1.0
	v_fmac_f32_e32 v15, v22, v15
	s_delay_alu instid0(VALU_DEP_1) | instskip(NEXT) | instid1(VALU_DEP_1)
	v_mul_f32_e32 v22, v23, v15
	v_fma_f32 v24, -v14, v22, v23
	s_delay_alu instid0(VALU_DEP_1) | instskip(NEXT) | instid1(VALU_DEP_1)
	v_fmac_f32_e32 v22, v24, v15
	v_fma_f32 v14, -v14, v22, v23
	s_delay_alu instid0(VALU_DEP_1) | instskip(SKIP_2) | instid1(VALU_DEP_3)
	v_div_fmas_f32 v22, v14, v15, v22
	v_pk_fma_f32 v[14:15], v[10:11], v[20:21], v[10:11] op_sel:[0,0,1] op_sel_hi:[1,0,0] neg_lo:[0,0,1] neg_hi:[0,0,1]
	v_pk_fma_f32 v[10:11], v[10:11], v[20:21], v[10:11] op_sel:[0,0,1] op_sel_hi:[1,0,0]
	v_div_fixup_f32 v14, v22, v21, 1.0
	s_delay_alu instid0(VALU_DEP_3) | instskip(NEXT) | instid1(VALU_DEP_1)
	v_mov_b32_e32 v11, v15
	v_pk_mul_f32 v[20:21], v[10:11], v[14:15] op_sel_hi:[1,0]
.LBB129_173:                            ;   in Loop: Header=BB129_114 Depth=1
	s_or_b32 exec_lo, exec_lo, s0
.LBB129_174:                            ;   in Loop: Header=BB129_114 Depth=1
	v_cmp_gt_f32_e32 vcc_lo, 0, v17
	s_mov_b32 s1, -1
                                        ; implicit-def: $vgpr11
	v_cndmask_b32_e64 v15, v17, -v17, vcc_lo
	v_cmp_gt_f32_e32 vcc_lo, 0, v16
	v_cndmask_b32_e64 v22, v16, -v16, vcc_lo
	s_and_not1_b32 vcc_lo, exec_lo, s16
	s_delay_alu instid0(VALU_DEP_1)
	v_cmp_ge_f32_e64 s0, v22, v15
	s_cbranch_vccnz .LBB129_184
; %bb.175:                              ;   in Loop: Header=BB129_114 Depth=1
                                        ; implicit-def: $vgpr14
                                        ; implicit-def: $vgpr10
	s_and_saveexec_b32 s1, s0
	s_delay_alu instid0(SALU_CYCLE_1)
	s_xor_b32 s18, exec_lo, s1
	s_cbranch_execz .LBB129_181
; %bb.176:                              ;   in Loop: Header=BB129_114 Depth=1
	v_cmp_neq_f32_e32 vcc_lo, 0, v16
	v_cmp_neq_f32_e64 s1, 0, v17
                                        ; implicit-def: $vgpr14
                                        ; implicit-def: $vgpr10
	s_or_b32 s1, vcc_lo, s1
	s_delay_alu instid0(SALU_CYCLE_1) | instskip(NEXT) | instid1(SALU_CYCLE_1)
	s_and_saveexec_b32 s19, s1
	s_xor_b32 s1, exec_lo, s19
	s_cbranch_execz .LBB129_178
; %bb.177:                              ;   in Loop: Header=BB129_114 Depth=1
	s_wait_loadcnt 0x1
	v_div_scale_f32 v10, null, v16, v16, v17
	v_div_scale_f32 v23, vcc_lo, v17, v16, v17
	s_delay_alu instid0(VALU_DEP_2) | instskip(SKIP_1) | instid1(TRANS32_DEP_1)
	v_rcp_f32_e32 v11, v10
	v_nop
	v_fma_f32 v14, -v10, v11, 1.0
	s_delay_alu instid0(VALU_DEP_1) | instskip(NEXT) | instid1(VALU_DEP_1)
	v_fmac_f32_e32 v11, v14, v11
	v_mul_f32_e32 v14, v23, v11
	s_delay_alu instid0(VALU_DEP_1) | instskip(NEXT) | instid1(VALU_DEP_1)
	v_fma_f32 v24, -v10, v14, v23
	v_fmac_f32_e32 v14, v24, v11
	s_delay_alu instid0(VALU_DEP_1) | instskip(NEXT) | instid1(VALU_DEP_1)
	v_fma_f32 v10, -v10, v14, v23
	v_div_fmas_f32 v10, v10, v11, v14
	s_delay_alu instid0(VALU_DEP_1) | instskip(NEXT) | instid1(VALU_DEP_1)
	v_div_fixup_f32 v10, v10, v16, v17
	v_fma_f32 v11, v17, v10, v16
	s_delay_alu instid0(VALU_DEP_1) | instskip(SKIP_1) | instid1(VALU_DEP_2)
	v_div_scale_f32 v14, null, v11, v11, 1.0
	v_div_scale_f32 v25, vcc_lo, 1.0, v11, 1.0
	v_rcp_f32_e32 v23, v14
	v_nop
	s_delay_alu instid0(TRANS32_DEP_1) | instskip(NEXT) | instid1(VALU_DEP_1)
	v_fma_f32 v24, -v14, v23, 1.0
	v_fmac_f32_e32 v23, v24, v23
	s_delay_alu instid0(VALU_DEP_1) | instskip(NEXT) | instid1(VALU_DEP_1)
	v_mul_f32_e32 v24, v25, v23
	v_fma_f32 v34, -v14, v24, v25
	s_delay_alu instid0(VALU_DEP_1) | instskip(NEXT) | instid1(VALU_DEP_1)
	v_fmac_f32_e32 v24, v34, v23
	v_fma_f32 v14, -v14, v24, v25
	s_delay_alu instid0(VALU_DEP_1) | instskip(SKIP_1) | instid1(VALU_DEP_2)
	v_div_fmas_f32 v14, v14, v23, v24
	v_fma_f32 v23, v13, v10, v12
	v_div_fixup_f32 v11, v14, v11, 1.0
	s_delay_alu instid0(VALU_DEP_1) | instskip(NEXT) | instid1(VALU_DEP_1)
	v_dual_fma_f32 v14, -v12, v10, v13 :: v_dual_mul_f32 v10, v23, v11
	v_mul_f32_e32 v14, v14, v11
.LBB129_178:                            ;   in Loop: Header=BB129_114 Depth=1
	s_and_not1_saveexec_b32 s19, s1
	s_cbranch_execz .LBB129_180
; %bb.179:                              ;   in Loop: Header=BB129_114 Depth=1
	s_wait_loadcnt 0x1
	v_div_scale_f32 v10, null, v22, v22, v12
	v_div_scale_f32 v11, null, v15, v15, v13
	v_div_scale_f32 v34, vcc_lo, v12, v22, v12
	s_delay_alu instid0(VALU_DEP_3) | instskip(NEXT) | instid1(VALU_DEP_2)
	v_rcp_f32_e32 v14, v10
	v_rcp_f32_e32 v23, v11
	s_delay_alu instid0(TRANS32_DEP_2) | instskip(NEXT) | instid1(TRANS32_DEP_1)
	v_fma_f32 v24, -v10, v14, 1.0
	v_fma_f32 v25, -v11, v23, 1.0
	s_delay_alu instid0(VALU_DEP_1) | instskip(SKIP_1) | instid1(VALU_DEP_1)
	v_dual_fmac_f32 v14, v24, v14 :: v_dual_fmac_f32 v23, v25, v23
	v_div_scale_f32 v24, s1, v13, v15, v13
	v_dual_mul_f32 v25, v34, v14 :: v_dual_mul_f32 v35, v24, v23
	s_delay_alu instid0(VALU_DEP_1) | instskip(NEXT) | instid1(VALU_DEP_1)
	v_dual_fma_f32 v36, -v10, v25, v34 :: v_dual_fma_f32 v37, -v11, v35, v24
	v_dual_fmac_f32 v25, v36, v14 :: v_dual_fmac_f32 v35, v37, v23
	s_delay_alu instid0(VALU_DEP_1) | instskip(NEXT) | instid1(VALU_DEP_1)
	v_dual_fma_f32 v10, -v10, v25, v34 :: v_dual_fma_f32 v11, -v11, v35, v24
	v_div_fmas_f32 v10, v10, v14, v25
	s_mov_b32 vcc_lo, s1
	s_delay_alu instid0(VALU_DEP_2) | instskip(NEXT) | instid1(VALU_DEP_2)
	v_div_fmas_f32 v11, v11, v23, v35
	v_div_fixup_f32 v10, v10, v22, v12
	s_delay_alu instid0(VALU_DEP_2)
	v_div_fixup_f32 v14, v11, v15, v13
.LBB129_180:                            ;   in Loop: Header=BB129_114 Depth=1
	s_or_b32 exec_lo, exec_lo, s19
.LBB129_181:                            ;   in Loop: Header=BB129_114 Depth=1
	s_and_not1_saveexec_b32 s1, s18
	s_cbranch_execz .LBB129_183
; %bb.182:                              ;   in Loop: Header=BB129_114 Depth=1
	s_wait_loadcnt 0x1
	v_div_scale_f32 v10, null, v17, v17, v16
	v_div_scale_f32 v23, vcc_lo, v16, v17, v16
	s_delay_alu instid0(VALU_DEP_2) | instskip(SKIP_1) | instid1(TRANS32_DEP_1)
	v_rcp_f32_e32 v11, v10
	v_nop
	v_fma_f32 v14, -v10, v11, 1.0
	s_delay_alu instid0(VALU_DEP_1) | instskip(NEXT) | instid1(VALU_DEP_1)
	v_fmac_f32_e32 v11, v14, v11
	v_mul_f32_e32 v14, v23, v11
	s_delay_alu instid0(VALU_DEP_1) | instskip(NEXT) | instid1(VALU_DEP_1)
	v_fma_f32 v24, -v10, v14, v23
	v_fmac_f32_e32 v14, v24, v11
	s_delay_alu instid0(VALU_DEP_1) | instskip(NEXT) | instid1(VALU_DEP_1)
	v_fma_f32 v10, -v10, v14, v23
	v_div_fmas_f32 v10, v10, v11, v14
	s_delay_alu instid0(VALU_DEP_1) | instskip(NEXT) | instid1(VALU_DEP_1)
	v_div_fixup_f32 v10, v10, v17, v16
	v_fma_f32 v11, v16, v10, v17
	s_delay_alu instid0(VALU_DEP_1) | instskip(SKIP_1) | instid1(VALU_DEP_2)
	v_div_scale_f32 v14, null, v11, v11, 1.0
	v_div_scale_f32 v25, vcc_lo, 1.0, v11, 1.0
	v_rcp_f32_e32 v23, v14
	v_nop
	s_delay_alu instid0(TRANS32_DEP_1) | instskip(NEXT) | instid1(VALU_DEP_1)
	v_fma_f32 v24, -v14, v23, 1.0
	v_fmac_f32_e32 v23, v24, v23
	s_delay_alu instid0(VALU_DEP_1) | instskip(NEXT) | instid1(VALU_DEP_1)
	v_mul_f32_e32 v24, v25, v23
	v_fma_f32 v34, -v14, v24, v25
	s_delay_alu instid0(VALU_DEP_1) | instskip(NEXT) | instid1(VALU_DEP_1)
	v_fmac_f32_e32 v24, v34, v23
	v_fma_f32 v14, -v14, v24, v25
	s_delay_alu instid0(VALU_DEP_1) | instskip(SKIP_1) | instid1(VALU_DEP_2)
	v_div_fmas_f32 v14, v14, v23, v24
	v_fma_f32 v23, v12, v10, v13
	v_div_fixup_f32 v11, v14, v11, 1.0
	s_delay_alu instid0(VALU_DEP_1) | instskip(NEXT) | instid1(VALU_DEP_1)
	v_dual_fma_f32 v14, v13, v10, -v12 :: v_dual_mul_f32 v10, v23, v11
	v_mul_f32_e32 v14, v14, v11
.LBB129_183:                            ;   in Loop: Header=BB129_114 Depth=1
	s_or_b32 exec_lo, exec_lo, s1
	v_mov_b64_e32 v[24:25], s[4:5]
	v_mov_b64_e32 v[34:35], s[8:9]
	s_mov_b32 s1, 0
	s_delay_alu instid0(VALU_DEP_2) | instskip(SKIP_1) | instid1(VALU_DEP_2)
	v_pk_mul_f32 v[24:25], v[14:15], v[24:25] op_sel_hi:[0,1]
	s_wait_loadcnt 0x1
	v_pk_mul_f32 v[36:37], v[10:11], v[34:35] op_sel_hi:[0,1]
	s_delay_alu instid0(VALU_DEP_2) | instskip(NEXT) | instid1(VALU_DEP_2)
	v_pk_fma_f32 v[10:11], v[10:11], v[34:35], v[24:25] op_sel_hi:[0,1,1]
	v_sub_f32_e32 v10, v36, v24
.LBB129_184:                            ;   in Loop: Header=BB129_114 Depth=1
	s_and_b32 vcc_lo, exec_lo, s1
	s_cbranch_vccz .LBB129_113
; %bb.185:                              ;   in Loop: Header=BB129_114 Depth=1
                                        ; implicit-def: $vgpr11
	s_and_saveexec_b32 s1, s0
	s_delay_alu instid0(SALU_CYCLE_1)
	s_xor_b32 s1, exec_lo, s1
	s_cbranch_execz .LBB129_191
; %bb.186:                              ;   in Loop: Header=BB129_114 Depth=1
	v_cmp_neq_f32_e32 vcc_lo, 0, v16
	v_cmp_neq_f32_e64 s0, 0, v17
                                        ; implicit-def: $vgpr11
	s_or_b32 s0, vcc_lo, s0
	s_delay_alu instid0(SALU_CYCLE_1) | instskip(NEXT) | instid1(SALU_CYCLE_1)
	s_and_saveexec_b32 s18, s0
	s_xor_b32 s0, exec_lo, s18
	s_cbranch_execz .LBB129_188
; %bb.187:                              ;   in Loop: Header=BB129_114 Depth=1
	s_wait_loadcnt 0x1
	v_div_scale_f32 v10, null, v16, v16, v17
	v_div_scale_f32 v15, vcc_lo, v17, v16, v17
	s_delay_alu instid0(VALU_DEP_2) | instskip(SKIP_1) | instid1(TRANS32_DEP_1)
	v_rcp_f32_e32 v11, v10
	v_nop
	v_fma_f32 v14, -v10, v11, 1.0
	s_delay_alu instid0(VALU_DEP_1) | instskip(NEXT) | instid1(VALU_DEP_1)
	v_fmac_f32_e32 v11, v14, v11
	v_mul_f32_e32 v14, v15, v11
	s_delay_alu instid0(VALU_DEP_1) | instskip(NEXT) | instid1(VALU_DEP_1)
	v_fma_f32 v22, -v10, v14, v15
	v_fmac_f32_e32 v14, v22, v11
	s_delay_alu instid0(VALU_DEP_1) | instskip(NEXT) | instid1(VALU_DEP_1)
	v_fma_f32 v10, -v10, v14, v15
	v_div_fmas_f32 v10, v10, v11, v14
	s_delay_alu instid0(VALU_DEP_1) | instskip(NEXT) | instid1(VALU_DEP_1)
	v_div_fixup_f32 v10, v10, v16, v17
	v_fmac_f32_e32 v16, v17, v10
	s_delay_alu instid0(VALU_DEP_1) | instskip(SKIP_1) | instid1(VALU_DEP_2)
	v_div_scale_f32 v11, null, v16, v16, 1.0
	v_div_scale_f32 v17, vcc_lo, 1.0, v16, 1.0
	v_rcp_f32_e32 v14, v11
	v_nop
	s_delay_alu instid0(TRANS32_DEP_1) | instskip(NEXT) | instid1(VALU_DEP_1)
	v_fma_f32 v15, -v11, v14, 1.0
	v_fmac_f32_e32 v14, v15, v14
	s_delay_alu instid0(VALU_DEP_1) | instskip(NEXT) | instid1(VALU_DEP_1)
	v_mul_f32_e32 v15, v17, v14
	v_fma_f32 v22, -v11, v15, v17
	s_delay_alu instid0(VALU_DEP_1) | instskip(NEXT) | instid1(VALU_DEP_1)
	v_fmac_f32_e32 v15, v22, v14
                                        ; implicit-def: $vgpr22
	v_fma_f32 v11, -v11, v15, v17
	s_delay_alu instid0(VALU_DEP_1) | instskip(SKIP_2) | instid1(VALU_DEP_3)
	v_div_fmas_f32 v17, v11, v14, v15
	v_pk_fma_f32 v[14:15], v[12:13], v[10:11], v[12:13] op_sel:[1,0,0] op_sel_hi:[0,0,1] neg_lo:[1,0,0] neg_hi:[1,0,0]
	v_pk_fma_f32 v[10:11], v[12:13], v[10:11], v[12:13] op_sel:[1,0,0] op_sel_hi:[0,0,1]
	v_div_fixup_f32 v12, v17, v16, 1.0
	s_delay_alu instid0(VALU_DEP_3) | instskip(NEXT) | instid1(VALU_DEP_1)
	v_mov_b32_e32 v11, v15
                                        ; implicit-def: $vgpr15
	v_pk_mul_f32 v[10:11], v[10:11], v[12:13] op_sel_hi:[1,0]
                                        ; implicit-def: $vgpr12_vgpr13
.LBB129_188:                            ;   in Loop: Header=BB129_114 Depth=1
	s_and_not1_saveexec_b32 s18, s0
	s_cbranch_execz .LBB129_190
; %bb.189:                              ;   in Loop: Header=BB129_114 Depth=1
	s_wait_loadcnt 0x1
	v_div_scale_f32 v10, null, v22, v22, v12
	v_div_scale_f32 v11, null, v15, v15, v13
	v_div_scale_f32 v24, vcc_lo, v12, v22, v12
	s_delay_alu instid0(VALU_DEP_3) | instskip(NEXT) | instid1(VALU_DEP_2)
	v_rcp_f32_e32 v14, v10
	v_rcp_f32_e32 v16, v11
	s_delay_alu instid0(TRANS32_DEP_2) | instskip(NEXT) | instid1(TRANS32_DEP_1)
	v_fma_f32 v17, -v10, v14, 1.0
	v_fma_f32 v23, -v11, v16, 1.0
	s_delay_alu instid0(VALU_DEP_1) | instskip(SKIP_1) | instid1(VALU_DEP_1)
	v_dual_fmac_f32 v14, v17, v14 :: v_dual_fmac_f32 v16, v23, v16
	v_div_scale_f32 v17, s0, v13, v15, v13
	v_dual_mul_f32 v23, v24, v14 :: v_dual_mul_f32 v25, v17, v16
	s_delay_alu instid0(VALU_DEP_1) | instskip(NEXT) | instid1(VALU_DEP_1)
	v_dual_fma_f32 v34, -v10, v23, v24 :: v_dual_fma_f32 v35, -v11, v25, v17
	v_dual_fmac_f32 v23, v34, v14 :: v_dual_fmac_f32 v25, v35, v16
	s_delay_alu instid0(VALU_DEP_1) | instskip(NEXT) | instid1(VALU_DEP_1)
	v_dual_fma_f32 v10, -v10, v23, v24 :: v_dual_fma_f32 v11, -v11, v25, v17
	v_div_fmas_f32 v10, v10, v14, v23
	s_mov_b32 vcc_lo, s0
	s_delay_alu instid0(VALU_DEP_2) | instskip(NEXT) | instid1(VALU_DEP_2)
	v_div_fmas_f32 v11, v11, v16, v25
	v_div_fixup_f32 v10, v10, v22, v12
	s_delay_alu instid0(VALU_DEP_2)
	v_div_fixup_f32 v11, v11, v15, v13
.LBB129_190:                            ;   in Loop: Header=BB129_114 Depth=1
	s_or_b32 exec_lo, exec_lo, s18
                                        ; implicit-def: $vgpr14_vgpr15_vgpr16_vgpr17
                                        ; implicit-def: $vgpr12_vgpr13
.LBB129_191:                            ;   in Loop: Header=BB129_114 Depth=1
	s_and_not1_saveexec_b32 s0, s1
	s_cbranch_execz .LBB129_112
; %bb.192:                              ;   in Loop: Header=BB129_114 Depth=1
	s_wait_loadcnt 0x1
	v_div_scale_f32 v10, null, v17, v17, v16
	v_div_scale_f32 v15, vcc_lo, v16, v17, v16
	s_delay_alu instid0(VALU_DEP_2) | instskip(SKIP_1) | instid1(TRANS32_DEP_1)
	v_rcp_f32_e32 v11, v10
	v_nop
	v_fma_f32 v14, -v10, v11, 1.0
	s_delay_alu instid0(VALU_DEP_1) | instskip(NEXT) | instid1(VALU_DEP_1)
	v_fmac_f32_e32 v11, v14, v11
	v_mul_f32_e32 v14, v15, v11
	s_delay_alu instid0(VALU_DEP_1) | instskip(NEXT) | instid1(VALU_DEP_1)
	v_fma_f32 v22, -v10, v14, v15
	v_fmac_f32_e32 v14, v22, v11
	s_delay_alu instid0(VALU_DEP_1) | instskip(NEXT) | instid1(VALU_DEP_1)
	v_fma_f32 v10, -v10, v14, v15
	v_div_fmas_f32 v10, v10, v11, v14
	s_delay_alu instid0(VALU_DEP_1) | instskip(NEXT) | instid1(VALU_DEP_1)
	v_div_fixup_f32 v10, v10, v17, v16
	v_fmac_f32_e32 v17, v16, v10
	s_delay_alu instid0(VALU_DEP_1) | instskip(SKIP_1) | instid1(VALU_DEP_2)
	v_div_scale_f32 v11, null, v17, v17, 1.0
	v_div_scale_f32 v16, vcc_lo, 1.0, v17, 1.0
	v_rcp_f32_e32 v14, v11
	v_nop
	s_delay_alu instid0(TRANS32_DEP_1) | instskip(NEXT) | instid1(VALU_DEP_1)
	v_fma_f32 v15, -v11, v14, 1.0
	v_fmac_f32_e32 v14, v15, v14
	s_delay_alu instid0(VALU_DEP_1) | instskip(NEXT) | instid1(VALU_DEP_1)
	v_mul_f32_e32 v15, v16, v14
	v_fma_f32 v22, -v11, v15, v16
	s_delay_alu instid0(VALU_DEP_1) | instskip(NEXT) | instid1(VALU_DEP_1)
	v_fmac_f32_e32 v15, v22, v14
	v_fma_f32 v11, -v11, v15, v16
	s_delay_alu instid0(VALU_DEP_1) | instskip(SKIP_2) | instid1(VALU_DEP_3)
	v_div_fmas_f32 v16, v11, v14, v15
	v_pk_fma_f32 v[14:15], v[12:13], v[10:11], v[12:13] op_sel:[0,0,1] op_sel_hi:[1,0,0] neg_lo:[0,0,1] neg_hi:[0,0,1]
	v_pk_fma_f32 v[10:11], v[12:13], v[10:11], v[12:13] op_sel:[0,0,1] op_sel_hi:[1,0,0]
	v_div_fixup_f32 v12, v16, v17, 1.0
	s_delay_alu instid0(VALU_DEP_3) | instskip(NEXT) | instid1(VALU_DEP_1)
	v_mov_b32_e32 v11, v15
	v_pk_mul_f32 v[10:11], v[10:11], v[12:13] op_sel_hi:[1,0]
	s_branch .LBB129_112
.LBB129_193:
	s_sendmsg sendmsg(MSG_DEALLOC_VGPRS)
	s_endpgm
	.section	.rodata,"a",@progbits
	.p2align	6, 0x0
	.amdhsa_kernel _ZN2at6native12_GLOBAL__N_125multi_tensor_apply_kernelINS1_28TensorListScalarListMetadataIN3c107complexIfEELi3EEENS1_28PointwiseOpScalarListFunctorIS6_Li3ELi3ELi0EEEJSt7dividesIS6_EEEEvT_T0_DpT1_
		.amdhsa_group_segment_fixed_size 0
		.amdhsa_private_segment_fixed_size 0
		.amdhsa_kernarg_size 3784
		.amdhsa_user_sgpr_count 2
		.amdhsa_user_sgpr_dispatch_ptr 0
		.amdhsa_user_sgpr_queue_ptr 0
		.amdhsa_user_sgpr_kernarg_segment_ptr 1
		.amdhsa_user_sgpr_dispatch_id 0
		.amdhsa_user_sgpr_kernarg_preload_length 0
		.amdhsa_user_sgpr_kernarg_preload_offset 0
		.amdhsa_user_sgpr_private_segment_size 0
		.amdhsa_wavefront_size32 1
		.amdhsa_uses_dynamic_stack 0
		.amdhsa_enable_private_segment 0
		.amdhsa_system_sgpr_workgroup_id_x 1
		.amdhsa_system_sgpr_workgroup_id_y 0
		.amdhsa_system_sgpr_workgroup_id_z 0
		.amdhsa_system_sgpr_workgroup_info 0
		.amdhsa_system_vgpr_workitem_id 0
		.amdhsa_next_free_vgpr 72
		.amdhsa_next_free_sgpr 31
		.amdhsa_named_barrier_count 0
		.amdhsa_reserve_vcc 1
		.amdhsa_float_round_mode_32 0
		.amdhsa_float_round_mode_16_64 0
		.amdhsa_float_denorm_mode_32 3
		.amdhsa_float_denorm_mode_16_64 3
		.amdhsa_fp16_overflow 0
		.amdhsa_memory_ordered 1
		.amdhsa_forward_progress 1
		.amdhsa_inst_pref_size 109
		.amdhsa_round_robin_scheduling 0
		.amdhsa_exception_fp_ieee_invalid_op 0
		.amdhsa_exception_fp_denorm_src 0
		.amdhsa_exception_fp_ieee_div_zero 0
		.amdhsa_exception_fp_ieee_overflow 0
		.amdhsa_exception_fp_ieee_underflow 0
		.amdhsa_exception_fp_ieee_inexact 0
		.amdhsa_exception_int_div_zero 0
	.end_amdhsa_kernel
	.section	.text._ZN2at6native12_GLOBAL__N_125multi_tensor_apply_kernelINS1_28TensorListScalarListMetadataIN3c107complexIfEELi3EEENS1_28PointwiseOpScalarListFunctorIS6_Li3ELi3ELi0EEEJSt7dividesIS6_EEEEvT_T0_DpT1_,"axG",@progbits,_ZN2at6native12_GLOBAL__N_125multi_tensor_apply_kernelINS1_28TensorListScalarListMetadataIN3c107complexIfEELi3EEENS1_28PointwiseOpScalarListFunctorIS6_Li3ELi3ELi0EEEJSt7dividesIS6_EEEEvT_T0_DpT1_,comdat
.Lfunc_end129:
	.size	_ZN2at6native12_GLOBAL__N_125multi_tensor_apply_kernelINS1_28TensorListScalarListMetadataIN3c107complexIfEELi3EEENS1_28PointwiseOpScalarListFunctorIS6_Li3ELi3ELi0EEEJSt7dividesIS6_EEEEvT_T0_DpT1_, .Lfunc_end129-_ZN2at6native12_GLOBAL__N_125multi_tensor_apply_kernelINS1_28TensorListScalarListMetadataIN3c107complexIfEELi3EEENS1_28PointwiseOpScalarListFunctorIS6_Li3ELi3ELi0EEEJSt7dividesIS6_EEEEvT_T0_DpT1_
                                        ; -- End function
	.set _ZN2at6native12_GLOBAL__N_125multi_tensor_apply_kernelINS1_28TensorListScalarListMetadataIN3c107complexIfEELi3EEENS1_28PointwiseOpScalarListFunctorIS6_Li3ELi3ELi0EEEJSt7dividesIS6_EEEEvT_T0_DpT1_.num_vgpr, 72
	.set _ZN2at6native12_GLOBAL__N_125multi_tensor_apply_kernelINS1_28TensorListScalarListMetadataIN3c107complexIfEELi3EEENS1_28PointwiseOpScalarListFunctorIS6_Li3ELi3ELi0EEEJSt7dividesIS6_EEEEvT_T0_DpT1_.num_agpr, 0
	.set _ZN2at6native12_GLOBAL__N_125multi_tensor_apply_kernelINS1_28TensorListScalarListMetadataIN3c107complexIfEELi3EEENS1_28PointwiseOpScalarListFunctorIS6_Li3ELi3ELi0EEEJSt7dividesIS6_EEEEvT_T0_DpT1_.numbered_sgpr, 31
	.set _ZN2at6native12_GLOBAL__N_125multi_tensor_apply_kernelINS1_28TensorListScalarListMetadataIN3c107complexIfEELi3EEENS1_28PointwiseOpScalarListFunctorIS6_Li3ELi3ELi0EEEJSt7dividesIS6_EEEEvT_T0_DpT1_.num_named_barrier, 0
	.set _ZN2at6native12_GLOBAL__N_125multi_tensor_apply_kernelINS1_28TensorListScalarListMetadataIN3c107complexIfEELi3EEENS1_28PointwiseOpScalarListFunctorIS6_Li3ELi3ELi0EEEJSt7dividesIS6_EEEEvT_T0_DpT1_.private_seg_size, 0
	.set _ZN2at6native12_GLOBAL__N_125multi_tensor_apply_kernelINS1_28TensorListScalarListMetadataIN3c107complexIfEELi3EEENS1_28PointwiseOpScalarListFunctorIS6_Li3ELi3ELi0EEEJSt7dividesIS6_EEEEvT_T0_DpT1_.uses_vcc, 1
	.set _ZN2at6native12_GLOBAL__N_125multi_tensor_apply_kernelINS1_28TensorListScalarListMetadataIN3c107complexIfEELi3EEENS1_28PointwiseOpScalarListFunctorIS6_Li3ELi3ELi0EEEJSt7dividesIS6_EEEEvT_T0_DpT1_.uses_flat_scratch, 0
	.set _ZN2at6native12_GLOBAL__N_125multi_tensor_apply_kernelINS1_28TensorListScalarListMetadataIN3c107complexIfEELi3EEENS1_28PointwiseOpScalarListFunctorIS6_Li3ELi3ELi0EEEJSt7dividesIS6_EEEEvT_T0_DpT1_.has_dyn_sized_stack, 0
	.set _ZN2at6native12_GLOBAL__N_125multi_tensor_apply_kernelINS1_28TensorListScalarListMetadataIN3c107complexIfEELi3EEENS1_28PointwiseOpScalarListFunctorIS6_Li3ELi3ELi0EEEJSt7dividesIS6_EEEEvT_T0_DpT1_.has_recursion, 0
	.set _ZN2at6native12_GLOBAL__N_125multi_tensor_apply_kernelINS1_28TensorListScalarListMetadataIN3c107complexIfEELi3EEENS1_28PointwiseOpScalarListFunctorIS6_Li3ELi3ELi0EEEJSt7dividesIS6_EEEEvT_T0_DpT1_.has_indirect_call, 0
	.section	.AMDGPU.csdata,"",@progbits
; Kernel info:
; codeLenInByte = 13944
; TotalNumSgprs: 33
; NumVgprs: 72
; ScratchSize: 0
; MemoryBound: 1
; FloatMode: 240
; IeeeMode: 1
; LDSByteSize: 0 bytes/workgroup (compile time only)
; SGPRBlocks: 0
; VGPRBlocks: 4
; NumSGPRsForWavesPerEU: 33
; NumVGPRsForWavesPerEU: 72
; NamedBarCnt: 0
; Occupancy: 12
; WaveLimiterHint : 1
; COMPUTE_PGM_RSRC2:SCRATCH_EN: 0
; COMPUTE_PGM_RSRC2:USER_SGPR: 2
; COMPUTE_PGM_RSRC2:TRAP_HANDLER: 0
; COMPUTE_PGM_RSRC2:TGID_X_EN: 1
; COMPUTE_PGM_RSRC2:TGID_Y_EN: 0
; COMPUTE_PGM_RSRC2:TGID_Z_EN: 0
; COMPUTE_PGM_RSRC2:TIDIG_COMP_CNT: 0
	.section	.text._ZN2at6native12_GLOBAL__N_125multi_tensor_apply_kernelINS1_28TensorListScalarListMetadataIfLi3EEENS1_28PointwiseOpScalarListFunctorIN3c104HalfELi3ELi3ELi0EEEJSt7dividesIfEEEEvT_T0_DpT1_,"axG",@progbits,_ZN2at6native12_GLOBAL__N_125multi_tensor_apply_kernelINS1_28TensorListScalarListMetadataIfLi3EEENS1_28PointwiseOpScalarListFunctorIN3c104HalfELi3ELi3ELi0EEEJSt7dividesIfEEEEvT_T0_DpT1_,comdat
	.globl	_ZN2at6native12_GLOBAL__N_125multi_tensor_apply_kernelINS1_28TensorListScalarListMetadataIfLi3EEENS1_28PointwiseOpScalarListFunctorIN3c104HalfELi3ELi3ELi0EEEJSt7dividesIfEEEEvT_T0_DpT1_ ; -- Begin function _ZN2at6native12_GLOBAL__N_125multi_tensor_apply_kernelINS1_28TensorListScalarListMetadataIfLi3EEENS1_28PointwiseOpScalarListFunctorIN3c104HalfELi3ELi3ELi0EEEJSt7dividesIfEEEEvT_T0_DpT1_
	.p2align	8
	.type	_ZN2at6native12_GLOBAL__N_125multi_tensor_apply_kernelINS1_28TensorListScalarListMetadataIfLi3EEENS1_28PointwiseOpScalarListFunctorIN3c104HalfELi3ELi3ELi0EEEJSt7dividesIfEEEEvT_T0_DpT1_,@function
_ZN2at6native12_GLOBAL__N_125multi_tensor_apply_kernelINS1_28TensorListScalarListMetadataIfLi3EEENS1_28PointwiseOpScalarListFunctorIN3c104HalfELi3ELi3ELi0EEEJSt7dividesIfEEEEvT_T0_DpT1_: ; @_ZN2at6native12_GLOBAL__N_125multi_tensor_apply_kernelINS1_28TensorListScalarListMetadataIfLi3EEENS1_28PointwiseOpScalarListFunctorIN3c104HalfELi3ELi3ELi0EEEJSt7dividesIfEEEEvT_T0_DpT1_
; %bb.0:
	s_bfe_u32 s2, ttmp6, 0x4000c
	s_and_b32 s3, ttmp6, 15
	s_add_co_i32 s2, s2, 1
	s_getreg_b32 s4, hwreg(HW_REG_IB_STS2, 6, 4)
	s_mul_i32 s2, ttmp9, s2
	s_delay_alu instid0(SALU_CYCLE_1)
	s_add_co_i32 s3, s3, s2
	s_cmp_eq_u32 s4, 0
	s_cselect_b32 s2, ttmp9, s3
	s_mov_b32 s3, 0
	s_load_u8 s20, s[0:1], s2 offset:0x6c0
	s_add_nc_u64 s[4:5], s[0:1], s[2:3]
	s_mul_u64 s[6:7], s[2:3], 3
	s_delay_alu instid0(SALU_CYCLE_1)
	s_add_nc_u64 s[4:5], s[4:5], s[6:7]
	s_load_b32 s16, s[4:5], 0x800
	s_wait_kmcnt 0x0
	s_clause 0x3
	s_load_b64 s[6:7], s[0:1], s20 offset:0x180 scale_offset
	s_load_b64 s[8:9], s[0:1], s20 offset:0x300 scale_offset
	;; [unrolled: 1-line block ×4, first 2 shown]
	s_lshl_b32 s2, s20, 3
	s_ashr_i32 s17, s16, 31
	s_delay_alu instid0(SALU_CYCLE_1) | instskip(SKIP_3) | instid1(SALU_CYCLE_1)
	s_lshl_b64 s[12:13], s[16:17], 17
	s_wait_kmcnt 0x0
	s_and_b64 s[18:19], s[10:11], 7
	s_add_nc_u64 s[14:15], s[6:7], s[12:13]
	s_or_b32 s14, s8, s14
	s_delay_alu instid0(SALU_CYCLE_1) | instskip(NEXT) | instid1(SALU_CYCLE_1)
	s_and_b32 s14, s14, 7
	s_cmp_eq_u32 s14, 0
	s_add_nc_u64 s[14:15], s[0:1], s[2:3]
	s_cselect_b32 s22, -1, 0
	s_lshl_b32 s2, s20, 2
	s_lshl_b64 s[16:17], s[16:17], 16
	s_sub_nc_u64 s[20:21], 0, s[2:3]
	s_and_b32 s2, s4, 3
	s_add_nc_u64 s[14:15], s[14:15], s[20:21]
	s_or_b64 s[2:3], s[18:19], s[2:3]
	s_load_b32 s14, s[14:15], 0x600
	s_cmp_eq_u64 s[2:3], 0
	s_sub_nc_u64 s[16:17], s[4:5], s[16:17]
	s_cselect_b32 s2, -1, 0
	s_delay_alu instid0(SALU_CYCLE_1) | instskip(NEXT) | instid1(SALU_CYCLE_1)
	s_and_b32 s2, s22, s2
	s_and_b32 vcc_lo, exec_lo, s2
	s_mov_b32 s2, -1
	s_cbranch_vccnz .LBB130_29
; %bb.1:
	v_cmp_lt_i64_e64 s2, s[16:17], 1
	s_and_b32 vcc_lo, exec_lo, s2
	s_cbranch_vccnz .LBB130_28
; %bb.2:
	s_load_b32 s2, s[0:1], 0xd14
	v_min_i64 v[2:3], 0x10000, s[16:17]
	v_min_u64 v[4:5], 0x10000, s[16:17]
	v_dual_mov_b32 v1, 0 :: v_dual_lshlrev_b32 v16, 1, v0
	s_mov_b32 s21, 0
	s_delay_alu instid0(SALU_CYCLE_1) | instskip(NEXT) | instid1(VALU_DEP_1)
	s_mov_b32 s19, s21
	v_dual_mov_b32 v17, v1 :: v_dual_mov_b32 v35, v1
	s_mov_b32 s5, s21
	s_mov_b32 s23, s21
	s_delay_alu instid0(VALU_DEP_1) | instskip(SKIP_4) | instid1(SALU_CYCLE_1)
	v_add_nc_u64_e32 v[6:7], s[10:11], v[16:17]
	v_add_nc_u64_e32 v[8:9], s[6:7], v[16:17]
	;; [unrolled: 1-line block ×3, first 2 shown]
	s_wait_kmcnt 0x0
	s_and_b32 s20, s2, 0xffff
	s_lshl_b32 s4, s20, 1
	s_cmp_eq_f32 s14, 1.0
	v_add_nc_u64_e32 v[10:11], s[20:21], v[0:1]
	v_mad_nc_u64_u32 v[22:23], s20, 6, v[16:17]
	s_mul_i32 s22, s20, 3
	s_cselect_b32 s2, -1, 0
	s_lshl_b32 s18, s20, 2
	v_add_nc_u64_e32 v[14:15], s[22:23], v[0:1]
	v_add_nc_u64_e32 v[32:33], s[18:19], v[16:17]
	v_lshlrev_b32_e32 v34, 1, v10
	v_add_nc_u64_e32 v[16:17], s[4:5], v[0:1]
	s_lshl_b32 s20, s20, 3
	s_mov_b64 s[22:23], 0
	v_add_nc_u64_e32 v[18:19], s[10:11], v[22:23]
	v_add_nc_u64_e32 v[20:21], s[6:7], v[22:23]
	;; [unrolled: 1-line block ×9, first 2 shown]
	s_branch .LBB130_4
.LBB130_3:                              ;   in Loop: Header=BB130_4 Depth=1
	s_wait_xcnt 0x0
	s_or_b32 exec_lo, exec_lo, s3
	s_add_nc_u64 s[22:23], s[22:23], s[18:19]
	v_add_nc_u64_e32 v[6:7], s[20:21], v[6:7]
	v_cmp_lt_i64_e32 vcc_lo, s[22:23], v[2:3]
	v_add_nc_u64_e32 v[8:9], s[20:21], v[8:9]
	v_add_nc_u64_e32 v[12:13], s[20:21], v[12:13]
	;; [unrolled: 1-line block ×11, first 2 shown]
	s_cbranch_vccz .LBB130_28
.LBB130_4:                              ; =>This Inner Loop Header: Depth=1
	v_add_nc_u64_e32 v[36:37], s[22:23], v[0:1]
	v_mov_b32_e32 v38, 0
	s_delay_alu instid0(VALU_DEP_2)
	v_cmp_lt_u64_e32 vcc_lo, v[36:37], v[4:5]
	v_mov_b32_e32 v37, 0
	s_and_saveexec_b32 s3, vcc_lo
	s_cbranch_execz .LBB130_6
; %bb.5:                                ;   in Loop: Header=BB130_4 Depth=1
	v_add_nc_u64_e32 v[36:37], s[12:13], v[6:7]
	v_add_nc_u64_e32 v[38:39], s[12:13], v[8:9]
	global_load_u16 v40, v[36:37], off
	global_load_u16 v41, v[38:39], off
	s_wait_loadcnt 0x1
	s_wait_xcnt 0x1
	v_cvt_f32_f16_e32 v37, v40
	s_wait_loadcnt 0x0
	s_wait_xcnt 0x0
	v_cvt_f32_f16_e32 v38, v41
.LBB130_6:                              ;   in Loop: Header=BB130_4 Depth=1
	s_or_b32 exec_lo, exec_lo, s3
	v_dual_mov_b32 v36, 0 :: v_dual_mov_b32 v43, 0
	s_and_saveexec_b32 s3, vcc_lo
	s_cbranch_execz .LBB130_8
; %bb.7:                                ;   in Loop: Header=BB130_4 Depth=1
	v_add_nc_u64_e32 v[40:41], s[12:13], v[12:13]
	global_load_u16 v39, v[40:41], off
	s_wait_loadcnt 0x0
	v_cvt_f32_f16_e32 v43, v39
.LBB130_8:                              ;   in Loop: Header=BB130_4 Depth=1
	s_wait_xcnt 0x0
	s_or_b32 exec_lo, exec_lo, s3
	v_add_nc_u64_e32 v[40:41], s[22:23], v[10:11]
	s_delay_alu instid0(VALU_DEP_1)
	v_cmp_lt_u64_e64 s3, v[40:41], v[4:5]
	v_mov_b32_e32 v40, 0
	s_and_saveexec_b32 s4, s3
	s_cbranch_execz .LBB130_10
; %bb.9:                                ;   in Loop: Header=BB130_4 Depth=1
	v_add_nc_u64_e32 v[40:41], s[12:13], v[24:25]
	v_add_nc_u64_e32 v[44:45], s[12:13], v[26:27]
	global_load_u16 v36, v[40:41], off
	global_load_u16 v39, v[44:45], off
	s_wait_loadcnt 0x1
	s_wait_xcnt 0x1
	v_cvt_f32_f16_e32 v40, v36
	s_wait_loadcnt 0x0
	v_cvt_f32_f16_e32 v36, v39
.LBB130_10:                             ;   in Loop: Header=BB130_4 Depth=1
	s_wait_xcnt 0x0
	s_or_b32 exec_lo, exec_lo, s4
	v_dual_mov_b32 v39, 0 :: v_dual_mov_b32 v45, 0
	s_and_saveexec_b32 s4, s3
	s_cbranch_execz .LBB130_12
; %bb.11:                               ;   in Loop: Header=BB130_4 Depth=1
	v_add_nc_u64_e32 v[44:45], s[12:13], v[34:35]
	global_load_u16 v41, v[44:45], off
	s_wait_loadcnt 0x0
	s_wait_xcnt 0x0
	v_cvt_f32_f16_e32 v45, v41
.LBB130_12:                             ;   in Loop: Header=BB130_4 Depth=1
	s_or_b32 exec_lo, exec_lo, s4
	v_add_nc_u64_e32 v[46:47], s[22:23], v[16:17]
	v_mov_b32_e32 v42, 0
	s_delay_alu instid0(VALU_DEP_2)
	v_cmp_lt_u64_e64 s4, v[46:47], v[4:5]
	s_and_saveexec_b32 s5, s4
	s_cbranch_execz .LBB130_14
; %bb.13:                               ;   in Loop: Header=BB130_4 Depth=1
	v_add_nc_u64_e32 v[46:47], s[12:13], v[28:29]
	v_add_nc_u64_e32 v[48:49], s[12:13], v[30:31]
	global_load_u16 v39, v[46:47], off
	global_load_u16 v41, v[48:49], off
	s_wait_loadcnt 0x1
	v_cvt_f32_f16_e32 v42, v39
	s_wait_loadcnt 0x0
	v_cvt_f32_f16_e32 v39, v41
.LBB130_14:                             ;   in Loop: Header=BB130_4 Depth=1
	s_wait_xcnt 0x0
	s_or_b32 exec_lo, exec_lo, s5
	v_dual_mov_b32 v41, 0 :: v_dual_mov_b32 v46, 0
	s_and_saveexec_b32 s5, s4
	s_cbranch_execz .LBB130_16
; %bb.15:                               ;   in Loop: Header=BB130_4 Depth=1
	v_add_nc_u64_e32 v[46:47], s[12:13], v[32:33]
	global_load_u16 v44, v[46:47], off
	s_wait_loadcnt 0x0
	s_wait_xcnt 0x0
	v_cvt_f32_f16_e32 v46, v44
.LBB130_16:                             ;   in Loop: Header=BB130_4 Depth=1
	s_or_b32 exec_lo, exec_lo, s5
	v_add_nc_u64_e32 v[48:49], s[22:23], v[14:15]
	v_mov_b32_e32 v44, 0
	s_delay_alu instid0(VALU_DEP_2)
	v_cmp_lt_u64_e64 s5, v[48:49], v[4:5]
	s_and_saveexec_b32 s15, s5
	s_cbranch_execnz .LBB130_22
; %bb.17:                               ;   in Loop: Header=BB130_4 Depth=1
	s_or_b32 exec_lo, exec_lo, s15
	v_mov_b32_e32 v47, 0
	s_and_saveexec_b32 s15, s5
	s_cbranch_execnz .LBB130_23
.LBB130_18:                             ;   in Loop: Header=BB130_4 Depth=1
	s_or_b32 exec_lo, exec_lo, s15
	s_and_saveexec_b32 s15, vcc_lo
	s_cbranch_execnz .LBB130_24
.LBB130_19:                             ;   in Loop: Header=BB130_4 Depth=1
	s_or_b32 exec_lo, exec_lo, s15
	s_and_saveexec_b32 s15, s3
	s_cbranch_execnz .LBB130_25
.LBB130_20:                             ;   in Loop: Header=BB130_4 Depth=1
	s_or_b32 exec_lo, exec_lo, s15
	s_and_saveexec_b32 s3, s4
	s_cbranch_execnz .LBB130_26
.LBB130_21:                             ;   in Loop: Header=BB130_4 Depth=1
	s_or_b32 exec_lo, exec_lo, s3
	s_and_saveexec_b32 s3, s5
	s_cbranch_execz .LBB130_3
	s_branch .LBB130_27
.LBB130_22:                             ;   in Loop: Header=BB130_4 Depth=1
	v_add_nc_u64_e32 v[48:49], s[12:13], v[18:19]
	v_add_nc_u64_e32 v[50:51], s[12:13], v[20:21]
	global_load_u16 v41, v[48:49], off
	global_load_u16 v47, v[50:51], off
	s_wait_loadcnt 0x1
	v_cvt_f32_f16_e32 v44, v41
	s_wait_loadcnt 0x0
	v_cvt_f32_f16_e32 v41, v47
	s_wait_xcnt 0x0
	s_or_b32 exec_lo, exec_lo, s15
	v_mov_b32_e32 v47, 0
	s_and_saveexec_b32 s15, s5
	s_cbranch_execz .LBB130_18
.LBB130_23:                             ;   in Loop: Header=BB130_4 Depth=1
	v_add_nc_u64_e32 v[48:49], s[12:13], v[22:23]
	global_load_u16 v47, v[48:49], off
	s_wait_loadcnt 0x0
	v_cvt_f32_f16_e32 v47, v47
	s_wait_xcnt 0x0
	s_or_b32 exec_lo, exec_lo, s15
	s_and_saveexec_b32 s15, vcc_lo
	s_cbranch_execz .LBB130_19
.LBB130_24:                             ;   in Loop: Header=BB130_4 Depth=1
	v_div_scale_f32 v48, null, v43, v43, v38
	v_div_scale_f32 v51, vcc_lo, v38, v43, v38
	s_delay_alu instid0(VALU_DEP_2) | instskip(SKIP_1) | instid1(TRANS32_DEP_1)
	v_rcp_f32_e32 v49, v48
	v_nop
	v_fma_f32 v50, -v48, v49, 1.0
	s_delay_alu instid0(VALU_DEP_1) | instskip(NEXT) | instid1(VALU_DEP_1)
	v_fmac_f32_e32 v49, v50, v49
	v_mul_f32_e32 v50, v51, v49
	s_delay_alu instid0(VALU_DEP_1) | instskip(NEXT) | instid1(VALU_DEP_1)
	v_fma_f32 v52, -v48, v50, v51
	v_fmac_f32_e32 v50, v52, v49
	s_delay_alu instid0(VALU_DEP_1) | instskip(NEXT) | instid1(VALU_DEP_1)
	v_fma_f32 v48, -v48, v50, v51
	v_div_fmas_f32 v48, v48, v49, v50
	s_delay_alu instid0(VALU_DEP_1) | instskip(SKIP_1) | instid1(VALU_DEP_2)
	v_div_fixup_f32 v38, v48, v43, v38
	v_add_nc_u64_e32 v[48:49], s[12:13], v[6:7]
	v_dual_add_f32 v43, v37, v38 :: v_dual_fmac_f32 v37, s14, v38
	s_delay_alu instid0(VALU_DEP_1) | instskip(NEXT) | instid1(VALU_DEP_1)
	v_cndmask_b32_e64 v37, v37, v43, s2
	v_cvt_f16_f32_e32 v37, v37
	global_store_b16 v[48:49], v37, off
	s_wait_xcnt 0x0
	s_or_b32 exec_lo, exec_lo, s15
	s_and_saveexec_b32 s15, s3
	s_cbranch_execz .LBB130_20
.LBB130_25:                             ;   in Loop: Header=BB130_4 Depth=1
	v_div_scale_f32 v37, null, v45, v45, v36
	v_div_scale_f32 v48, vcc_lo, v36, v45, v36
	s_delay_alu instid0(VALU_DEP_2) | instskip(SKIP_1) | instid1(TRANS32_DEP_1)
	v_rcp_f32_e32 v38, v37
	v_nop
	v_fma_f32 v43, -v37, v38, 1.0
	s_delay_alu instid0(VALU_DEP_1) | instskip(NEXT) | instid1(VALU_DEP_1)
	v_fmac_f32_e32 v38, v43, v38
	v_mul_f32_e32 v43, v48, v38
	s_delay_alu instid0(VALU_DEP_1) | instskip(NEXT) | instid1(VALU_DEP_1)
	v_fma_f32 v49, -v37, v43, v48
	v_fmac_f32_e32 v43, v49, v38
	s_delay_alu instid0(VALU_DEP_1) | instskip(NEXT) | instid1(VALU_DEP_1)
	v_fma_f32 v37, -v37, v43, v48
	v_div_fmas_f32 v37, v37, v38, v43
	s_delay_alu instid0(VALU_DEP_1) | instskip(NEXT) | instid1(VALU_DEP_1)
	v_div_fixup_f32 v36, v37, v45, v36
	v_dual_add_f32 v37, v40, v36 :: v_dual_fmac_f32 v40, s14, v36
	s_delay_alu instid0(VALU_DEP_1) | instskip(SKIP_1) | instid1(VALU_DEP_2)
	v_cndmask_b32_e64 v38, v40, v37, s2
	v_add_nc_u64_e32 v[36:37], s[12:13], v[24:25]
	v_cvt_f16_f32_e32 v38, v38
	global_store_b16 v[36:37], v38, off
	s_wait_xcnt 0x0
	s_or_b32 exec_lo, exec_lo, s15
	s_and_saveexec_b32 s3, s4
	s_cbranch_execz .LBB130_21
.LBB130_26:                             ;   in Loop: Header=BB130_4 Depth=1
	v_div_scale_f32 v36, null, v46, v46, v39
	v_div_scale_f32 v40, vcc_lo, v39, v46, v39
	s_delay_alu instid0(VALU_DEP_2) | instskip(SKIP_1) | instid1(TRANS32_DEP_1)
	v_rcp_f32_e32 v37, v36
	v_nop
	v_fma_f32 v38, -v36, v37, 1.0
	s_delay_alu instid0(VALU_DEP_1) | instskip(NEXT) | instid1(VALU_DEP_1)
	v_fmac_f32_e32 v37, v38, v37
	v_mul_f32_e32 v38, v40, v37
	s_delay_alu instid0(VALU_DEP_1) | instskip(NEXT) | instid1(VALU_DEP_1)
	v_fma_f32 v43, -v36, v38, v40
	v_fmac_f32_e32 v38, v43, v37
	s_delay_alu instid0(VALU_DEP_1) | instskip(NEXT) | instid1(VALU_DEP_1)
	v_fma_f32 v36, -v36, v38, v40
	v_div_fmas_f32 v36, v36, v37, v38
	s_delay_alu instid0(VALU_DEP_1) | instskip(NEXT) | instid1(VALU_DEP_1)
	v_div_fixup_f32 v36, v36, v46, v39
	v_dual_add_f32 v37, v42, v36 :: v_dual_fmac_f32 v42, s14, v36
	s_delay_alu instid0(VALU_DEP_1) | instskip(SKIP_1) | instid1(VALU_DEP_2)
	v_cndmask_b32_e64 v38, v42, v37, s2
	v_add_nc_u64_e32 v[36:37], s[12:13], v[28:29]
	v_cvt_f16_f32_e32 v38, v38
	global_store_b16 v[36:37], v38, off
	s_wait_xcnt 0x0
	s_or_b32 exec_lo, exec_lo, s3
	s_and_saveexec_b32 s3, s5
	s_cbranch_execz .LBB130_3
.LBB130_27:                             ;   in Loop: Header=BB130_4 Depth=1
	v_div_scale_f32 v36, null, v47, v47, v41
	v_div_scale_f32 v39, vcc_lo, v41, v47, v41
	s_delay_alu instid0(VALU_DEP_2) | instskip(SKIP_1) | instid1(TRANS32_DEP_1)
	v_rcp_f32_e32 v37, v36
	v_nop
	v_fma_f32 v38, -v36, v37, 1.0
	s_delay_alu instid0(VALU_DEP_1) | instskip(NEXT) | instid1(VALU_DEP_1)
	v_fmac_f32_e32 v37, v38, v37
	v_mul_f32_e32 v38, v39, v37
	s_delay_alu instid0(VALU_DEP_1) | instskip(NEXT) | instid1(VALU_DEP_1)
	v_fma_f32 v40, -v36, v38, v39
	v_fmac_f32_e32 v38, v40, v37
	s_delay_alu instid0(VALU_DEP_1) | instskip(NEXT) | instid1(VALU_DEP_1)
	v_fma_f32 v36, -v36, v38, v39
	v_div_fmas_f32 v36, v36, v37, v38
	s_delay_alu instid0(VALU_DEP_1) | instskip(NEXT) | instid1(VALU_DEP_1)
	v_div_fixup_f32 v36, v36, v47, v41
	v_dual_add_f32 v37, v44, v36 :: v_dual_fmac_f32 v44, s14, v36
	s_delay_alu instid0(VALU_DEP_1) | instskip(SKIP_1) | instid1(VALU_DEP_2)
	v_cndmask_b32_e64 v38, v44, v37, s2
	v_add_nc_u64_e32 v[36:37], s[12:13], v[18:19]
	v_cvt_f16_f32_e32 v38, v38
	global_store_b16 v[36:37], v38, off
	s_branch .LBB130_3
.LBB130_28:
	s_mov_b32 s2, 0
.LBB130_29:
	s_delay_alu instid0(SALU_CYCLE_1)
	s_and_not1_b32 vcc_lo, exec_lo, s2
	s_cbranch_vccnz .LBB130_33
; %bb.30:
	v_min_i64 v[2:3], 0x10000, s[16:17]
	v_dual_mov_b32 v9, 0 :: v_dual_lshlrev_b32 v8, 2, v0
	s_mov_b32 s2, exec_lo
	s_delay_alu instid0(VALU_DEP_1)
	v_cmpx_lt_i64_e64 v[8:9], v[2:3]
	s_cbranch_execz .LBB130_33
; %bb.31:
	s_load_b32 s1, s[0:1], 0xd14
	v_dual_mov_b32 v1, v9 :: v_dual_lshlrev_b32 v8, 3, v0
	s_wait_kmcnt 0x0
	s_mov_b32 s15, s14
	s_cmp_eq_f32 s14, 1.0
	v_mov_b64_e32 v[6:7], s[14:15]
	v_dual_mov_b32 v4, s14 :: v_dual_mov_b32 v5, s14
	v_add_nc_u64_e32 v[8:9], s[12:13], v[8:9]
	s_mov_b32 s5, 0
	s_cselect_b32 s0, -1, 0
	s_mov_b32 s13, s5
	s_mov_b32 s14, s5
	s_and_b32 s4, s1, 0xffff
	s_delay_alu instid0(SALU_CYCLE_1)
	s_lshl_b32 s12, s4, 3
.LBB130_32:                             ; =>This Inner Loop Header: Depth=1
	v_add_nc_u64_e32 v[10:11], s[6:7], v[8:9]
	v_add_nc_u64_e32 v[12:13], s[8:9], v[8:9]
	;; [unrolled: 1-line block ×5, first 2 shown]
	global_load_b64 v[16:17], v[10:11], off
	global_load_b64 v[18:19], v[12:13], off
	;; [unrolled: 1-line block ×3, first 2 shown]
	s_wait_xcnt 0x2
	v_lshlrev_b64_e32 v[10:11], 2, v[0:1]
	s_wait_loadcnt 0x2
	v_lshrrev_b32_e32 v22, 16, v17
	v_cvt_f32_f16_e32 v23, v17
	v_lshrrev_b32_e32 v17, 16, v16
	v_cvt_f32_f16_e32 v16, v16
	s_wait_loadcnt 0x1
	v_dual_lshrrev_b32 v24, 16, v19 :: v_dual_lshrrev_b32 v25, 16, v18
	v_cvt_f32_f16_e32 v18, v18
	v_cvt_f32_f16_e32 v19, v19
	;; [unrolled: 1-line block ×5, first 2 shown]
	v_div_scale_f32 v26, null, v18, v18, v16
	v_cvt_f32_f16_e32 v24, v24
	v_div_scale_f32 v28, null, v19, v19, v23
	s_delay_alu instid0(VALU_DEP_3) | instskip(SKIP_1) | instid1(VALU_DEP_3)
	v_rcp_f32_e32 v30, v26
	v_div_scale_f32 v31, null, v25, v25, v17
	v_div_scale_f32 v33, null, v24, v24, v22
	s_delay_alu instid0(VALU_DEP_3) | instskip(NEXT) | instid1(VALU_DEP_2)
	v_rcp_f32_e32 v34, v28
	v_rcp_f32_e32 v36, v31
	s_delay_alu instid0(TRANS32_DEP_3) | instskip(NEXT) | instid1(VALU_DEP_2)
	v_fma_f32 v38, -v26, v30, 1.0
	v_rcp_f32_e32 v37, v33
	v_div_scale_f32 v27, vcc_lo, v16, v18, v16
	v_div_scale_f32 v29, s1, v23, v19, v23
	s_delay_alu instid0(TRANS32_DEP_3) | instskip(SKIP_3) | instid1(VALU_DEP_4)
	v_fma_f32 v39, -v28, v34, 1.0
	v_fmac_f32_e32 v30, v38, v30
	v_fma_f32 v38, -v31, v36, 1.0
	v_div_scale_f32 v32, s2, v17, v25, v17
	v_fmac_f32_e32 v34, v39, v34
	v_fma_f32 v39, -v33, v37, 1.0
	s_delay_alu instid0(VALU_DEP_4) | instskip(SKIP_1) | instid1(VALU_DEP_2)
	v_dual_fmac_f32 v36, v38, v36 :: v_dual_mul_f32 v40, v27, v30
	v_div_scale_f32 v35, s3, v22, v24, v22
	v_dual_fmac_f32 v37, v39, v37 :: v_dual_mul_f32 v41, v32, v36
	s_delay_alu instid0(VALU_DEP_3)
	v_dual_mul_f32 v38, v29, v34 :: v_dual_fma_f32 v39, -v26, v40, v27
	s_wait_loadcnt 0x0
	s_wait_xcnt 0x1
	v_cvt_f32_f16_e32 v12, v20
	v_dual_mul_f32 v43, v35, v37 :: v_dual_lshrrev_b32 v13, 16, v20
	v_fma_f32 v42, -v28, v38, v29
	v_fmac_f32_e32 v40, v39, v30
	v_fma_f32 v39, -v31, v41, v32
	v_cvt_f32_f16_e32 v20, v21
	s_delay_alu instid0(VALU_DEP_4) | instskip(SKIP_4) | instid1(VALU_DEP_4)
	v_dual_fmac_f32 v38, v42, v34 :: v_dual_lshrrev_b32 v21, 16, v21
	v_fma_f32 v42, -v33, v43, v35
	v_fma_f32 v26, -v26, v40, v27
	v_fmac_f32_e32 v41, v39, v36
	v_cvt_f32_f16_e32 v13, v13
	v_dual_fma_f32 v27, -v28, v38, v29 :: v_dual_fmac_f32 v43, v42, v37
	s_delay_alu instid0(VALU_DEP_4) | instskip(NEXT) | instid1(VALU_DEP_4)
	v_div_fmas_f32 v26, v26, v30, v40
	v_fma_f32 v28, -v31, v41, v32
	s_mov_b32 vcc_lo, s2
	v_cvt_f32_f16_e32 v21, v21
	v_fma_f32 v29, -v33, v43, v35
	v_div_fixup_f32 v16, v26, v18, v16
	v_div_fmas_f32 v18, v28, v36, v41
	s_mov_b32 vcc_lo, s1
	v_div_fmas_f32 v26, v27, v34, v38
	s_mov_b32 vcc_lo, s3
	s_delay_alu instid0(VALU_DEP_2) | instskip(SKIP_3) | instid1(VALU_DEP_3)
	v_div_fixup_f32 v17, v18, v25, v17
	v_div_fmas_f32 v27, v29, v37, v43
	v_cmp_ge_i64_e32 vcc_lo, v[10:11], v[2:3]
	v_div_fixup_f32 v18, v26, v19, v23
	v_div_fixup_f32 v19, v27, v24, v22
	v_pk_add_f32 v[22:23], v[16:17], v[12:13]
	v_pk_fma_f32 v[12:13], v[6:7], v[16:17], v[12:13]
	s_or_b32 s14, vcc_lo, s14
	s_delay_alu instid0(VALU_DEP_3) | instskip(SKIP_1) | instid1(VALU_DEP_3)
	v_pk_add_f32 v[16:17], v[18:19], v[20:21]
	v_pk_fma_f32 v[18:19], v[4:5], v[18:19], v[20:21]
	v_dual_cndmask_b32 v13, v13, v23, s0 :: v_dual_cndmask_b32 v12, v12, v22, s0
	s_delay_alu instid0(VALU_DEP_2) | instskip(NEXT) | instid1(VALU_DEP_2)
	v_dual_cndmask_b32 v17, v19, v17, s0 :: v_dual_cndmask_b32 v16, v18, v16, s0
	v_cvt_pk_f16_f32 v10, v12, v13
	s_delay_alu instid0(VALU_DEP_2)
	v_cvt_pk_f16_f32 v11, v16, v17
	global_store_b64 v[14:15], v[10:11], off
	s_wait_xcnt 0x0
	s_and_not1_b32 exec_lo, exec_lo, s14
	s_cbranch_execnz .LBB130_32
.LBB130_33:
	s_endpgm
	.section	.rodata,"a",@progbits
	.p2align	6, 0x0
	.amdhsa_kernel _ZN2at6native12_GLOBAL__N_125multi_tensor_apply_kernelINS1_28TensorListScalarListMetadataIfLi3EEENS1_28PointwiseOpScalarListFunctorIN3c104HalfELi3ELi3ELi0EEEJSt7dividesIfEEEEvT_T0_DpT1_
		.amdhsa_group_segment_fixed_size 0
		.amdhsa_private_segment_fixed_size 0
		.amdhsa_kernarg_size 3592
		.amdhsa_user_sgpr_count 2
		.amdhsa_user_sgpr_dispatch_ptr 0
		.amdhsa_user_sgpr_queue_ptr 0
		.amdhsa_user_sgpr_kernarg_segment_ptr 1
		.amdhsa_user_sgpr_dispatch_id 0
		.amdhsa_user_sgpr_kernarg_preload_length 0
		.amdhsa_user_sgpr_kernarg_preload_offset 0
		.amdhsa_user_sgpr_private_segment_size 0
		.amdhsa_wavefront_size32 1
		.amdhsa_uses_dynamic_stack 0
		.amdhsa_enable_private_segment 0
		.amdhsa_system_sgpr_workgroup_id_x 1
		.amdhsa_system_sgpr_workgroup_id_y 0
		.amdhsa_system_sgpr_workgroup_id_z 0
		.amdhsa_system_sgpr_workgroup_info 0
		.amdhsa_system_vgpr_workitem_id 0
		.amdhsa_next_free_vgpr 53
		.amdhsa_next_free_sgpr 24
		.amdhsa_named_barrier_count 0
		.amdhsa_reserve_vcc 1
		.amdhsa_float_round_mode_32 0
		.amdhsa_float_round_mode_16_64 0
		.amdhsa_float_denorm_mode_32 3
		.amdhsa_float_denorm_mode_16_64 3
		.amdhsa_fp16_overflow 0
		.amdhsa_memory_ordered 1
		.amdhsa_forward_progress 1
		.amdhsa_inst_pref_size 20
		.amdhsa_round_robin_scheduling 0
		.amdhsa_exception_fp_ieee_invalid_op 0
		.amdhsa_exception_fp_denorm_src 0
		.amdhsa_exception_fp_ieee_div_zero 0
		.amdhsa_exception_fp_ieee_overflow 0
		.amdhsa_exception_fp_ieee_underflow 0
		.amdhsa_exception_fp_ieee_inexact 0
		.amdhsa_exception_int_div_zero 0
	.end_amdhsa_kernel
	.section	.text._ZN2at6native12_GLOBAL__N_125multi_tensor_apply_kernelINS1_28TensorListScalarListMetadataIfLi3EEENS1_28PointwiseOpScalarListFunctorIN3c104HalfELi3ELi3ELi0EEEJSt7dividesIfEEEEvT_T0_DpT1_,"axG",@progbits,_ZN2at6native12_GLOBAL__N_125multi_tensor_apply_kernelINS1_28TensorListScalarListMetadataIfLi3EEENS1_28PointwiseOpScalarListFunctorIN3c104HalfELi3ELi3ELi0EEEJSt7dividesIfEEEEvT_T0_DpT1_,comdat
.Lfunc_end130:
	.size	_ZN2at6native12_GLOBAL__N_125multi_tensor_apply_kernelINS1_28TensorListScalarListMetadataIfLi3EEENS1_28PointwiseOpScalarListFunctorIN3c104HalfELi3ELi3ELi0EEEJSt7dividesIfEEEEvT_T0_DpT1_, .Lfunc_end130-_ZN2at6native12_GLOBAL__N_125multi_tensor_apply_kernelINS1_28TensorListScalarListMetadataIfLi3EEENS1_28PointwiseOpScalarListFunctorIN3c104HalfELi3ELi3ELi0EEEJSt7dividesIfEEEEvT_T0_DpT1_
                                        ; -- End function
	.set _ZN2at6native12_GLOBAL__N_125multi_tensor_apply_kernelINS1_28TensorListScalarListMetadataIfLi3EEENS1_28PointwiseOpScalarListFunctorIN3c104HalfELi3ELi3ELi0EEEJSt7dividesIfEEEEvT_T0_DpT1_.num_vgpr, 53
	.set _ZN2at6native12_GLOBAL__N_125multi_tensor_apply_kernelINS1_28TensorListScalarListMetadataIfLi3EEENS1_28PointwiseOpScalarListFunctorIN3c104HalfELi3ELi3ELi0EEEJSt7dividesIfEEEEvT_T0_DpT1_.num_agpr, 0
	.set _ZN2at6native12_GLOBAL__N_125multi_tensor_apply_kernelINS1_28TensorListScalarListMetadataIfLi3EEENS1_28PointwiseOpScalarListFunctorIN3c104HalfELi3ELi3ELi0EEEJSt7dividesIfEEEEvT_T0_DpT1_.numbered_sgpr, 24
	.set _ZN2at6native12_GLOBAL__N_125multi_tensor_apply_kernelINS1_28TensorListScalarListMetadataIfLi3EEENS1_28PointwiseOpScalarListFunctorIN3c104HalfELi3ELi3ELi0EEEJSt7dividesIfEEEEvT_T0_DpT1_.num_named_barrier, 0
	.set _ZN2at6native12_GLOBAL__N_125multi_tensor_apply_kernelINS1_28TensorListScalarListMetadataIfLi3EEENS1_28PointwiseOpScalarListFunctorIN3c104HalfELi3ELi3ELi0EEEJSt7dividesIfEEEEvT_T0_DpT1_.private_seg_size, 0
	.set _ZN2at6native12_GLOBAL__N_125multi_tensor_apply_kernelINS1_28TensorListScalarListMetadataIfLi3EEENS1_28PointwiseOpScalarListFunctorIN3c104HalfELi3ELi3ELi0EEEJSt7dividesIfEEEEvT_T0_DpT1_.uses_vcc, 1
	.set _ZN2at6native12_GLOBAL__N_125multi_tensor_apply_kernelINS1_28TensorListScalarListMetadataIfLi3EEENS1_28PointwiseOpScalarListFunctorIN3c104HalfELi3ELi3ELi0EEEJSt7dividesIfEEEEvT_T0_DpT1_.uses_flat_scratch, 0
	.set _ZN2at6native12_GLOBAL__N_125multi_tensor_apply_kernelINS1_28TensorListScalarListMetadataIfLi3EEENS1_28PointwiseOpScalarListFunctorIN3c104HalfELi3ELi3ELi0EEEJSt7dividesIfEEEEvT_T0_DpT1_.has_dyn_sized_stack, 0
	.set _ZN2at6native12_GLOBAL__N_125multi_tensor_apply_kernelINS1_28TensorListScalarListMetadataIfLi3EEENS1_28PointwiseOpScalarListFunctorIN3c104HalfELi3ELi3ELi0EEEJSt7dividesIfEEEEvT_T0_DpT1_.has_recursion, 0
	.set _ZN2at6native12_GLOBAL__N_125multi_tensor_apply_kernelINS1_28TensorListScalarListMetadataIfLi3EEENS1_28PointwiseOpScalarListFunctorIN3c104HalfELi3ELi3ELi0EEEJSt7dividesIfEEEEvT_T0_DpT1_.has_indirect_call, 0
	.section	.AMDGPU.csdata,"",@progbits
; Kernel info:
; codeLenInByte = 2480
; TotalNumSgprs: 26
; NumVgprs: 53
; ScratchSize: 0
; MemoryBound: 0
; FloatMode: 240
; IeeeMode: 1
; LDSByteSize: 0 bytes/workgroup (compile time only)
; SGPRBlocks: 0
; VGPRBlocks: 3
; NumSGPRsForWavesPerEU: 26
; NumVGPRsForWavesPerEU: 53
; NamedBarCnt: 0
; Occupancy: 16
; WaveLimiterHint : 0
; COMPUTE_PGM_RSRC2:SCRATCH_EN: 0
; COMPUTE_PGM_RSRC2:USER_SGPR: 2
; COMPUTE_PGM_RSRC2:TRAP_HANDLER: 0
; COMPUTE_PGM_RSRC2:TGID_X_EN: 1
; COMPUTE_PGM_RSRC2:TGID_Y_EN: 0
; COMPUTE_PGM_RSRC2:TGID_Z_EN: 0
; COMPUTE_PGM_RSRC2:TIDIG_COMP_CNT: 0
	.section	.text._ZN2at6native12_GLOBAL__N_125multi_tensor_apply_kernelINS1_28TensorListScalarListMetadataIfLi3EEENS1_28PointwiseOpScalarListFunctorIN3c108BFloat16ELi3ELi3ELi0EEEJSt7dividesIfEEEEvT_T0_DpT1_,"axG",@progbits,_ZN2at6native12_GLOBAL__N_125multi_tensor_apply_kernelINS1_28TensorListScalarListMetadataIfLi3EEENS1_28PointwiseOpScalarListFunctorIN3c108BFloat16ELi3ELi3ELi0EEEJSt7dividesIfEEEEvT_T0_DpT1_,comdat
	.globl	_ZN2at6native12_GLOBAL__N_125multi_tensor_apply_kernelINS1_28TensorListScalarListMetadataIfLi3EEENS1_28PointwiseOpScalarListFunctorIN3c108BFloat16ELi3ELi3ELi0EEEJSt7dividesIfEEEEvT_T0_DpT1_ ; -- Begin function _ZN2at6native12_GLOBAL__N_125multi_tensor_apply_kernelINS1_28TensorListScalarListMetadataIfLi3EEENS1_28PointwiseOpScalarListFunctorIN3c108BFloat16ELi3ELi3ELi0EEEJSt7dividesIfEEEEvT_T0_DpT1_
	.p2align	8
	.type	_ZN2at6native12_GLOBAL__N_125multi_tensor_apply_kernelINS1_28TensorListScalarListMetadataIfLi3EEENS1_28PointwiseOpScalarListFunctorIN3c108BFloat16ELi3ELi3ELi0EEEJSt7dividesIfEEEEvT_T0_DpT1_,@function
_ZN2at6native12_GLOBAL__N_125multi_tensor_apply_kernelINS1_28TensorListScalarListMetadataIfLi3EEENS1_28PointwiseOpScalarListFunctorIN3c108BFloat16ELi3ELi3ELi0EEEJSt7dividesIfEEEEvT_T0_DpT1_: ; @_ZN2at6native12_GLOBAL__N_125multi_tensor_apply_kernelINS1_28TensorListScalarListMetadataIfLi3EEENS1_28PointwiseOpScalarListFunctorIN3c108BFloat16ELi3ELi3ELi0EEEJSt7dividesIfEEEEvT_T0_DpT1_
; %bb.0:
	s_bfe_u32 s2, ttmp6, 0x4000c
	s_and_b32 s3, ttmp6, 15
	s_add_co_i32 s2, s2, 1
	s_getreg_b32 s4, hwreg(HW_REG_IB_STS2, 6, 4)
	s_mul_i32 s2, ttmp9, s2
	s_delay_alu instid0(SALU_CYCLE_1)
	s_add_co_i32 s3, s3, s2
	s_cmp_eq_u32 s4, 0
	s_cselect_b32 s2, ttmp9, s3
	s_mov_b32 s3, 0
	s_load_u8 s20, s[0:1], s2 offset:0x6c0
	s_add_nc_u64 s[4:5], s[0:1], s[2:3]
	s_mul_u64 s[6:7], s[2:3], 3
	s_delay_alu instid0(SALU_CYCLE_1)
	s_add_nc_u64 s[4:5], s[4:5], s[6:7]
	s_load_b32 s16, s[4:5], 0x800
	s_wait_kmcnt 0x0
	s_clause 0x3
	s_load_b64 s[6:7], s[0:1], s20 offset:0x180 scale_offset
	s_load_b64 s[8:9], s[0:1], s20 offset:0x300 scale_offset
	;; [unrolled: 1-line block ×4, first 2 shown]
	s_lshl_b32 s2, s20, 3
	s_ashr_i32 s17, s16, 31
	s_delay_alu instid0(SALU_CYCLE_1) | instskip(SKIP_3) | instid1(SALU_CYCLE_1)
	s_lshl_b64 s[12:13], s[16:17], 17
	s_wait_kmcnt 0x0
	s_and_b64 s[18:19], s[10:11], 7
	s_add_nc_u64 s[14:15], s[6:7], s[12:13]
	s_or_b32 s14, s8, s14
	s_delay_alu instid0(SALU_CYCLE_1) | instskip(NEXT) | instid1(SALU_CYCLE_1)
	s_and_b32 s14, s14, 7
	s_cmp_eq_u32 s14, 0
	s_add_nc_u64 s[14:15], s[0:1], s[2:3]
	s_cselect_b32 s22, -1, 0
	s_lshl_b32 s2, s20, 2
	s_lshl_b64 s[16:17], s[16:17], 16
	s_sub_nc_u64 s[20:21], 0, s[2:3]
	s_and_b32 s2, s4, 3
	s_add_nc_u64 s[14:15], s[14:15], s[20:21]
	s_or_b64 s[2:3], s[18:19], s[2:3]
	s_load_b32 s14, s[14:15], 0x600
	s_cmp_eq_u64 s[2:3], 0
	s_sub_nc_u64 s[16:17], s[4:5], s[16:17]
	s_cselect_b32 s2, -1, 0
	s_delay_alu instid0(SALU_CYCLE_1) | instskip(NEXT) | instid1(SALU_CYCLE_1)
	s_and_b32 s2, s22, s2
	s_and_b32 vcc_lo, exec_lo, s2
	s_mov_b32 s2, -1
	s_cbranch_vccnz .LBB131_29
; %bb.1:
	v_cmp_lt_i64_e64 s2, s[16:17], 1
	s_and_b32 vcc_lo, exec_lo, s2
	s_cbranch_vccnz .LBB131_28
; %bb.2:
	s_load_b32 s2, s[0:1], 0xd14
	v_min_i64 v[2:3], 0x10000, s[16:17]
	v_min_u64 v[4:5], 0x10000, s[16:17]
	v_dual_mov_b32 v1, 0 :: v_dual_lshlrev_b32 v16, 1, v0
	s_mov_b32 s21, 0
	s_delay_alu instid0(SALU_CYCLE_1) | instskip(NEXT) | instid1(VALU_DEP_1)
	s_mov_b32 s19, s21
	v_dual_mov_b32 v17, v1 :: v_dual_mov_b32 v35, v1
	s_mov_b32 s5, s21
	s_mov_b32 s23, s21
	s_delay_alu instid0(VALU_DEP_1) | instskip(SKIP_4) | instid1(SALU_CYCLE_1)
	v_add_nc_u64_e32 v[6:7], s[10:11], v[16:17]
	v_add_nc_u64_e32 v[8:9], s[6:7], v[16:17]
	;; [unrolled: 1-line block ×3, first 2 shown]
	s_wait_kmcnt 0x0
	s_and_b32 s20, s2, 0xffff
	s_lshl_b32 s4, s20, 1
	s_cmp_eq_f32 s14, 1.0
	v_add_nc_u64_e32 v[10:11], s[20:21], v[0:1]
	v_mad_nc_u64_u32 v[22:23], s20, 6, v[16:17]
	s_mul_i32 s22, s20, 3
	s_cselect_b32 s2, -1, 0
	s_lshl_b32 s18, s20, 2
	v_add_nc_u64_e32 v[14:15], s[22:23], v[0:1]
	v_add_nc_u64_e32 v[32:33], s[18:19], v[16:17]
	v_lshlrev_b32_e32 v34, 1, v10
	v_add_nc_u64_e32 v[16:17], s[4:5], v[0:1]
	s_lshl_b32 s20, s20, 3
	s_mov_b64 s[22:23], 0
	v_add_nc_u64_e32 v[18:19], s[10:11], v[22:23]
	v_add_nc_u64_e32 v[20:21], s[6:7], v[22:23]
	;; [unrolled: 1-line block ×9, first 2 shown]
	s_branch .LBB131_4
.LBB131_3:                              ;   in Loop: Header=BB131_4 Depth=1
	s_wait_xcnt 0x0
	s_or_b32 exec_lo, exec_lo, s3
	s_add_nc_u64 s[22:23], s[22:23], s[18:19]
	v_add_nc_u64_e32 v[6:7], s[20:21], v[6:7]
	v_cmp_lt_i64_e32 vcc_lo, s[22:23], v[2:3]
	v_add_nc_u64_e32 v[8:9], s[20:21], v[8:9]
	v_add_nc_u64_e32 v[12:13], s[20:21], v[12:13]
	;; [unrolled: 1-line block ×11, first 2 shown]
	s_cbranch_vccz .LBB131_28
.LBB131_4:                              ; =>This Inner Loop Header: Depth=1
	v_add_nc_u64_e32 v[36:37], s[22:23], v[0:1]
	v_dual_mov_b32 v39, 0 :: v_dual_mov_b32 v38, 0
	s_delay_alu instid0(VALU_DEP_2)
	v_cmp_lt_u64_e32 vcc_lo, v[36:37], v[4:5]
	s_and_saveexec_b32 s3, vcc_lo
	s_cbranch_execz .LBB131_6
; %bb.5:                                ;   in Loop: Header=BB131_4 Depth=1
	v_add_nc_u64_e32 v[36:37], s[12:13], v[8:9]
	v_add_nc_u64_e32 v[38:39], s[12:13], v[6:7]
	global_load_u16 v40, v[36:37], off
	global_load_u16 v41, v[38:39], off
	s_wait_loadcnt 0x0
	s_wait_xcnt 0x0
	v_dual_lshlrev_b32 v39, 16, v40 :: v_dual_lshlrev_b32 v38, 16, v41
.LBB131_6:                              ;   in Loop: Header=BB131_4 Depth=1
	s_or_b32 exec_lo, exec_lo, s3
	v_dual_mov_b32 v36, 0 :: v_dual_mov_b32 v44, 0
	s_and_saveexec_b32 s3, vcc_lo
	s_cbranch_execz .LBB131_8
; %bb.7:                                ;   in Loop: Header=BB131_4 Depth=1
	v_add_nc_u64_e32 v[40:41], s[12:13], v[12:13]
	global_load_u16 v37, v[40:41], off
	s_wait_loadcnt 0x0
	v_lshlrev_b32_e32 v44, 16, v37
.LBB131_8:                              ;   in Loop: Header=BB131_4 Depth=1
	s_wait_xcnt 0x0
	s_or_b32 exec_lo, exec_lo, s3
	v_add_nc_u64_e32 v[40:41], s[22:23], v[10:11]
	s_delay_alu instid0(VALU_DEP_1)
	v_cmp_lt_u64_e64 s3, v[40:41], v[4:5]
	v_mov_b32_e32 v41, 0
	s_and_saveexec_b32 s4, s3
	s_cbranch_execz .LBB131_10
; %bb.9:                                ;   in Loop: Header=BB131_4 Depth=1
	v_add_nc_u64_e32 v[36:37], s[12:13], v[26:27]
	v_add_nc_u64_e32 v[40:41], s[12:13], v[24:25]
	global_load_u16 v42, v[36:37], off
	global_load_u16 v43, v[40:41], off
	s_wait_loadcnt 0x0
	s_wait_xcnt 0x0
	v_dual_lshlrev_b32 v36, 16, v42 :: v_dual_lshlrev_b32 v41, 16, v43
.LBB131_10:                             ;   in Loop: Header=BB131_4 Depth=1
	s_or_b32 exec_lo, exec_lo, s4
	v_dual_mov_b32 v37, 0 :: v_dual_mov_b32 v45, 0
	s_and_saveexec_b32 s4, s3
	s_cbranch_execz .LBB131_12
; %bb.11:                               ;   in Loop: Header=BB131_4 Depth=1
	v_add_nc_u64_e32 v[42:43], s[12:13], v[34:35]
	global_load_u16 v40, v[42:43], off
	s_wait_loadcnt 0x0
	v_lshlrev_b32_e32 v45, 16, v40
.LBB131_12:                             ;   in Loop: Header=BB131_4 Depth=1
	s_wait_xcnt 0x0
	s_or_b32 exec_lo, exec_lo, s4
	v_add_nc_u64_e32 v[42:43], s[22:23], v[16:17]
	s_delay_alu instid0(VALU_DEP_1)
	v_cmp_lt_u64_e64 s4, v[42:43], v[4:5]
	v_mov_b32_e32 v42, 0
	s_and_saveexec_b32 s5, s4
	s_cbranch_execz .LBB131_14
; %bb.13:                               ;   in Loop: Header=BB131_4 Depth=1
	v_add_nc_u64_e32 v[42:43], s[12:13], v[30:31]
	v_add_nc_u64_e32 v[46:47], s[12:13], v[28:29]
	global_load_u16 v37, v[42:43], off
	global_load_u16 v40, v[46:47], off
	s_wait_loadcnt 0x0
	s_wait_xcnt 0x1
	v_dual_lshlrev_b32 v37, 16, v37 :: v_dual_lshlrev_b32 v42, 16, v40
.LBB131_14:                             ;   in Loop: Header=BB131_4 Depth=1
	s_wait_xcnt 0x0
	s_or_b32 exec_lo, exec_lo, s5
	v_dual_mov_b32 v40, 0 :: v_dual_mov_b32 v46, 0
	s_and_saveexec_b32 s5, s4
	s_cbranch_execz .LBB131_16
; %bb.15:                               ;   in Loop: Header=BB131_4 Depth=1
	v_add_nc_u64_e32 v[46:47], s[12:13], v[32:33]
	global_load_u16 v43, v[46:47], off
	s_wait_loadcnt 0x0
	s_wait_xcnt 0x0
	v_lshlrev_b32_e32 v46, 16, v43
.LBB131_16:                             ;   in Loop: Header=BB131_4 Depth=1
	s_or_b32 exec_lo, exec_lo, s5
	v_add_nc_u64_e32 v[48:49], s[22:23], v[14:15]
	v_mov_b32_e32 v43, 0
	s_delay_alu instid0(VALU_DEP_2)
	v_cmp_lt_u64_e64 s5, v[48:49], v[4:5]
	s_and_saveexec_b32 s15, s5
	s_cbranch_execnz .LBB131_22
; %bb.17:                               ;   in Loop: Header=BB131_4 Depth=1
	s_or_b32 exec_lo, exec_lo, s15
	v_mov_b32_e32 v47, 0
	s_and_saveexec_b32 s15, s5
	s_cbranch_execnz .LBB131_23
.LBB131_18:                             ;   in Loop: Header=BB131_4 Depth=1
	s_or_b32 exec_lo, exec_lo, s15
	s_and_saveexec_b32 s15, vcc_lo
	s_cbranch_execnz .LBB131_24
.LBB131_19:                             ;   in Loop: Header=BB131_4 Depth=1
	s_or_b32 exec_lo, exec_lo, s15
	s_and_saveexec_b32 s15, s3
	s_cbranch_execnz .LBB131_25
.LBB131_20:                             ;   in Loop: Header=BB131_4 Depth=1
	s_or_b32 exec_lo, exec_lo, s15
	s_and_saveexec_b32 s3, s4
	s_cbranch_execnz .LBB131_26
.LBB131_21:                             ;   in Loop: Header=BB131_4 Depth=1
	s_or_b32 exec_lo, exec_lo, s3
	s_and_saveexec_b32 s3, s5
	s_cbranch_execz .LBB131_3
	s_branch .LBB131_27
.LBB131_22:                             ;   in Loop: Header=BB131_4 Depth=1
	v_add_nc_u64_e32 v[48:49], s[12:13], v[20:21]
	v_add_nc_u64_e32 v[50:51], s[12:13], v[18:19]
	global_load_u16 v40, v[48:49], off
	global_load_u16 v43, v[50:51], off
	s_wait_loadcnt 0x0
	v_dual_lshlrev_b32 v40, 16, v40 :: v_dual_lshlrev_b32 v43, 16, v43
	s_wait_xcnt 0x0
	s_or_b32 exec_lo, exec_lo, s15
	v_mov_b32_e32 v47, 0
	s_and_saveexec_b32 s15, s5
	s_cbranch_execz .LBB131_18
.LBB131_23:                             ;   in Loop: Header=BB131_4 Depth=1
	v_add_nc_u64_e32 v[48:49], s[12:13], v[22:23]
	global_load_u16 v47, v[48:49], off
	s_wait_loadcnt 0x0
	v_lshlrev_b32_e32 v47, 16, v47
	s_wait_xcnt 0x0
	s_or_b32 exec_lo, exec_lo, s15
	s_and_saveexec_b32 s15, vcc_lo
	s_cbranch_execz .LBB131_19
.LBB131_24:                             ;   in Loop: Header=BB131_4 Depth=1
	v_div_scale_f32 v48, null, v44, v44, v39
	v_div_scale_f32 v51, vcc_lo, v39, v44, v39
	s_delay_alu instid0(VALU_DEP_2) | instskip(SKIP_1) | instid1(TRANS32_DEP_1)
	v_rcp_f32_e32 v49, v48
	v_nop
	v_fma_f32 v50, -v48, v49, 1.0
	s_delay_alu instid0(VALU_DEP_1) | instskip(NEXT) | instid1(VALU_DEP_1)
	v_fmac_f32_e32 v49, v50, v49
	v_mul_f32_e32 v50, v51, v49
	s_delay_alu instid0(VALU_DEP_1) | instskip(NEXT) | instid1(VALU_DEP_1)
	v_fma_f32 v52, -v48, v50, v51
	v_fmac_f32_e32 v50, v52, v49
	s_delay_alu instid0(VALU_DEP_1) | instskip(NEXT) | instid1(VALU_DEP_1)
	v_fma_f32 v48, -v48, v50, v51
	v_div_fmas_f32 v48, v48, v49, v50
	s_delay_alu instid0(VALU_DEP_1) | instskip(NEXT) | instid1(VALU_DEP_1)
	v_div_fixup_f32 v39, v48, v44, v39
	v_dual_add_f32 v44, v38, v39 :: v_dual_fmac_f32 v38, s14, v39
	s_delay_alu instid0(VALU_DEP_1) | instskip(NEXT) | instid1(VALU_DEP_1)
	v_cndmask_b32_e64 v44, v38, v44, s2
	v_bfe_u32 v38, v44, 16, 1
	v_cmp_o_f32_e32 vcc_lo, v44, v44
	s_delay_alu instid0(VALU_DEP_2) | instskip(NEXT) | instid1(VALU_DEP_1)
	v_add3_u32 v38, v44, v38, 0x7fff
	v_lshrrev_b32_e32 v48, 16, v38
	v_add_nc_u64_e32 v[38:39], s[12:13], v[6:7]
	s_delay_alu instid0(VALU_DEP_2)
	v_cndmask_b32_e32 v44, 0x7fc0, v48, vcc_lo
	global_store_b16 v[38:39], v44, off
	s_wait_xcnt 0x0
	s_or_b32 exec_lo, exec_lo, s15
	s_and_saveexec_b32 s15, s3
	s_cbranch_execz .LBB131_20
.LBB131_25:                             ;   in Loop: Header=BB131_4 Depth=1
	v_div_scale_f32 v38, null, v45, v45, v36
	v_div_scale_f32 v48, vcc_lo, v36, v45, v36
	s_delay_alu instid0(VALU_DEP_2) | instskip(SKIP_1) | instid1(TRANS32_DEP_1)
	v_rcp_f32_e32 v39, v38
	v_nop
	v_fma_f32 v44, -v38, v39, 1.0
	s_delay_alu instid0(VALU_DEP_1) | instskip(NEXT) | instid1(VALU_DEP_1)
	v_fmac_f32_e32 v39, v44, v39
	v_mul_f32_e32 v44, v48, v39
	s_delay_alu instid0(VALU_DEP_1) | instskip(NEXT) | instid1(VALU_DEP_1)
	v_fma_f32 v49, -v38, v44, v48
	v_fmac_f32_e32 v44, v49, v39
	s_delay_alu instid0(VALU_DEP_1) | instskip(NEXT) | instid1(VALU_DEP_1)
	v_fma_f32 v38, -v38, v44, v48
	v_div_fmas_f32 v38, v38, v39, v44
	s_delay_alu instid0(VALU_DEP_1) | instskip(NEXT) | instid1(VALU_DEP_1)
	v_div_fixup_f32 v36, v38, v45, v36
	v_dual_add_f32 v38, v41, v36 :: v_dual_fmac_f32 v41, s14, v36
	s_delay_alu instid0(VALU_DEP_1) | instskip(NEXT) | instid1(VALU_DEP_1)
	v_cndmask_b32_e64 v36, v41, v38, s2
	v_bfe_u32 v38, v36, 16, 1
	s_delay_alu instid0(VALU_DEP_1) | instskip(NEXT) | instid1(VALU_DEP_1)
	v_add3_u32 v38, v36, v38, 0x7fff
	v_lshrrev_b32_e32 v41, 16, v38
	v_cmp_o_f32_e32 vcc_lo, v36, v36
	v_add_nc_u64_e32 v[38:39], s[12:13], v[24:25]
	s_delay_alu instid0(VALU_DEP_3)
	v_cndmask_b32_e32 v36, 0x7fc0, v41, vcc_lo
	global_store_b16 v[38:39], v36, off
	s_wait_xcnt 0x0
	s_or_b32 exec_lo, exec_lo, s15
	s_and_saveexec_b32 s3, s4
	s_cbranch_execz .LBB131_21
.LBB131_26:                             ;   in Loop: Header=BB131_4 Depth=1
	v_div_scale_f32 v36, null, v46, v46, v37
	v_div_scale_f32 v41, vcc_lo, v37, v46, v37
	s_delay_alu instid0(VALU_DEP_2) | instskip(SKIP_1) | instid1(TRANS32_DEP_1)
	v_rcp_f32_e32 v38, v36
	v_nop
	v_fma_f32 v39, -v36, v38, 1.0
	s_delay_alu instid0(VALU_DEP_1) | instskip(NEXT) | instid1(VALU_DEP_1)
	v_fmac_f32_e32 v38, v39, v38
	v_mul_f32_e32 v39, v41, v38
	s_delay_alu instid0(VALU_DEP_1) | instskip(NEXT) | instid1(VALU_DEP_1)
	v_fma_f32 v44, -v36, v39, v41
	v_fmac_f32_e32 v39, v44, v38
	s_delay_alu instid0(VALU_DEP_1) | instskip(NEXT) | instid1(VALU_DEP_1)
	v_fma_f32 v36, -v36, v39, v41
	v_div_fmas_f32 v36, v36, v38, v39
	s_delay_alu instid0(VALU_DEP_1) | instskip(NEXT) | instid1(VALU_DEP_1)
	v_div_fixup_f32 v36, v36, v46, v37
	v_dual_add_f32 v37, v42, v36 :: v_dual_fmac_f32 v42, s14, v36
	s_delay_alu instid0(VALU_DEP_1) | instskip(NEXT) | instid1(VALU_DEP_1)
	v_cndmask_b32_e64 v38, v42, v37, s2
	v_bfe_u32 v36, v38, 16, 1
	v_cmp_o_f32_e32 vcc_lo, v38, v38
	s_delay_alu instid0(VALU_DEP_2) | instskip(NEXT) | instid1(VALU_DEP_1)
	v_add3_u32 v36, v38, v36, 0x7fff
	v_lshrrev_b32_e32 v39, 16, v36
	v_add_nc_u64_e32 v[36:37], s[12:13], v[28:29]
	s_delay_alu instid0(VALU_DEP_2)
	v_cndmask_b32_e32 v38, 0x7fc0, v39, vcc_lo
	global_store_b16 v[36:37], v38, off
	s_wait_xcnt 0x0
	s_or_b32 exec_lo, exec_lo, s3
	s_and_saveexec_b32 s3, s5
	s_cbranch_execz .LBB131_3
.LBB131_27:                             ;   in Loop: Header=BB131_4 Depth=1
	v_div_scale_f32 v36, null, v47, v47, v40
	v_div_scale_f32 v39, vcc_lo, v40, v47, v40
	s_delay_alu instid0(VALU_DEP_2) | instskip(SKIP_1) | instid1(TRANS32_DEP_1)
	v_rcp_f32_e32 v37, v36
	v_nop
	v_fma_f32 v38, -v36, v37, 1.0
	s_delay_alu instid0(VALU_DEP_1) | instskip(NEXT) | instid1(VALU_DEP_1)
	v_fmac_f32_e32 v37, v38, v37
	v_mul_f32_e32 v38, v39, v37
	s_delay_alu instid0(VALU_DEP_1) | instskip(NEXT) | instid1(VALU_DEP_1)
	v_fma_f32 v41, -v36, v38, v39
	v_fmac_f32_e32 v38, v41, v37
	s_delay_alu instid0(VALU_DEP_1) | instskip(NEXT) | instid1(VALU_DEP_1)
	v_fma_f32 v36, -v36, v38, v39
	v_div_fmas_f32 v36, v36, v37, v38
	s_delay_alu instid0(VALU_DEP_1) | instskip(NEXT) | instid1(VALU_DEP_1)
	v_div_fixup_f32 v36, v36, v47, v40
	v_dual_add_f32 v37, v43, v36 :: v_dual_fmac_f32 v43, s14, v36
	s_delay_alu instid0(VALU_DEP_1) | instskip(NEXT) | instid1(VALU_DEP_1)
	v_cndmask_b32_e64 v38, v43, v37, s2
	v_bfe_u32 v36, v38, 16, 1
	v_cmp_o_f32_e32 vcc_lo, v38, v38
	s_delay_alu instid0(VALU_DEP_2) | instskip(NEXT) | instid1(VALU_DEP_1)
	v_add3_u32 v36, v38, v36, 0x7fff
	v_lshrrev_b32_e32 v39, 16, v36
	v_add_nc_u64_e32 v[36:37], s[12:13], v[18:19]
	s_delay_alu instid0(VALU_DEP_2)
	v_cndmask_b32_e32 v38, 0x7fc0, v39, vcc_lo
	global_store_b16 v[36:37], v38, off
	s_branch .LBB131_3
.LBB131_28:
	s_mov_b32 s2, 0
.LBB131_29:
	s_delay_alu instid0(SALU_CYCLE_1)
	s_and_not1_b32 vcc_lo, exec_lo, s2
	s_cbranch_vccnz .LBB131_33
; %bb.30:
	v_min_i64 v[2:3], 0x10000, s[16:17]
	v_dual_mov_b32 v7, 0 :: v_dual_lshlrev_b32 v6, 2, v0
	s_mov_b32 s2, exec_lo
	s_delay_alu instid0(VALU_DEP_1)
	v_cmpx_lt_i64_e64 v[6:7], v[2:3]
	s_cbranch_execz .LBB131_33
; %bb.31:
	s_load_b32 s1, s[0:1], 0xd14
	v_dual_mov_b32 v1, v7 :: v_dual_lshlrev_b32 v6, 3, v0
	s_wait_kmcnt 0x0
	s_mov_b32 s15, s14
	s_cmp_eq_f32 s14, 1.0
	v_mov_b64_e32 v[4:5], s[14:15]
	s_mov_b32 s5, 0
	v_add_nc_u64_e32 v[6:7], s[12:13], v[6:7]
	s_cselect_b32 s0, -1, 0
	s_mov_b32 s13, s5
	s_mov_b32 s14, s5
	s_and_b32 s4, s1, 0xffff
	s_delay_alu instid0(SALU_CYCLE_1)
	s_lshl_b32 s12, s4, 3
.LBB131_32:                             ; =>This Inner Loop Header: Depth=1
	s_delay_alu instid0(VALU_DEP_1)
	v_add_nc_u64_e32 v[8:9], s[6:7], v[6:7]
	v_add_nc_u64_e32 v[10:11], s[8:9], v[6:7]
	;; [unrolled: 1-line block ×5, first 2 shown]
	global_load_b64 v[14:15], v[8:9], off
	global_load_b64 v[16:17], v[10:11], off
	;; [unrolled: 1-line block ×3, first 2 shown]
	s_wait_xcnt 0x2
	v_lshlrev_b64_e32 v[8:9], 2, v[0:1]
	s_wait_loadcnt 0x2
	v_and_b32_e32 v22, 0xffff0000, v14
	s_wait_loadcnt 0x1
	v_and_b32_e32 v23, 0xffff0000, v16
	s_wait_loadcnt 0x0
	s_wait_xcnt 0x1
	v_dual_lshlrev_b32 v11, 16, v18 :: v_dual_lshlrev_b32 v21, 16, v16
	v_alignbit_b32 v24, v19, v18, 16
	v_and_b32_e32 v25, 0xffff0000, v15
	v_div_scale_f32 v27, null, v23, v23, v22
	v_and_b32_e32 v10, 0xffff0000, v18
	v_and_b32_e32 v18, 0xffff0000, v19
	;; [unrolled: 1-line block ×3, first 2 shown]
	s_delay_alu instid0(VALU_DEP_4) | instskip(SKIP_1) | instid1(TRANS32_DEP_1)
	v_rcp_f32_e32 v31, v27
	v_div_scale_f32 v28, s1, v22, v23, v22
	v_fma_f32 v37, -v27, v31, 1.0
	v_lshlrev_b32_e32 v20, 16, v14
	v_alignbit_b32 v14, v15, v14, 16
	v_alignbit_b32 v15, v17, v16, 16
	v_and_b32_e32 v16, 0xffff0000, v17
	v_fmac_f32_e32 v31, v37, v31
	v_div_scale_f32 v17, null, v21, v21, v20
	v_and_b32_e32 v24, 0xffff0000, v14
	v_and_b32_e32 v29, 0xffff0000, v15
	v_div_scale_f32 v14, null, v16, v16, v25
	s_delay_alu instid0(VALU_DEP_4) | instskip(SKIP_1) | instid1(VALU_DEP_3)
	v_rcp_f32_e32 v30, v17
	v_div_scale_f32 v26, vcc_lo, v20, v21, v20
	v_div_scale_f32 v32, null, v29, v29, v24
	s_delay_alu instid0(VALU_DEP_3) | instskip(SKIP_1) | instid1(TRANS32_DEP_2)
	v_rcp_f32_e32 v33, v14
	v_div_scale_f32 v15, s2, v25, v16, v25
	v_fma_f32 v36, -v17, v30, 1.0
	s_delay_alu instid0(VALU_DEP_3) | instskip(SKIP_1) | instid1(TRANS32_DEP_2)
	v_rcp_f32_e32 v35, v32
	v_div_scale_f32 v34, s3, v24, v29, v24
	v_fma_f32 v38, -v14, v33, 1.0
	s_delay_alu instid0(VALU_DEP_3) | instskip(NEXT) | instid1(TRANS32_DEP_1)
	v_fmac_f32_e32 v30, v36, v30
	v_fma_f32 v36, -v32, v35, 1.0
	s_delay_alu instid0(VALU_DEP_3) | instskip(NEXT) | instid1(VALU_DEP_3)
	v_fmac_f32_e32 v33, v38, v33
	v_dual_mul_f32 v37, v26, v30 :: v_dual_mul_f32 v38, v28, v31
	s_delay_alu instid0(VALU_DEP_2) | instskip(NEXT) | instid1(VALU_DEP_2)
	v_dual_fmac_f32 v35, v36, v35 :: v_dual_mul_f32 v36, v15, v33
	v_dual_fma_f32 v39, -v17, v37, v26 :: v_dual_fma_f32 v40, -v27, v38, v28
	s_delay_alu instid0(VALU_DEP_2) | instskip(NEXT) | instid1(VALU_DEP_2)
	v_mul_f32_e32 v41, v34, v35
	v_dual_fma_f32 v42, -v14, v36, v15 :: v_dual_fmac_f32 v37, v39, v30
	s_delay_alu instid0(VALU_DEP_3) | instskip(NEXT) | instid1(VALU_DEP_3)
	v_fmac_f32_e32 v38, v40, v31
	v_fma_f32 v39, -v32, v41, v34
	s_delay_alu instid0(VALU_DEP_2) | instskip(NEXT) | instid1(VALU_DEP_2)
	v_dual_fma_f32 v17, -v17, v37, v26 :: v_dual_fma_f32 v26, -v27, v38, v28
	v_dual_fmac_f32 v36, v42, v33 :: v_dual_fmac_f32 v41, v39, v35
	s_delay_alu instid0(VALU_DEP_1) | instskip(NEXT) | instid1(VALU_DEP_3)
	v_fma_f32 v27, -v14, v36, v15
	v_div_fmas_f32 v14, v17, v30, v37
	s_mov_b32 vcc_lo, s1
	v_div_fmas_f32 v26, v26, v31, v38
	s_mov_b32 vcc_lo, s3
	s_delay_alu instid0(VALU_DEP_2) | instskip(NEXT) | instid1(VALU_DEP_2)
	v_div_fixup_f32 v15, v14, v21, v20
	v_div_fixup_f32 v14, v26, v23, v22
	s_delay_alu instid0(VALU_DEP_1) | instskip(SKIP_1) | instid1(VALU_DEP_1)
	v_pk_add_f32 v[20:21], v[14:15], v[10:11]
	v_pk_fma_f32 v[10:11], v[4:5], v[14:15], v[10:11]
	v_dual_fma_f32 v17, -v32, v41, v34 :: v_dual_cndmask_b32 v20, v10, v20, s0
	s_delay_alu instid0(VALU_DEP_1) | instskip(SKIP_2) | instid1(VALU_DEP_3)
	v_div_fmas_f32 v17, v17, v35, v41
	s_mov_b32 vcc_lo, s2
	v_div_fmas_f32 v22, v27, v33, v36
	v_cmp_o_f32_e32 vcc_lo, v20, v20
	s_delay_alu instid0(VALU_DEP_3) | instskip(NEXT) | instid1(VALU_DEP_3)
	v_div_fixup_f32 v17, v17, v29, v24
	v_div_fixup_f32 v16, v22, v16, v25
	s_delay_alu instid0(VALU_DEP_1) | instskip(SKIP_3) | instid1(VALU_DEP_2)
	v_pk_fma_f32 v[14:15], v[4:5], v[16:17], v[18:19]
	v_cndmask_b32_e64 v21, v11, v21, s0
	v_pk_add_f32 v[10:11], v[16:17], v[18:19]
	v_bfe_u32 v17, v20, 16, 1
	v_cndmask_b32_e64 v10, v14, v10, s0
	s_delay_alu instid0(VALU_DEP_4) | instskip(SKIP_1) | instid1(VALU_DEP_2)
	v_bfe_u32 v16, v21, 16, 1
	v_cmp_o_f32_e64 s1, v21, v21
	v_add3_u32 v14, v21, v16, 0x7fff
	v_cndmask_b32_e64 v11, v15, v11, s0
	v_add3_u32 v15, v20, v17, 0x7fff
	v_bfe_u32 v17, v10, 16, 1
	s_delay_alu instid0(VALU_DEP_4) | instskip(NEXT) | instid1(VALU_DEP_4)
	v_lshrrev_b32_e32 v14, 16, v14
	v_bfe_u32 v16, v11, 16, 1
	s_delay_alu instid0(VALU_DEP_4) | instskip(NEXT) | instid1(VALU_DEP_4)
	v_and_b32_e32 v15, 0xffff0000, v15
	v_add3_u32 v17, v10, v17, 0x7fff
	s_delay_alu instid0(VALU_DEP_4) | instskip(NEXT) | instid1(VALU_DEP_4)
	v_cndmask_b32_e64 v14, 0x7fc0, v14, s1
	v_add3_u32 v16, v11, v16, 0x7fff
	s_delay_alu instid0(VALU_DEP_4) | instskip(NEXT) | instid1(VALU_DEP_4)
	v_cndmask_b32_e32 v15, 0x7fc00000, v15, vcc_lo
	v_and_b32_e32 v17, 0xffff0000, v17
	v_cmp_o_f32_e32 vcc_lo, v10, v10
	v_cmp_o_f32_e64 s1, v11, v11
	s_delay_alu instid0(VALU_DEP_4) | instskip(NEXT) | instid1(VALU_DEP_4)
	v_dual_lshrrev_b32 v16, 16, v16 :: v_dual_bitop2_b32 v14, v14, v15 bitop3:0x54
	v_cndmask_b32_e32 v11, 0x7fc00000, v17, vcc_lo
	v_cmp_ge_i64_e32 vcc_lo, v[8:9], v[2:3]
	s_delay_alu instid0(VALU_DEP_3) | instskip(NEXT) | instid1(VALU_DEP_4)
	v_cndmask_b32_e64 v10, 0x7fc0, v16, s1
	v_or3_b32 v8, v14, 0, 0
	s_delay_alu instid0(VALU_DEP_2)
	v_or3_b32 v9, 0, v10, v11
	s_or_b32 s14, vcc_lo, s14
	global_store_b64 v[12:13], v[8:9], off
	s_wait_xcnt 0x0
	s_and_not1_b32 exec_lo, exec_lo, s14
	s_cbranch_execnz .LBB131_32
.LBB131_33:
	s_endpgm
	.section	.rodata,"a",@progbits
	.p2align	6, 0x0
	.amdhsa_kernel _ZN2at6native12_GLOBAL__N_125multi_tensor_apply_kernelINS1_28TensorListScalarListMetadataIfLi3EEENS1_28PointwiseOpScalarListFunctorIN3c108BFloat16ELi3ELi3ELi0EEEJSt7dividesIfEEEEvT_T0_DpT1_
		.amdhsa_group_segment_fixed_size 0
		.amdhsa_private_segment_fixed_size 0
		.amdhsa_kernarg_size 3592
		.amdhsa_user_sgpr_count 2
		.amdhsa_user_sgpr_dispatch_ptr 0
		.amdhsa_user_sgpr_queue_ptr 0
		.amdhsa_user_sgpr_kernarg_segment_ptr 1
		.amdhsa_user_sgpr_dispatch_id 0
		.amdhsa_user_sgpr_kernarg_preload_length 0
		.amdhsa_user_sgpr_kernarg_preload_offset 0
		.amdhsa_user_sgpr_private_segment_size 0
		.amdhsa_wavefront_size32 1
		.amdhsa_uses_dynamic_stack 0
		.amdhsa_enable_private_segment 0
		.amdhsa_system_sgpr_workgroup_id_x 1
		.amdhsa_system_sgpr_workgroup_id_y 0
		.amdhsa_system_sgpr_workgroup_id_z 0
		.amdhsa_system_sgpr_workgroup_info 0
		.amdhsa_system_vgpr_workitem_id 0
		.amdhsa_next_free_vgpr 53
		.amdhsa_next_free_sgpr 24
		.amdhsa_named_barrier_count 0
		.amdhsa_reserve_vcc 1
		.amdhsa_float_round_mode_32 0
		.amdhsa_float_round_mode_16_64 0
		.amdhsa_float_denorm_mode_32 3
		.amdhsa_float_denorm_mode_16_64 3
		.amdhsa_fp16_overflow 0
		.amdhsa_memory_ordered 1
		.amdhsa_forward_progress 1
		.amdhsa_inst_pref_size 23
		.amdhsa_round_robin_scheduling 0
		.amdhsa_exception_fp_ieee_invalid_op 0
		.amdhsa_exception_fp_denorm_src 0
		.amdhsa_exception_fp_ieee_div_zero 0
		.amdhsa_exception_fp_ieee_overflow 0
		.amdhsa_exception_fp_ieee_underflow 0
		.amdhsa_exception_fp_ieee_inexact 0
		.amdhsa_exception_int_div_zero 0
	.end_amdhsa_kernel
	.section	.text._ZN2at6native12_GLOBAL__N_125multi_tensor_apply_kernelINS1_28TensorListScalarListMetadataIfLi3EEENS1_28PointwiseOpScalarListFunctorIN3c108BFloat16ELi3ELi3ELi0EEEJSt7dividesIfEEEEvT_T0_DpT1_,"axG",@progbits,_ZN2at6native12_GLOBAL__N_125multi_tensor_apply_kernelINS1_28TensorListScalarListMetadataIfLi3EEENS1_28PointwiseOpScalarListFunctorIN3c108BFloat16ELi3ELi3ELi0EEEJSt7dividesIfEEEEvT_T0_DpT1_,comdat
.Lfunc_end131:
	.size	_ZN2at6native12_GLOBAL__N_125multi_tensor_apply_kernelINS1_28TensorListScalarListMetadataIfLi3EEENS1_28PointwiseOpScalarListFunctorIN3c108BFloat16ELi3ELi3ELi0EEEJSt7dividesIfEEEEvT_T0_DpT1_, .Lfunc_end131-_ZN2at6native12_GLOBAL__N_125multi_tensor_apply_kernelINS1_28TensorListScalarListMetadataIfLi3EEENS1_28PointwiseOpScalarListFunctorIN3c108BFloat16ELi3ELi3ELi0EEEJSt7dividesIfEEEEvT_T0_DpT1_
                                        ; -- End function
	.set _ZN2at6native12_GLOBAL__N_125multi_tensor_apply_kernelINS1_28TensorListScalarListMetadataIfLi3EEENS1_28PointwiseOpScalarListFunctorIN3c108BFloat16ELi3ELi3ELi0EEEJSt7dividesIfEEEEvT_T0_DpT1_.num_vgpr, 53
	.set _ZN2at6native12_GLOBAL__N_125multi_tensor_apply_kernelINS1_28TensorListScalarListMetadataIfLi3EEENS1_28PointwiseOpScalarListFunctorIN3c108BFloat16ELi3ELi3ELi0EEEJSt7dividesIfEEEEvT_T0_DpT1_.num_agpr, 0
	.set _ZN2at6native12_GLOBAL__N_125multi_tensor_apply_kernelINS1_28TensorListScalarListMetadataIfLi3EEENS1_28PointwiseOpScalarListFunctorIN3c108BFloat16ELi3ELi3ELi0EEEJSt7dividesIfEEEEvT_T0_DpT1_.numbered_sgpr, 24
	.set _ZN2at6native12_GLOBAL__N_125multi_tensor_apply_kernelINS1_28TensorListScalarListMetadataIfLi3EEENS1_28PointwiseOpScalarListFunctorIN3c108BFloat16ELi3ELi3ELi0EEEJSt7dividesIfEEEEvT_T0_DpT1_.num_named_barrier, 0
	.set _ZN2at6native12_GLOBAL__N_125multi_tensor_apply_kernelINS1_28TensorListScalarListMetadataIfLi3EEENS1_28PointwiseOpScalarListFunctorIN3c108BFloat16ELi3ELi3ELi0EEEJSt7dividesIfEEEEvT_T0_DpT1_.private_seg_size, 0
	.set _ZN2at6native12_GLOBAL__N_125multi_tensor_apply_kernelINS1_28TensorListScalarListMetadataIfLi3EEENS1_28PointwiseOpScalarListFunctorIN3c108BFloat16ELi3ELi3ELi0EEEJSt7dividesIfEEEEvT_T0_DpT1_.uses_vcc, 1
	.set _ZN2at6native12_GLOBAL__N_125multi_tensor_apply_kernelINS1_28TensorListScalarListMetadataIfLi3EEENS1_28PointwiseOpScalarListFunctorIN3c108BFloat16ELi3ELi3ELi0EEEJSt7dividesIfEEEEvT_T0_DpT1_.uses_flat_scratch, 0
	.set _ZN2at6native12_GLOBAL__N_125multi_tensor_apply_kernelINS1_28TensorListScalarListMetadataIfLi3EEENS1_28PointwiseOpScalarListFunctorIN3c108BFloat16ELi3ELi3ELi0EEEJSt7dividesIfEEEEvT_T0_DpT1_.has_dyn_sized_stack, 0
	.set _ZN2at6native12_GLOBAL__N_125multi_tensor_apply_kernelINS1_28TensorListScalarListMetadataIfLi3EEENS1_28PointwiseOpScalarListFunctorIN3c108BFloat16ELi3ELi3ELi0EEEJSt7dividesIfEEEEvT_T0_DpT1_.has_recursion, 0
	.set _ZN2at6native12_GLOBAL__N_125multi_tensor_apply_kernelINS1_28TensorListScalarListMetadataIfLi3EEENS1_28PointwiseOpScalarListFunctorIN3c108BFloat16ELi3ELi3ELi0EEEJSt7dividesIfEEEEvT_T0_DpT1_.has_indirect_call, 0
	.section	.AMDGPU.csdata,"",@progbits
; Kernel info:
; codeLenInByte = 2888
; TotalNumSgprs: 26
; NumVgprs: 53
; ScratchSize: 0
; MemoryBound: 0
; FloatMode: 240
; IeeeMode: 1
; LDSByteSize: 0 bytes/workgroup (compile time only)
; SGPRBlocks: 0
; VGPRBlocks: 3
; NumSGPRsForWavesPerEU: 26
; NumVGPRsForWavesPerEU: 53
; NamedBarCnt: 0
; Occupancy: 16
; WaveLimiterHint : 0
; COMPUTE_PGM_RSRC2:SCRATCH_EN: 0
; COMPUTE_PGM_RSRC2:USER_SGPR: 2
; COMPUTE_PGM_RSRC2:TRAP_HANDLER: 0
; COMPUTE_PGM_RSRC2:TGID_X_EN: 1
; COMPUTE_PGM_RSRC2:TGID_Y_EN: 0
; COMPUTE_PGM_RSRC2:TGID_Z_EN: 0
; COMPUTE_PGM_RSRC2:TIDIG_COMP_CNT: 0
	.section	.AMDGPU.gpr_maximums,"",@progbits
	.set amdgpu.max_num_vgpr, 0
	.set amdgpu.max_num_agpr, 0
	.set amdgpu.max_num_sgpr, 0
	.section	.AMDGPU.csdata,"",@progbits
	.type	__hip_cuid_e31f12073c0c346c,@object ; @__hip_cuid_e31f12073c0c346c
	.section	.bss,"aw",@nobits
	.globl	__hip_cuid_e31f12073c0c346c
__hip_cuid_e31f12073c0c346c:
	.byte	0                               ; 0x0
	.size	__hip_cuid_e31f12073c0c346c, 1

	.ident	"AMD clang version 22.0.0git (https://github.com/RadeonOpenCompute/llvm-project roc-7.2.4 26084 f58b06dce1f9c15707c5f808fd002e18c2accf7e)"
	.section	".note.GNU-stack","",@progbits
	.addrsig
	.addrsig_sym __hip_cuid_e31f12073c0c346c
	.amdgpu_metadata
---
amdhsa.kernels:
  - .args:
      - .offset:         0
        .size:           3048
        .value_kind:     by_value
      - .offset:         3048
        .size:           1
        .value_kind:     by_value
      - .offset:         3049
        .size:           1
        .value_kind:     by_value
      - .offset:         3050
        .size:           1
        .value_kind:     by_value
      - .offset:         3056
        .size:           4
        .value_kind:     hidden_block_count_x
      - .offset:         3060
        .size:           4
        .value_kind:     hidden_block_count_y
      - .offset:         3064
        .size:           4
        .value_kind:     hidden_block_count_z
      - .offset:         3068
        .size:           2
        .value_kind:     hidden_group_size_x
      - .offset:         3070
        .size:           2
        .value_kind:     hidden_group_size_y
      - .offset:         3072
        .size:           2
        .value_kind:     hidden_group_size_z
      - .offset:         3074
        .size:           2
        .value_kind:     hidden_remainder_x
      - .offset:         3076
        .size:           2
        .value_kind:     hidden_remainder_y
      - .offset:         3078
        .size:           2
        .value_kind:     hidden_remainder_z
      - .offset:         3096
        .size:           8
        .value_kind:     hidden_global_offset_x
      - .offset:         3104
        .size:           8
        .value_kind:     hidden_global_offset_y
      - .offset:         3112
        .size:           8
        .value_kind:     hidden_global_offset_z
      - .offset:         3120
        .size:           2
        .value_kind:     hidden_grid_dims
    .group_segment_fixed_size: 0
    .kernarg_segment_align: 8
    .kernarg_segment_size: 3312
    .language:       OpenCL C
    .language_version:
      - 2
      - 0
    .max_flat_workgroup_size: 512
    .name:           _ZN2at6native12_GLOBAL__N_125multi_tensor_apply_kernelINS1_18TensorListMetadataILi4EEENS1_24PointwiseOpScalarFunctorIhLi4ELi3ELi3EEEJSt10multipliesIhEhEEEvT_T0_DpT1_
    .private_segment_fixed_size: 0
    .sgpr_count:     26
    .sgpr_spill_count: 0
    .symbol:         _ZN2at6native12_GLOBAL__N_125multi_tensor_apply_kernelINS1_18TensorListMetadataILi4EEENS1_24PointwiseOpScalarFunctorIhLi4ELi3ELi3EEEJSt10multipliesIhEhEEEvT_T0_DpT1_.kd
    .uniform_work_group_size: 1
    .uses_dynamic_stack: false
    .vgpr_count:     60
    .vgpr_spill_count: 0
    .wavefront_size: 32
  - .args:
      - .offset:         0
        .size:           3048
        .value_kind:     by_value
      - .offset:         3048
        .size:           1
        .value_kind:     by_value
      - .offset:         3049
        .size:           1
        .value_kind:     by_value
      - .offset:         3050
        .size:           1
        .value_kind:     by_value
      - .offset:         3056
        .size:           4
        .value_kind:     hidden_block_count_x
      - .offset:         3060
        .size:           4
        .value_kind:     hidden_block_count_y
      - .offset:         3064
        .size:           4
        .value_kind:     hidden_block_count_z
      - .offset:         3068
        .size:           2
        .value_kind:     hidden_group_size_x
      - .offset:         3070
        .size:           2
        .value_kind:     hidden_group_size_y
      - .offset:         3072
        .size:           2
        .value_kind:     hidden_group_size_z
      - .offset:         3074
        .size:           2
        .value_kind:     hidden_remainder_x
      - .offset:         3076
        .size:           2
        .value_kind:     hidden_remainder_y
      - .offset:         3078
        .size:           2
        .value_kind:     hidden_remainder_z
      - .offset:         3096
        .size:           8
        .value_kind:     hidden_global_offset_x
      - .offset:         3104
        .size:           8
        .value_kind:     hidden_global_offset_y
      - .offset:         3112
        .size:           8
        .value_kind:     hidden_global_offset_z
      - .offset:         3120
        .size:           2
        .value_kind:     hidden_grid_dims
    .group_segment_fixed_size: 0
    .kernarg_segment_align: 8
    .kernarg_segment_size: 3312
    .language:       OpenCL C
    .language_version:
      - 2
      - 0
    .max_flat_workgroup_size: 512
    .name:           _ZN2at6native12_GLOBAL__N_125multi_tensor_apply_kernelINS1_18TensorListMetadataILi4EEENS1_24PointwiseOpScalarFunctorIaLi4ELi3ELi3EEEJSt10multipliesIaEaEEEvT_T0_DpT1_
    .private_segment_fixed_size: 0
    .sgpr_count:     26
    .sgpr_spill_count: 0
    .symbol:         _ZN2at6native12_GLOBAL__N_125multi_tensor_apply_kernelINS1_18TensorListMetadataILi4EEENS1_24PointwiseOpScalarFunctorIaLi4ELi3ELi3EEEJSt10multipliesIaEaEEEvT_T0_DpT1_.kd
    .uniform_work_group_size: 1
    .uses_dynamic_stack: false
    .vgpr_count:     60
    .vgpr_spill_count: 0
    .wavefront_size: 32
  - .args:
      - .offset:         0
        .size:           3048
        .value_kind:     by_value
      - .offset:         3048
        .size:           1
        .value_kind:     by_value
      - .offset:         3049
        .size:           1
        .value_kind:     by_value
      - .offset:         3052
        .size:           4
        .value_kind:     by_value
      - .offset:         3056
        .size:           4
        .value_kind:     hidden_block_count_x
      - .offset:         3060
        .size:           4
        .value_kind:     hidden_block_count_y
      - .offset:         3064
        .size:           4
        .value_kind:     hidden_block_count_z
      - .offset:         3068
        .size:           2
        .value_kind:     hidden_group_size_x
      - .offset:         3070
        .size:           2
        .value_kind:     hidden_group_size_y
      - .offset:         3072
        .size:           2
        .value_kind:     hidden_group_size_z
      - .offset:         3074
        .size:           2
        .value_kind:     hidden_remainder_x
      - .offset:         3076
        .size:           2
        .value_kind:     hidden_remainder_y
      - .offset:         3078
        .size:           2
        .value_kind:     hidden_remainder_z
      - .offset:         3096
        .size:           8
        .value_kind:     hidden_global_offset_x
      - .offset:         3104
        .size:           8
        .value_kind:     hidden_global_offset_y
      - .offset:         3112
        .size:           8
        .value_kind:     hidden_global_offset_z
      - .offset:         3120
        .size:           2
        .value_kind:     hidden_grid_dims
    .group_segment_fixed_size: 0
    .kernarg_segment_align: 8
    .kernarg_segment_size: 3312
    .language:       OpenCL C
    .language_version:
      - 2
      - 0
    .max_flat_workgroup_size: 512
    .name:           _ZN2at6native12_GLOBAL__N_125multi_tensor_apply_kernelINS1_18TensorListMetadataILi4EEENS1_24PointwiseOpScalarFunctorIiLi4ELi3ELi3EEEJSt10multipliesIiEiEEEvT_T0_DpT1_
    .private_segment_fixed_size: 0
    .sgpr_count:     27
    .sgpr_spill_count: 0
    .symbol:         _ZN2at6native12_GLOBAL__N_125multi_tensor_apply_kernelINS1_18TensorListMetadataILi4EEENS1_24PointwiseOpScalarFunctorIiLi4ELi3ELi3EEEJSt10multipliesIiEiEEEvT_T0_DpT1_.kd
    .uniform_work_group_size: 1
    .uses_dynamic_stack: false
    .vgpr_count:     60
    .vgpr_spill_count: 0
    .wavefront_size: 32
  - .args:
      - .offset:         0
        .size:           3048
        .value_kind:     by_value
      - .offset:         3048
        .size:           1
        .value_kind:     by_value
      - .offset:         3049
        .size:           1
        .value_kind:     by_value
      - .offset:         3056
        .size:           8
        .value_kind:     by_value
      - .offset:         3064
        .size:           4
        .value_kind:     hidden_block_count_x
      - .offset:         3068
        .size:           4
        .value_kind:     hidden_block_count_y
      - .offset:         3072
        .size:           4
        .value_kind:     hidden_block_count_z
      - .offset:         3076
        .size:           2
        .value_kind:     hidden_group_size_x
      - .offset:         3078
        .size:           2
        .value_kind:     hidden_group_size_y
      - .offset:         3080
        .size:           2
        .value_kind:     hidden_group_size_z
      - .offset:         3082
        .size:           2
        .value_kind:     hidden_remainder_x
      - .offset:         3084
        .size:           2
        .value_kind:     hidden_remainder_y
      - .offset:         3086
        .size:           2
        .value_kind:     hidden_remainder_z
      - .offset:         3104
        .size:           8
        .value_kind:     hidden_global_offset_x
      - .offset:         3112
        .size:           8
        .value_kind:     hidden_global_offset_y
      - .offset:         3120
        .size:           8
        .value_kind:     hidden_global_offset_z
      - .offset:         3128
        .size:           2
        .value_kind:     hidden_grid_dims
    .group_segment_fixed_size: 0
    .kernarg_segment_align: 8
    .kernarg_segment_size: 3320
    .language:       OpenCL C
    .language_version:
      - 2
      - 0
    .max_flat_workgroup_size: 512
    .name:           _ZN2at6native12_GLOBAL__N_125multi_tensor_apply_kernelINS1_18TensorListMetadataILi4EEENS1_24PointwiseOpScalarFunctorIlLi4ELi3ELi3EEEJSt10multipliesIlElEEEvT_T0_DpT1_
    .private_segment_fixed_size: 0
    .sgpr_count:     34
    .sgpr_spill_count: 0
    .symbol:         _ZN2at6native12_GLOBAL__N_125multi_tensor_apply_kernelINS1_18TensorListMetadataILi4EEENS1_24PointwiseOpScalarFunctorIlLi4ELi3ELi3EEEJSt10multipliesIlElEEEvT_T0_DpT1_.kd
    .uniform_work_group_size: 1
    .uses_dynamic_stack: false
    .vgpr_count:     72
    .vgpr_spill_count: 0
    .wavefront_size: 32
  - .args:
      - .offset:         0
        .size:           3048
        .value_kind:     by_value
      - .offset:         3048
        .size:           1
        .value_kind:     by_value
      - .offset:         3049
        .size:           1
        .value_kind:     by_value
      - .offset:         3050
        .size:           2
        .value_kind:     by_value
      - .offset:         3056
        .size:           4
        .value_kind:     hidden_block_count_x
      - .offset:         3060
        .size:           4
        .value_kind:     hidden_block_count_y
      - .offset:         3064
        .size:           4
        .value_kind:     hidden_block_count_z
      - .offset:         3068
        .size:           2
        .value_kind:     hidden_group_size_x
      - .offset:         3070
        .size:           2
        .value_kind:     hidden_group_size_y
      - .offset:         3072
        .size:           2
        .value_kind:     hidden_group_size_z
      - .offset:         3074
        .size:           2
        .value_kind:     hidden_remainder_x
      - .offset:         3076
        .size:           2
        .value_kind:     hidden_remainder_y
      - .offset:         3078
        .size:           2
        .value_kind:     hidden_remainder_z
      - .offset:         3096
        .size:           8
        .value_kind:     hidden_global_offset_x
      - .offset:         3104
        .size:           8
        .value_kind:     hidden_global_offset_y
      - .offset:         3112
        .size:           8
        .value_kind:     hidden_global_offset_z
      - .offset:         3120
        .size:           2
        .value_kind:     hidden_grid_dims
    .group_segment_fixed_size: 0
    .kernarg_segment_align: 8
    .kernarg_segment_size: 3312
    .language:       OpenCL C
    .language_version:
      - 2
      - 0
    .max_flat_workgroup_size: 512
    .name:           _ZN2at6native12_GLOBAL__N_125multi_tensor_apply_kernelINS1_18TensorListMetadataILi4EEENS1_24PointwiseOpScalarFunctorIsLi4ELi3ELi3EEEJSt10multipliesIsEsEEEvT_T0_DpT1_
    .private_segment_fixed_size: 0
    .sgpr_count:     27
    .sgpr_spill_count: 0
    .symbol:         _ZN2at6native12_GLOBAL__N_125multi_tensor_apply_kernelINS1_18TensorListMetadataILi4EEENS1_24PointwiseOpScalarFunctorIsLi4ELi3ELi3EEEJSt10multipliesIsEsEEEvT_T0_DpT1_.kd
    .uniform_work_group_size: 1
    .uses_dynamic_stack: false
    .vgpr_count:     60
    .vgpr_spill_count: 0
    .wavefront_size: 32
  - .args:
      - .offset:         0
        .size:           3048
        .value_kind:     by_value
      - .offset:         3048
        .size:           1
        .value_kind:     by_value
      - .offset:         3049
        .size:           1
        .value_kind:     by_value
      - .offset:         3056
        .size:           8
        .value_kind:     by_value
      - .offset:         3064
        .size:           4
        .value_kind:     hidden_block_count_x
      - .offset:         3068
        .size:           4
        .value_kind:     hidden_block_count_y
      - .offset:         3072
        .size:           4
        .value_kind:     hidden_block_count_z
      - .offset:         3076
        .size:           2
        .value_kind:     hidden_group_size_x
      - .offset:         3078
        .size:           2
        .value_kind:     hidden_group_size_y
      - .offset:         3080
        .size:           2
        .value_kind:     hidden_group_size_z
      - .offset:         3082
        .size:           2
        .value_kind:     hidden_remainder_x
      - .offset:         3084
        .size:           2
        .value_kind:     hidden_remainder_y
      - .offset:         3086
        .size:           2
        .value_kind:     hidden_remainder_z
      - .offset:         3104
        .size:           8
        .value_kind:     hidden_global_offset_x
      - .offset:         3112
        .size:           8
        .value_kind:     hidden_global_offset_y
      - .offset:         3120
        .size:           8
        .value_kind:     hidden_global_offset_z
      - .offset:         3128
        .size:           2
        .value_kind:     hidden_grid_dims
    .group_segment_fixed_size: 0
    .kernarg_segment_align: 8
    .kernarg_segment_size: 3320
    .language:       OpenCL C
    .language_version:
      - 2
      - 0
    .max_flat_workgroup_size: 512
    .name:           _ZN2at6native12_GLOBAL__N_125multi_tensor_apply_kernelINS1_18TensorListMetadataILi4EEENS1_24PointwiseOpScalarFunctorIdLi4ELi3ELi3EEEJSt10multipliesIdEdEEEvT_T0_DpT1_
    .private_segment_fixed_size: 0
    .sgpr_count:     38
    .sgpr_spill_count: 0
    .symbol:         _ZN2at6native12_GLOBAL__N_125multi_tensor_apply_kernelINS1_18TensorListMetadataILi4EEENS1_24PointwiseOpScalarFunctorIdLi4ELi3ELi3EEEJSt10multipliesIdEdEEEvT_T0_DpT1_.kd
    .uniform_work_group_size: 1
    .uses_dynamic_stack: false
    .vgpr_count:     72
    .vgpr_spill_count: 0
    .wavefront_size: 32
  - .args:
      - .offset:         0
        .size:           3048
        .value_kind:     by_value
      - .offset:         3048
        .size:           1
        .value_kind:     by_value
      - .offset:         3049
        .size:           1
        .value_kind:     by_value
      - .offset:         3052
        .size:           4
        .value_kind:     by_value
      - .offset:         3056
        .size:           4
        .value_kind:     hidden_block_count_x
      - .offset:         3060
        .size:           4
        .value_kind:     hidden_block_count_y
      - .offset:         3064
        .size:           4
        .value_kind:     hidden_block_count_z
      - .offset:         3068
        .size:           2
        .value_kind:     hidden_group_size_x
      - .offset:         3070
        .size:           2
        .value_kind:     hidden_group_size_y
      - .offset:         3072
        .size:           2
        .value_kind:     hidden_group_size_z
      - .offset:         3074
        .size:           2
        .value_kind:     hidden_remainder_x
      - .offset:         3076
        .size:           2
        .value_kind:     hidden_remainder_y
      - .offset:         3078
        .size:           2
        .value_kind:     hidden_remainder_z
      - .offset:         3096
        .size:           8
        .value_kind:     hidden_global_offset_x
      - .offset:         3104
        .size:           8
        .value_kind:     hidden_global_offset_y
      - .offset:         3112
        .size:           8
        .value_kind:     hidden_global_offset_z
      - .offset:         3120
        .size:           2
        .value_kind:     hidden_grid_dims
    .group_segment_fixed_size: 0
    .kernarg_segment_align: 8
    .kernarg_segment_size: 3312
    .language:       OpenCL C
    .language_version:
      - 2
      - 0
    .max_flat_workgroup_size: 512
    .name:           _ZN2at6native12_GLOBAL__N_125multi_tensor_apply_kernelINS1_18TensorListMetadataILi4EEENS1_24PointwiseOpScalarFunctorIfLi4ELi3ELi3EEEJSt10multipliesIfEfEEEvT_T0_DpT1_
    .private_segment_fixed_size: 0
    .sgpr_count:     28
    .sgpr_spill_count: 0
    .symbol:         _ZN2at6native12_GLOBAL__N_125multi_tensor_apply_kernelINS1_18TensorListMetadataILi4EEENS1_24PointwiseOpScalarFunctorIfLi4ELi3ELi3EEEJSt10multipliesIfEfEEEvT_T0_DpT1_.kd
    .uniform_work_group_size: 1
    .uses_dynamic_stack: false
    .vgpr_count:     60
    .vgpr_spill_count: 0
    .wavefront_size: 32
  - .args:
      - .offset:         0
        .size:           3048
        .value_kind:     by_value
      - .offset:         3048
        .size:           1
        .value_kind:     by_value
      - .offset:         3049
        .size:           1
        .value_kind:     by_value
      - .offset:         3056
        .size:           16
        .value_kind:     by_value
      - .offset:         3072
        .size:           4
        .value_kind:     hidden_block_count_x
      - .offset:         3076
        .size:           4
        .value_kind:     hidden_block_count_y
      - .offset:         3080
        .size:           4
        .value_kind:     hidden_block_count_z
      - .offset:         3084
        .size:           2
        .value_kind:     hidden_group_size_x
      - .offset:         3086
        .size:           2
        .value_kind:     hidden_group_size_y
      - .offset:         3088
        .size:           2
        .value_kind:     hidden_group_size_z
      - .offset:         3090
        .size:           2
        .value_kind:     hidden_remainder_x
      - .offset:         3092
        .size:           2
        .value_kind:     hidden_remainder_y
      - .offset:         3094
        .size:           2
        .value_kind:     hidden_remainder_z
      - .offset:         3112
        .size:           8
        .value_kind:     hidden_global_offset_x
      - .offset:         3120
        .size:           8
        .value_kind:     hidden_global_offset_y
      - .offset:         3128
        .size:           8
        .value_kind:     hidden_global_offset_z
      - .offset:         3136
        .size:           2
        .value_kind:     hidden_grid_dims
    .group_segment_fixed_size: 0
    .kernarg_segment_align: 16
    .kernarg_segment_size: 3328
    .language:       OpenCL C
    .language_version:
      - 2
      - 0
    .max_flat_workgroup_size: 512
    .name:           _ZN2at6native12_GLOBAL__N_125multi_tensor_apply_kernelINS1_18TensorListMetadataILi4EEENS1_24PointwiseOpScalarFunctorIN3c107complexIdEELi4ELi3ELi3EEEJSt10multipliesIS8_ES8_EEEvT_T0_DpT1_
    .private_segment_fixed_size: 0
    .sgpr_count:     34
    .sgpr_spill_count: 0
    .symbol:         _ZN2at6native12_GLOBAL__N_125multi_tensor_apply_kernelINS1_18TensorListMetadataILi4EEENS1_24PointwiseOpScalarFunctorIN3c107complexIdEELi4ELi3ELi3EEEJSt10multipliesIS8_ES8_EEEvT_T0_DpT1_.kd
    .uniform_work_group_size: 1
    .uses_dynamic_stack: false
    .vgpr_count:     62
    .vgpr_spill_count: 0
    .wavefront_size: 32
  - .args:
      - .offset:         0
        .size:           3048
        .value_kind:     by_value
      - .offset:         3048
        .size:           1
        .value_kind:     by_value
      - .offset:         3049
        .size:           1
        .value_kind:     by_value
      - .offset:         3056
        .size:           8
        .value_kind:     by_value
      - .offset:         3064
        .size:           4
        .value_kind:     hidden_block_count_x
      - .offset:         3068
        .size:           4
        .value_kind:     hidden_block_count_y
      - .offset:         3072
        .size:           4
        .value_kind:     hidden_block_count_z
      - .offset:         3076
        .size:           2
        .value_kind:     hidden_group_size_x
      - .offset:         3078
        .size:           2
        .value_kind:     hidden_group_size_y
      - .offset:         3080
        .size:           2
        .value_kind:     hidden_group_size_z
      - .offset:         3082
        .size:           2
        .value_kind:     hidden_remainder_x
      - .offset:         3084
        .size:           2
        .value_kind:     hidden_remainder_y
      - .offset:         3086
        .size:           2
        .value_kind:     hidden_remainder_z
      - .offset:         3104
        .size:           8
        .value_kind:     hidden_global_offset_x
      - .offset:         3112
        .size:           8
        .value_kind:     hidden_global_offset_y
      - .offset:         3120
        .size:           8
        .value_kind:     hidden_global_offset_z
      - .offset:         3128
        .size:           2
        .value_kind:     hidden_grid_dims
    .group_segment_fixed_size: 0
    .kernarg_segment_align: 8
    .kernarg_segment_size: 3320
    .language:       OpenCL C
    .language_version:
      - 2
      - 0
    .max_flat_workgroup_size: 512
    .name:           _ZN2at6native12_GLOBAL__N_125multi_tensor_apply_kernelINS1_18TensorListMetadataILi4EEENS1_24PointwiseOpScalarFunctorIN3c107complexIfEELi4ELi3ELi3EEEJSt10multipliesIS8_ES8_EEEvT_T0_DpT1_
    .private_segment_fixed_size: 0
    .sgpr_count:     38
    .sgpr_spill_count: 0
    .symbol:         _ZN2at6native12_GLOBAL__N_125multi_tensor_apply_kernelINS1_18TensorListMetadataILi4EEENS1_24PointwiseOpScalarFunctorIN3c107complexIfEELi4ELi3ELi3EEEJSt10multipliesIS8_ES8_EEEvT_T0_DpT1_.kd
    .uniform_work_group_size: 1
    .uses_dynamic_stack: false
    .vgpr_count:     76
    .vgpr_spill_count: 0
    .wavefront_size: 32
  - .args:
      - .offset:         0
        .size:           3048
        .value_kind:     by_value
      - .offset:         3048
        .size:           1
        .value_kind:     by_value
      - .offset:         3049
        .size:           1
        .value_kind:     by_value
      - .offset:         3052
        .size:           4
        .value_kind:     by_value
      - .offset:         3056
        .size:           4
        .value_kind:     hidden_block_count_x
      - .offset:         3060
        .size:           4
        .value_kind:     hidden_block_count_y
      - .offset:         3064
        .size:           4
        .value_kind:     hidden_block_count_z
      - .offset:         3068
        .size:           2
        .value_kind:     hidden_group_size_x
      - .offset:         3070
        .size:           2
        .value_kind:     hidden_group_size_y
      - .offset:         3072
        .size:           2
        .value_kind:     hidden_group_size_z
      - .offset:         3074
        .size:           2
        .value_kind:     hidden_remainder_x
      - .offset:         3076
        .size:           2
        .value_kind:     hidden_remainder_y
      - .offset:         3078
        .size:           2
        .value_kind:     hidden_remainder_z
      - .offset:         3096
        .size:           8
        .value_kind:     hidden_global_offset_x
      - .offset:         3104
        .size:           8
        .value_kind:     hidden_global_offset_y
      - .offset:         3112
        .size:           8
        .value_kind:     hidden_global_offset_z
      - .offset:         3120
        .size:           2
        .value_kind:     hidden_grid_dims
    .group_segment_fixed_size: 0
    .kernarg_segment_align: 8
    .kernarg_segment_size: 3312
    .language:       OpenCL C
    .language_version:
      - 2
      - 0
    .max_flat_workgroup_size: 512
    .name:           _ZN2at6native12_GLOBAL__N_125multi_tensor_apply_kernelINS1_18TensorListMetadataILi4EEENS1_24PointwiseOpScalarFunctorIN3c104HalfELi4ELi3ELi3EEEJSt10multipliesIfEfEEEvT_T0_DpT1_
    .private_segment_fixed_size: 0
    .sgpr_count:     28
    .sgpr_spill_count: 0
    .symbol:         _ZN2at6native12_GLOBAL__N_125multi_tensor_apply_kernelINS1_18TensorListMetadataILi4EEENS1_24PointwiseOpScalarFunctorIN3c104HalfELi4ELi3ELi3EEEJSt10multipliesIfEfEEEvT_T0_DpT1_.kd
    .uniform_work_group_size: 1
    .uses_dynamic_stack: false
    .vgpr_count:     59
    .vgpr_spill_count: 0
    .wavefront_size: 32
  - .args:
      - .offset:         0
        .size:           3048
        .value_kind:     by_value
      - .offset:         3048
        .size:           1
        .value_kind:     by_value
      - .offset:         3049
        .size:           1
        .value_kind:     by_value
      - .offset:         3052
        .size:           4
        .value_kind:     by_value
      - .offset:         3056
        .size:           4
        .value_kind:     hidden_block_count_x
      - .offset:         3060
        .size:           4
        .value_kind:     hidden_block_count_y
      - .offset:         3064
        .size:           4
        .value_kind:     hidden_block_count_z
      - .offset:         3068
        .size:           2
        .value_kind:     hidden_group_size_x
      - .offset:         3070
        .size:           2
        .value_kind:     hidden_group_size_y
      - .offset:         3072
        .size:           2
        .value_kind:     hidden_group_size_z
      - .offset:         3074
        .size:           2
        .value_kind:     hidden_remainder_x
      - .offset:         3076
        .size:           2
        .value_kind:     hidden_remainder_y
      - .offset:         3078
        .size:           2
        .value_kind:     hidden_remainder_z
      - .offset:         3096
        .size:           8
        .value_kind:     hidden_global_offset_x
      - .offset:         3104
        .size:           8
        .value_kind:     hidden_global_offset_y
      - .offset:         3112
        .size:           8
        .value_kind:     hidden_global_offset_z
      - .offset:         3120
        .size:           2
        .value_kind:     hidden_grid_dims
    .group_segment_fixed_size: 0
    .kernarg_segment_align: 8
    .kernarg_segment_size: 3312
    .language:       OpenCL C
    .language_version:
      - 2
      - 0
    .max_flat_workgroup_size: 512
    .name:           _ZN2at6native12_GLOBAL__N_125multi_tensor_apply_kernelINS1_18TensorListMetadataILi4EEENS1_24PointwiseOpScalarFunctorIN3c108BFloat16ELi4ELi3ELi3EEEJSt10multipliesIfEfEEEvT_T0_DpT1_
    .private_segment_fixed_size: 0
    .sgpr_count:     28
    .sgpr_spill_count: 0
    .symbol:         _ZN2at6native12_GLOBAL__N_125multi_tensor_apply_kernelINS1_18TensorListMetadataILi4EEENS1_24PointwiseOpScalarFunctorIN3c108BFloat16ELi4ELi3ELi3EEEJSt10multipliesIfEfEEEvT_T0_DpT1_.kd
    .uniform_work_group_size: 1
    .uses_dynamic_stack: false
    .vgpr_count:     59
    .vgpr_spill_count: 0
    .wavefront_size: 32
  - .args:
      - .offset:         0
        .size:           3048
        .value_kind:     by_value
      - .offset:         3048
        .size:           1
        .value_kind:     by_value
      - .offset:         3049
        .size:           1
        .value_kind:     by_value
      - .offset:         3050
        .size:           1
        .value_kind:     by_value
      - .offset:         3056
        .size:           4
        .value_kind:     hidden_block_count_x
      - .offset:         3060
        .size:           4
        .value_kind:     hidden_block_count_y
      - .offset:         3064
        .size:           4
        .value_kind:     hidden_block_count_z
      - .offset:         3068
        .size:           2
        .value_kind:     hidden_group_size_x
      - .offset:         3070
        .size:           2
        .value_kind:     hidden_group_size_y
      - .offset:         3072
        .size:           2
        .value_kind:     hidden_group_size_z
      - .offset:         3074
        .size:           2
        .value_kind:     hidden_remainder_x
      - .offset:         3076
        .size:           2
        .value_kind:     hidden_remainder_y
      - .offset:         3078
        .size:           2
        .value_kind:     hidden_remainder_z
      - .offset:         3096
        .size:           8
        .value_kind:     hidden_global_offset_x
      - .offset:         3104
        .size:           8
        .value_kind:     hidden_global_offset_y
      - .offset:         3112
        .size:           8
        .value_kind:     hidden_global_offset_z
      - .offset:         3120
        .size:           2
        .value_kind:     hidden_grid_dims
    .group_segment_fixed_size: 0
    .kernarg_segment_align: 8
    .kernarg_segment_size: 3312
    .language:       OpenCL C
    .language_version:
      - 2
      - 0
    .max_flat_workgroup_size: 512
    .name:           _ZN2at6native12_GLOBAL__N_125multi_tensor_apply_kernelINS1_18TensorListMetadataILi4EEENS1_32PointwiseOpScalar0dTensorFunctorIhLi4ELi2ELi3EEEJSt10multipliesIhEhEEEvT_T0_DpT1_
    .private_segment_fixed_size: 0
    .sgpr_count:     21
    .sgpr_spill_count: 0
    .symbol:         _ZN2at6native12_GLOBAL__N_125multi_tensor_apply_kernelINS1_18TensorListMetadataILi4EEENS1_32PointwiseOpScalar0dTensorFunctorIhLi4ELi2ELi3EEEJSt10multipliesIhEhEEEvT_T0_DpT1_.kd
    .uniform_work_group_size: 1
    .uses_dynamic_stack: false
    .vgpr_count:     53
    .vgpr_spill_count: 0
    .wavefront_size: 32
  - .args:
      - .offset:         0
        .size:           3048
        .value_kind:     by_value
      - .offset:         3048
        .size:           1
        .value_kind:     by_value
      - .offset:         3049
        .size:           1
        .value_kind:     by_value
      - .offset:         3050
        .size:           1
        .value_kind:     by_value
      - .offset:         3056
        .size:           4
        .value_kind:     hidden_block_count_x
      - .offset:         3060
        .size:           4
        .value_kind:     hidden_block_count_y
      - .offset:         3064
        .size:           4
        .value_kind:     hidden_block_count_z
      - .offset:         3068
        .size:           2
        .value_kind:     hidden_group_size_x
      - .offset:         3070
        .size:           2
        .value_kind:     hidden_group_size_y
      - .offset:         3072
        .size:           2
        .value_kind:     hidden_group_size_z
      - .offset:         3074
        .size:           2
        .value_kind:     hidden_remainder_x
      - .offset:         3076
        .size:           2
        .value_kind:     hidden_remainder_y
      - .offset:         3078
        .size:           2
        .value_kind:     hidden_remainder_z
      - .offset:         3096
        .size:           8
        .value_kind:     hidden_global_offset_x
      - .offset:         3104
        .size:           8
        .value_kind:     hidden_global_offset_y
      - .offset:         3112
        .size:           8
        .value_kind:     hidden_global_offset_z
      - .offset:         3120
        .size:           2
        .value_kind:     hidden_grid_dims
    .group_segment_fixed_size: 0
    .kernarg_segment_align: 8
    .kernarg_segment_size: 3312
    .language:       OpenCL C
    .language_version:
      - 2
      - 0
    .max_flat_workgroup_size: 512
    .name:           _ZN2at6native12_GLOBAL__N_125multi_tensor_apply_kernelINS1_18TensorListMetadataILi4EEENS1_32PointwiseOpScalar0dTensorFunctorIaLi4ELi2ELi3EEEJSt10multipliesIaEaEEEvT_T0_DpT1_
    .private_segment_fixed_size: 0
    .sgpr_count:     21
    .sgpr_spill_count: 0
    .symbol:         _ZN2at6native12_GLOBAL__N_125multi_tensor_apply_kernelINS1_18TensorListMetadataILi4EEENS1_32PointwiseOpScalar0dTensorFunctorIaLi4ELi2ELi3EEEJSt10multipliesIaEaEEEvT_T0_DpT1_.kd
    .uniform_work_group_size: 1
    .uses_dynamic_stack: false
    .vgpr_count:     53
    .vgpr_spill_count: 0
    .wavefront_size: 32
  - .args:
      - .offset:         0
        .size:           3048
        .value_kind:     by_value
      - .offset:         3048
        .size:           1
        .value_kind:     by_value
      - .offset:         3049
        .size:           1
        .value_kind:     by_value
      - .offset:         3052
        .size:           4
        .value_kind:     by_value
      - .offset:         3056
        .size:           4
        .value_kind:     hidden_block_count_x
      - .offset:         3060
        .size:           4
        .value_kind:     hidden_block_count_y
      - .offset:         3064
        .size:           4
        .value_kind:     hidden_block_count_z
      - .offset:         3068
        .size:           2
        .value_kind:     hidden_group_size_x
      - .offset:         3070
        .size:           2
        .value_kind:     hidden_group_size_y
      - .offset:         3072
        .size:           2
        .value_kind:     hidden_group_size_z
      - .offset:         3074
        .size:           2
        .value_kind:     hidden_remainder_x
      - .offset:         3076
        .size:           2
        .value_kind:     hidden_remainder_y
      - .offset:         3078
        .size:           2
        .value_kind:     hidden_remainder_z
      - .offset:         3096
        .size:           8
        .value_kind:     hidden_global_offset_x
      - .offset:         3104
        .size:           8
        .value_kind:     hidden_global_offset_y
      - .offset:         3112
        .size:           8
        .value_kind:     hidden_global_offset_z
      - .offset:         3120
        .size:           2
        .value_kind:     hidden_grid_dims
    .group_segment_fixed_size: 0
    .kernarg_segment_align: 8
    .kernarg_segment_size: 3312
    .language:       OpenCL C
    .language_version:
      - 2
      - 0
    .max_flat_workgroup_size: 512
    .name:           _ZN2at6native12_GLOBAL__N_125multi_tensor_apply_kernelINS1_18TensorListMetadataILi4EEENS1_32PointwiseOpScalar0dTensorFunctorIiLi4ELi2ELi3EEEJSt10multipliesIiEiEEEvT_T0_DpT1_
    .private_segment_fixed_size: 0
    .sgpr_count:     31
    .sgpr_spill_count: 0
    .symbol:         _ZN2at6native12_GLOBAL__N_125multi_tensor_apply_kernelINS1_18TensorListMetadataILi4EEENS1_32PointwiseOpScalar0dTensorFunctorIiLi4ELi2ELi3EEEJSt10multipliesIiEiEEEvT_T0_DpT1_.kd
    .uniform_work_group_size: 1
    .uses_dynamic_stack: false
    .vgpr_count:     26
    .vgpr_spill_count: 0
    .wavefront_size: 32
  - .args:
      - .offset:         0
        .size:           3048
        .value_kind:     by_value
      - .offset:         3048
        .size:           1
        .value_kind:     by_value
      - .offset:         3049
        .size:           1
        .value_kind:     by_value
      - .offset:         3056
        .size:           8
        .value_kind:     by_value
      - .offset:         3064
        .size:           4
        .value_kind:     hidden_block_count_x
      - .offset:         3068
        .size:           4
        .value_kind:     hidden_block_count_y
      - .offset:         3072
        .size:           4
        .value_kind:     hidden_block_count_z
      - .offset:         3076
        .size:           2
        .value_kind:     hidden_group_size_x
      - .offset:         3078
        .size:           2
        .value_kind:     hidden_group_size_y
      - .offset:         3080
        .size:           2
        .value_kind:     hidden_group_size_z
      - .offset:         3082
        .size:           2
        .value_kind:     hidden_remainder_x
      - .offset:         3084
        .size:           2
        .value_kind:     hidden_remainder_y
      - .offset:         3086
        .size:           2
        .value_kind:     hidden_remainder_z
      - .offset:         3104
        .size:           8
        .value_kind:     hidden_global_offset_x
      - .offset:         3112
        .size:           8
        .value_kind:     hidden_global_offset_y
      - .offset:         3120
        .size:           8
        .value_kind:     hidden_global_offset_z
      - .offset:         3128
        .size:           2
        .value_kind:     hidden_grid_dims
    .group_segment_fixed_size: 0
    .kernarg_segment_align: 8
    .kernarg_segment_size: 3320
    .language:       OpenCL C
    .language_version:
      - 2
      - 0
    .max_flat_workgroup_size: 512
    .name:           _ZN2at6native12_GLOBAL__N_125multi_tensor_apply_kernelINS1_18TensorListMetadataILi4EEENS1_32PointwiseOpScalar0dTensorFunctorIlLi4ELi2ELi3EEEJSt10multipliesIlElEEEvT_T0_DpT1_
    .private_segment_fixed_size: 0
    .sgpr_count:     30
    .sgpr_spill_count: 0
    .symbol:         _ZN2at6native12_GLOBAL__N_125multi_tensor_apply_kernelINS1_18TensorListMetadataILi4EEENS1_32PointwiseOpScalar0dTensorFunctorIlLi4ELi2ELi3EEEJSt10multipliesIlElEEEvT_T0_DpT1_.kd
    .uniform_work_group_size: 1
    .uses_dynamic_stack: false
    .vgpr_count:     34
    .vgpr_spill_count: 0
    .wavefront_size: 32
  - .args:
      - .offset:         0
        .size:           3048
        .value_kind:     by_value
      - .offset:         3048
        .size:           1
        .value_kind:     by_value
      - .offset:         3049
        .size:           1
        .value_kind:     by_value
      - .offset:         3050
        .size:           2
        .value_kind:     by_value
      - .offset:         3056
        .size:           4
        .value_kind:     hidden_block_count_x
      - .offset:         3060
        .size:           4
        .value_kind:     hidden_block_count_y
      - .offset:         3064
        .size:           4
        .value_kind:     hidden_block_count_z
      - .offset:         3068
        .size:           2
        .value_kind:     hidden_group_size_x
      - .offset:         3070
        .size:           2
        .value_kind:     hidden_group_size_y
      - .offset:         3072
        .size:           2
        .value_kind:     hidden_group_size_z
      - .offset:         3074
        .size:           2
        .value_kind:     hidden_remainder_x
      - .offset:         3076
        .size:           2
        .value_kind:     hidden_remainder_y
      - .offset:         3078
        .size:           2
        .value_kind:     hidden_remainder_z
      - .offset:         3096
        .size:           8
        .value_kind:     hidden_global_offset_x
      - .offset:         3104
        .size:           8
        .value_kind:     hidden_global_offset_y
      - .offset:         3112
        .size:           8
        .value_kind:     hidden_global_offset_z
      - .offset:         3120
        .size:           2
        .value_kind:     hidden_grid_dims
    .group_segment_fixed_size: 0
    .kernarg_segment_align: 8
    .kernarg_segment_size: 3312
    .language:       OpenCL C
    .language_version:
      - 2
      - 0
    .max_flat_workgroup_size: 512
    .name:           _ZN2at6native12_GLOBAL__N_125multi_tensor_apply_kernelINS1_18TensorListMetadataILi4EEENS1_32PointwiseOpScalar0dTensorFunctorIsLi4ELi2ELi3EEEJSt10multipliesIsEsEEEvT_T0_DpT1_
    .private_segment_fixed_size: 0
    .sgpr_count:     29
    .sgpr_spill_count: 0
    .symbol:         _ZN2at6native12_GLOBAL__N_125multi_tensor_apply_kernelINS1_18TensorListMetadataILi4EEENS1_32PointwiseOpScalar0dTensorFunctorIsLi4ELi2ELi3EEEJSt10multipliesIsEsEEEvT_T0_DpT1_.kd
    .uniform_work_group_size: 1
    .uses_dynamic_stack: false
    .vgpr_count:     25
    .vgpr_spill_count: 0
    .wavefront_size: 32
  - .args:
      - .offset:         0
        .size:           3048
        .value_kind:     by_value
      - .offset:         3048
        .size:           1
        .value_kind:     by_value
      - .offset:         3049
        .size:           1
        .value_kind:     by_value
      - .offset:         3056
        .size:           8
        .value_kind:     by_value
      - .offset:         3064
        .size:           4
        .value_kind:     hidden_block_count_x
      - .offset:         3068
        .size:           4
        .value_kind:     hidden_block_count_y
      - .offset:         3072
        .size:           4
        .value_kind:     hidden_block_count_z
      - .offset:         3076
        .size:           2
        .value_kind:     hidden_group_size_x
      - .offset:         3078
        .size:           2
        .value_kind:     hidden_group_size_y
      - .offset:         3080
        .size:           2
        .value_kind:     hidden_group_size_z
      - .offset:         3082
        .size:           2
        .value_kind:     hidden_remainder_x
      - .offset:         3084
        .size:           2
        .value_kind:     hidden_remainder_y
      - .offset:         3086
        .size:           2
        .value_kind:     hidden_remainder_z
      - .offset:         3104
        .size:           8
        .value_kind:     hidden_global_offset_x
      - .offset:         3112
        .size:           8
        .value_kind:     hidden_global_offset_y
      - .offset:         3120
        .size:           8
        .value_kind:     hidden_global_offset_z
      - .offset:         3128
        .size:           2
        .value_kind:     hidden_grid_dims
    .group_segment_fixed_size: 0
    .kernarg_segment_align: 8
    .kernarg_segment_size: 3320
    .language:       OpenCL C
    .language_version:
      - 2
      - 0
    .max_flat_workgroup_size: 512
    .name:           _ZN2at6native12_GLOBAL__N_125multi_tensor_apply_kernelINS1_18TensorListMetadataILi4EEENS1_32PointwiseOpScalar0dTensorFunctorIdLi4ELi2ELi3EEEJSt10multipliesIdEdEEEvT_T0_DpT1_
    .private_segment_fixed_size: 0
    .sgpr_count:     29
    .sgpr_spill_count: 0
    .symbol:         _ZN2at6native12_GLOBAL__N_125multi_tensor_apply_kernelINS1_18TensorListMetadataILi4EEENS1_32PointwiseOpScalar0dTensorFunctorIdLi4ELi2ELi3EEEJSt10multipliesIdEdEEEvT_T0_DpT1_.kd
    .uniform_work_group_size: 1
    .uses_dynamic_stack: false
    .vgpr_count:     34
    .vgpr_spill_count: 0
    .wavefront_size: 32
  - .args:
      - .offset:         0
        .size:           3048
        .value_kind:     by_value
      - .offset:         3048
        .size:           1
        .value_kind:     by_value
      - .offset:         3049
        .size:           1
        .value_kind:     by_value
      - .offset:         3052
        .size:           4
        .value_kind:     by_value
      - .offset:         3056
        .size:           4
        .value_kind:     hidden_block_count_x
      - .offset:         3060
        .size:           4
        .value_kind:     hidden_block_count_y
      - .offset:         3064
        .size:           4
        .value_kind:     hidden_block_count_z
      - .offset:         3068
        .size:           2
        .value_kind:     hidden_group_size_x
      - .offset:         3070
        .size:           2
        .value_kind:     hidden_group_size_y
      - .offset:         3072
        .size:           2
        .value_kind:     hidden_group_size_z
      - .offset:         3074
        .size:           2
        .value_kind:     hidden_remainder_x
      - .offset:         3076
        .size:           2
        .value_kind:     hidden_remainder_y
      - .offset:         3078
        .size:           2
        .value_kind:     hidden_remainder_z
      - .offset:         3096
        .size:           8
        .value_kind:     hidden_global_offset_x
      - .offset:         3104
        .size:           8
        .value_kind:     hidden_global_offset_y
      - .offset:         3112
        .size:           8
        .value_kind:     hidden_global_offset_z
      - .offset:         3120
        .size:           2
        .value_kind:     hidden_grid_dims
    .group_segment_fixed_size: 0
    .kernarg_segment_align: 8
    .kernarg_segment_size: 3312
    .language:       OpenCL C
    .language_version:
      - 2
      - 0
    .max_flat_workgroup_size: 512
    .name:           _ZN2at6native12_GLOBAL__N_125multi_tensor_apply_kernelINS1_18TensorListMetadataILi4EEENS1_32PointwiseOpScalar0dTensorFunctorIfLi4ELi2ELi3EEEJSt10multipliesIfEfEEEvT_T0_DpT1_
    .private_segment_fixed_size: 0
    .sgpr_count:     30
    .sgpr_spill_count: 0
    .symbol:         _ZN2at6native12_GLOBAL__N_125multi_tensor_apply_kernelINS1_18TensorListMetadataILi4EEENS1_32PointwiseOpScalar0dTensorFunctorIfLi4ELi2ELi3EEEJSt10multipliesIfEfEEEvT_T0_DpT1_.kd
    .uniform_work_group_size: 1
    .uses_dynamic_stack: false
    .vgpr_count:     28
    .vgpr_spill_count: 0
    .wavefront_size: 32
  - .args:
      - .offset:         0
        .size:           3048
        .value_kind:     by_value
      - .offset:         3048
        .size:           1
        .value_kind:     by_value
      - .offset:         3049
        .size:           1
        .value_kind:     by_value
      - .offset:         3056
        .size:           16
        .value_kind:     by_value
      - .offset:         3072
        .size:           4
        .value_kind:     hidden_block_count_x
      - .offset:         3076
        .size:           4
        .value_kind:     hidden_block_count_y
      - .offset:         3080
        .size:           4
        .value_kind:     hidden_block_count_z
      - .offset:         3084
        .size:           2
        .value_kind:     hidden_group_size_x
      - .offset:         3086
        .size:           2
        .value_kind:     hidden_group_size_y
      - .offset:         3088
        .size:           2
        .value_kind:     hidden_group_size_z
      - .offset:         3090
        .size:           2
        .value_kind:     hidden_remainder_x
      - .offset:         3092
        .size:           2
        .value_kind:     hidden_remainder_y
      - .offset:         3094
        .size:           2
        .value_kind:     hidden_remainder_z
      - .offset:         3112
        .size:           8
        .value_kind:     hidden_global_offset_x
      - .offset:         3120
        .size:           8
        .value_kind:     hidden_global_offset_y
      - .offset:         3128
        .size:           8
        .value_kind:     hidden_global_offset_z
      - .offset:         3136
        .size:           2
        .value_kind:     hidden_grid_dims
    .group_segment_fixed_size: 0
    .kernarg_segment_align: 16
    .kernarg_segment_size: 3328
    .language:       OpenCL C
    .language_version:
      - 2
      - 0
    .max_flat_workgroup_size: 512
    .name:           _ZN2at6native12_GLOBAL__N_125multi_tensor_apply_kernelINS1_18TensorListMetadataILi4EEENS1_32PointwiseOpScalar0dTensorFunctorIN3c107complexIdEELi4ELi2ELi3EEEJSt10multipliesIS8_ES8_EEEvT_T0_DpT1_
    .private_segment_fixed_size: 0
    .sgpr_count:     33
    .sgpr_spill_count: 0
    .symbol:         _ZN2at6native12_GLOBAL__N_125multi_tensor_apply_kernelINS1_18TensorListMetadataILi4EEENS1_32PointwiseOpScalar0dTensorFunctorIN3c107complexIdEELi4ELi2ELi3EEEJSt10multipliesIS8_ES8_EEEvT_T0_DpT1_.kd
    .uniform_work_group_size: 1
    .uses_dynamic_stack: false
    .vgpr_count:     50
    .vgpr_spill_count: 0
    .wavefront_size: 32
  - .args:
      - .offset:         0
        .size:           3048
        .value_kind:     by_value
      - .offset:         3048
        .size:           1
        .value_kind:     by_value
      - .offset:         3049
        .size:           1
        .value_kind:     by_value
      - .offset:         3056
        .size:           8
        .value_kind:     by_value
      - .offset:         3064
        .size:           4
        .value_kind:     hidden_block_count_x
      - .offset:         3068
        .size:           4
        .value_kind:     hidden_block_count_y
      - .offset:         3072
        .size:           4
        .value_kind:     hidden_block_count_z
      - .offset:         3076
        .size:           2
        .value_kind:     hidden_group_size_x
      - .offset:         3078
        .size:           2
        .value_kind:     hidden_group_size_y
      - .offset:         3080
        .size:           2
        .value_kind:     hidden_group_size_z
      - .offset:         3082
        .size:           2
        .value_kind:     hidden_remainder_x
      - .offset:         3084
        .size:           2
        .value_kind:     hidden_remainder_y
      - .offset:         3086
        .size:           2
        .value_kind:     hidden_remainder_z
      - .offset:         3104
        .size:           8
        .value_kind:     hidden_global_offset_x
      - .offset:         3112
        .size:           8
        .value_kind:     hidden_global_offset_y
      - .offset:         3120
        .size:           8
        .value_kind:     hidden_global_offset_z
      - .offset:         3128
        .size:           2
        .value_kind:     hidden_grid_dims
    .group_segment_fixed_size: 0
    .kernarg_segment_align: 8
    .kernarg_segment_size: 3320
    .language:       OpenCL C
    .language_version:
      - 2
      - 0
    .max_flat_workgroup_size: 512
    .name:           _ZN2at6native12_GLOBAL__N_125multi_tensor_apply_kernelINS1_18TensorListMetadataILi4EEENS1_32PointwiseOpScalar0dTensorFunctorIN3c107complexIfEELi4ELi2ELi3EEEJSt10multipliesIS8_ES8_EEEvT_T0_DpT1_
    .private_segment_fixed_size: 0
    .sgpr_count:     29
    .sgpr_spill_count: 0
    .symbol:         _ZN2at6native12_GLOBAL__N_125multi_tensor_apply_kernelINS1_18TensorListMetadataILi4EEENS1_32PointwiseOpScalar0dTensorFunctorIN3c107complexIfEELi4ELi2ELi3EEEJSt10multipliesIS8_ES8_EEEvT_T0_DpT1_.kd
    .uniform_work_group_size: 1
    .uses_dynamic_stack: false
    .vgpr_count:     60
    .vgpr_spill_count: 0
    .wavefront_size: 32
  - .args:
      - .offset:         0
        .size:           3048
        .value_kind:     by_value
      - .offset:         3048
        .size:           1
        .value_kind:     by_value
      - .offset:         3049
        .size:           1
        .value_kind:     by_value
      - .offset:         3052
        .size:           4
        .value_kind:     by_value
      - .offset:         3056
        .size:           4
        .value_kind:     hidden_block_count_x
      - .offset:         3060
        .size:           4
        .value_kind:     hidden_block_count_y
      - .offset:         3064
        .size:           4
        .value_kind:     hidden_block_count_z
      - .offset:         3068
        .size:           2
        .value_kind:     hidden_group_size_x
      - .offset:         3070
        .size:           2
        .value_kind:     hidden_group_size_y
      - .offset:         3072
        .size:           2
        .value_kind:     hidden_group_size_z
      - .offset:         3074
        .size:           2
        .value_kind:     hidden_remainder_x
      - .offset:         3076
        .size:           2
        .value_kind:     hidden_remainder_y
      - .offset:         3078
        .size:           2
        .value_kind:     hidden_remainder_z
      - .offset:         3096
        .size:           8
        .value_kind:     hidden_global_offset_x
      - .offset:         3104
        .size:           8
        .value_kind:     hidden_global_offset_y
      - .offset:         3112
        .size:           8
        .value_kind:     hidden_global_offset_z
      - .offset:         3120
        .size:           2
        .value_kind:     hidden_grid_dims
    .group_segment_fixed_size: 0
    .kernarg_segment_align: 8
    .kernarg_segment_size: 3312
    .language:       OpenCL C
    .language_version:
      - 2
      - 0
    .max_flat_workgroup_size: 512
    .name:           _ZN2at6native12_GLOBAL__N_125multi_tensor_apply_kernelINS1_18TensorListMetadataILi4EEENS1_32PointwiseOpScalar0dTensorFunctorIN3c104HalfELi4ELi2ELi3EEEJSt10multipliesIfEfEEEvT_T0_DpT1_
    .private_segment_fixed_size: 0
    .sgpr_count:     29
    .sgpr_spill_count: 0
    .symbol:         _ZN2at6native12_GLOBAL__N_125multi_tensor_apply_kernelINS1_18TensorListMetadataILi4EEENS1_32PointwiseOpScalar0dTensorFunctorIN3c104HalfELi4ELi2ELi3EEEJSt10multipliesIfEfEEEvT_T0_DpT1_.kd
    .uniform_work_group_size: 1
    .uses_dynamic_stack: false
    .vgpr_count:     30
    .vgpr_spill_count: 0
    .wavefront_size: 32
  - .args:
      - .offset:         0
        .size:           3048
        .value_kind:     by_value
      - .offset:         3048
        .size:           1
        .value_kind:     by_value
      - .offset:         3049
        .size:           1
        .value_kind:     by_value
      - .offset:         3052
        .size:           4
        .value_kind:     by_value
      - .offset:         3056
        .size:           4
        .value_kind:     hidden_block_count_x
      - .offset:         3060
        .size:           4
        .value_kind:     hidden_block_count_y
      - .offset:         3064
        .size:           4
        .value_kind:     hidden_block_count_z
      - .offset:         3068
        .size:           2
        .value_kind:     hidden_group_size_x
      - .offset:         3070
        .size:           2
        .value_kind:     hidden_group_size_y
      - .offset:         3072
        .size:           2
        .value_kind:     hidden_group_size_z
      - .offset:         3074
        .size:           2
        .value_kind:     hidden_remainder_x
      - .offset:         3076
        .size:           2
        .value_kind:     hidden_remainder_y
      - .offset:         3078
        .size:           2
        .value_kind:     hidden_remainder_z
      - .offset:         3096
        .size:           8
        .value_kind:     hidden_global_offset_x
      - .offset:         3104
        .size:           8
        .value_kind:     hidden_global_offset_y
      - .offset:         3112
        .size:           8
        .value_kind:     hidden_global_offset_z
      - .offset:         3120
        .size:           2
        .value_kind:     hidden_grid_dims
    .group_segment_fixed_size: 0
    .kernarg_segment_align: 8
    .kernarg_segment_size: 3312
    .language:       OpenCL C
    .language_version:
      - 2
      - 0
    .max_flat_workgroup_size: 512
    .name:           _ZN2at6native12_GLOBAL__N_125multi_tensor_apply_kernelINS1_18TensorListMetadataILi4EEENS1_32PointwiseOpScalar0dTensorFunctorIN3c108BFloat16ELi4ELi2ELi3EEEJSt10multipliesIfEfEEEvT_T0_DpT1_
    .private_segment_fixed_size: 0
    .sgpr_count:     30
    .sgpr_spill_count: 0
    .symbol:         _ZN2at6native12_GLOBAL__N_125multi_tensor_apply_kernelINS1_18TensorListMetadataILi4EEENS1_32PointwiseOpScalar0dTensorFunctorIN3c108BFloat16ELi4ELi2ELi3EEEJSt10multipliesIfEfEEEvT_T0_DpT1_.kd
    .uniform_work_group_size: 1
    .uses_dynamic_stack: false
    .vgpr_count:     25
    .vgpr_spill_count: 0
    .wavefront_size: 32
  - .args:
      - .offset:         0
        .size:           3144
        .value_kind:     by_value
      - .offset:         3144
        .size:           1
        .value_kind:     by_value
      - .offset:         3145
        .size:           1
        .value_kind:     by_value
      - .offset:         3146
        .size:           1
        .value_kind:     by_value
      - .offset:         3152
        .size:           4
        .value_kind:     hidden_block_count_x
      - .offset:         3156
        .size:           4
        .value_kind:     hidden_block_count_y
      - .offset:         3160
        .size:           4
        .value_kind:     hidden_block_count_z
      - .offset:         3164
        .size:           2
        .value_kind:     hidden_group_size_x
      - .offset:         3166
        .size:           2
        .value_kind:     hidden_group_size_y
      - .offset:         3168
        .size:           2
        .value_kind:     hidden_group_size_z
      - .offset:         3170
        .size:           2
        .value_kind:     hidden_remainder_x
      - .offset:         3172
        .size:           2
        .value_kind:     hidden_remainder_y
      - .offset:         3174
        .size:           2
        .value_kind:     hidden_remainder_z
      - .offset:         3192
        .size:           8
        .value_kind:     hidden_global_offset_x
      - .offset:         3200
        .size:           8
        .value_kind:     hidden_global_offset_y
      - .offset:         3208
        .size:           8
        .value_kind:     hidden_global_offset_z
      - .offset:         3216
        .size:           2
        .value_kind:     hidden_grid_dims
    .group_segment_fixed_size: 0
    .kernarg_segment_align: 8
    .kernarg_segment_size: 3408
    .language:       OpenCL C
    .language_version:
      - 2
      - 0
    .max_flat_workgroup_size: 512
    .name:           _ZN2at6native12_GLOBAL__N_125multi_tensor_apply_kernelINS1_18TensorListMetadataILi3EEENS1_24PointwiseOpScalarFunctorIhLi3ELi3ELi0EEEJSt10multipliesIhEhEEEvT_T0_DpT1_
    .private_segment_fixed_size: 0
    .sgpr_count:     24
    .sgpr_spill_count: 0
    .symbol:         _ZN2at6native12_GLOBAL__N_125multi_tensor_apply_kernelINS1_18TensorListMetadataILi3EEENS1_24PointwiseOpScalarFunctorIhLi3ELi3ELi0EEEJSt10multipliesIhEhEEEvT_T0_DpT1_.kd
    .uniform_work_group_size: 1
    .uses_dynamic_stack: false
    .vgpr_count:     52
    .vgpr_spill_count: 0
    .wavefront_size: 32
  - .args:
      - .offset:         0
        .size:           3144
        .value_kind:     by_value
      - .offset:         3144
        .size:           1
        .value_kind:     by_value
      - .offset:         3145
        .size:           1
        .value_kind:     by_value
      - .offset:         3146
        .size:           1
        .value_kind:     by_value
      - .offset:         3152
        .size:           4
        .value_kind:     hidden_block_count_x
      - .offset:         3156
        .size:           4
        .value_kind:     hidden_block_count_y
      - .offset:         3160
        .size:           4
        .value_kind:     hidden_block_count_z
      - .offset:         3164
        .size:           2
        .value_kind:     hidden_group_size_x
      - .offset:         3166
        .size:           2
        .value_kind:     hidden_group_size_y
      - .offset:         3168
        .size:           2
        .value_kind:     hidden_group_size_z
      - .offset:         3170
        .size:           2
        .value_kind:     hidden_remainder_x
      - .offset:         3172
        .size:           2
        .value_kind:     hidden_remainder_y
      - .offset:         3174
        .size:           2
        .value_kind:     hidden_remainder_z
      - .offset:         3192
        .size:           8
        .value_kind:     hidden_global_offset_x
      - .offset:         3200
        .size:           8
        .value_kind:     hidden_global_offset_y
      - .offset:         3208
        .size:           8
        .value_kind:     hidden_global_offset_z
      - .offset:         3216
        .size:           2
        .value_kind:     hidden_grid_dims
    .group_segment_fixed_size: 0
    .kernarg_segment_align: 8
    .kernarg_segment_size: 3408
    .language:       OpenCL C
    .language_version:
      - 2
      - 0
    .max_flat_workgroup_size: 512
    .name:           _ZN2at6native12_GLOBAL__N_125multi_tensor_apply_kernelINS1_18TensorListMetadataILi3EEENS1_24PointwiseOpScalarFunctorIaLi3ELi3ELi0EEEJSt10multipliesIaEaEEEvT_T0_DpT1_
    .private_segment_fixed_size: 0
    .sgpr_count:     24
    .sgpr_spill_count: 0
    .symbol:         _ZN2at6native12_GLOBAL__N_125multi_tensor_apply_kernelINS1_18TensorListMetadataILi3EEENS1_24PointwiseOpScalarFunctorIaLi3ELi3ELi0EEEJSt10multipliesIaEaEEEvT_T0_DpT1_.kd
    .uniform_work_group_size: 1
    .uses_dynamic_stack: false
    .vgpr_count:     52
    .vgpr_spill_count: 0
    .wavefront_size: 32
  - .args:
      - .offset:         0
        .size:           3144
        .value_kind:     by_value
      - .offset:         3144
        .size:           1
        .value_kind:     by_value
      - .offset:         3145
        .size:           1
        .value_kind:     by_value
      - .offset:         3148
        .size:           4
        .value_kind:     by_value
      - .offset:         3152
        .size:           4
        .value_kind:     hidden_block_count_x
      - .offset:         3156
        .size:           4
        .value_kind:     hidden_block_count_y
      - .offset:         3160
        .size:           4
        .value_kind:     hidden_block_count_z
      - .offset:         3164
        .size:           2
        .value_kind:     hidden_group_size_x
      - .offset:         3166
        .size:           2
        .value_kind:     hidden_group_size_y
      - .offset:         3168
        .size:           2
        .value_kind:     hidden_group_size_z
      - .offset:         3170
        .size:           2
        .value_kind:     hidden_remainder_x
      - .offset:         3172
        .size:           2
        .value_kind:     hidden_remainder_y
      - .offset:         3174
        .size:           2
        .value_kind:     hidden_remainder_z
      - .offset:         3192
        .size:           8
        .value_kind:     hidden_global_offset_x
      - .offset:         3200
        .size:           8
        .value_kind:     hidden_global_offset_y
      - .offset:         3208
        .size:           8
        .value_kind:     hidden_global_offset_z
      - .offset:         3216
        .size:           2
        .value_kind:     hidden_grid_dims
    .group_segment_fixed_size: 0
    .kernarg_segment_align: 8
    .kernarg_segment_size: 3408
    .language:       OpenCL C
    .language_version:
      - 2
      - 0
    .max_flat_workgroup_size: 512
    .name:           _ZN2at6native12_GLOBAL__N_125multi_tensor_apply_kernelINS1_18TensorListMetadataILi3EEENS1_24PointwiseOpScalarFunctorIiLi3ELi3ELi0EEEJSt10multipliesIiEiEEEvT_T0_DpT1_
    .private_segment_fixed_size: 0
    .sgpr_count:     25
    .sgpr_spill_count: 0
    .symbol:         _ZN2at6native12_GLOBAL__N_125multi_tensor_apply_kernelINS1_18TensorListMetadataILi3EEENS1_24PointwiseOpScalarFunctorIiLi3ELi3ELi0EEEJSt10multipliesIiEiEEEvT_T0_DpT1_.kd
    .uniform_work_group_size: 1
    .uses_dynamic_stack: false
    .vgpr_count:     52
    .vgpr_spill_count: 0
    .wavefront_size: 32
  - .args:
      - .offset:         0
        .size:           3144
        .value_kind:     by_value
      - .offset:         3144
        .size:           1
        .value_kind:     by_value
      - .offset:         3145
        .size:           1
        .value_kind:     by_value
      - .offset:         3152
        .size:           8
        .value_kind:     by_value
      - .offset:         3160
        .size:           4
        .value_kind:     hidden_block_count_x
      - .offset:         3164
        .size:           4
        .value_kind:     hidden_block_count_y
      - .offset:         3168
        .size:           4
        .value_kind:     hidden_block_count_z
      - .offset:         3172
        .size:           2
        .value_kind:     hidden_group_size_x
      - .offset:         3174
        .size:           2
        .value_kind:     hidden_group_size_y
      - .offset:         3176
        .size:           2
        .value_kind:     hidden_group_size_z
      - .offset:         3178
        .size:           2
        .value_kind:     hidden_remainder_x
      - .offset:         3180
        .size:           2
        .value_kind:     hidden_remainder_y
      - .offset:         3182
        .size:           2
        .value_kind:     hidden_remainder_z
      - .offset:         3200
        .size:           8
        .value_kind:     hidden_global_offset_x
      - .offset:         3208
        .size:           8
        .value_kind:     hidden_global_offset_y
      - .offset:         3216
        .size:           8
        .value_kind:     hidden_global_offset_z
      - .offset:         3224
        .size:           2
        .value_kind:     hidden_grid_dims
    .group_segment_fixed_size: 0
    .kernarg_segment_align: 8
    .kernarg_segment_size: 3416
    .language:       OpenCL C
    .language_version:
      - 2
      - 0
    .max_flat_workgroup_size: 512
    .name:           _ZN2at6native12_GLOBAL__N_125multi_tensor_apply_kernelINS1_18TensorListMetadataILi3EEENS1_24PointwiseOpScalarFunctorIlLi3ELi3ELi0EEEJSt10multipliesIlElEEEvT_T0_DpT1_
    .private_segment_fixed_size: 0
    .sgpr_count:     30
    .sgpr_spill_count: 0
    .symbol:         _ZN2at6native12_GLOBAL__N_125multi_tensor_apply_kernelINS1_18TensorListMetadataILi3EEENS1_24PointwiseOpScalarFunctorIlLi3ELi3ELi0EEEJSt10multipliesIlElEEEvT_T0_DpT1_.kd
    .uniform_work_group_size: 1
    .uses_dynamic_stack: false
    .vgpr_count:     64
    .vgpr_spill_count: 0
    .wavefront_size: 32
  - .args:
      - .offset:         0
        .size:           3144
        .value_kind:     by_value
      - .offset:         3144
        .size:           1
        .value_kind:     by_value
      - .offset:         3145
        .size:           1
        .value_kind:     by_value
      - .offset:         3146
        .size:           2
        .value_kind:     by_value
      - .offset:         3152
        .size:           4
        .value_kind:     hidden_block_count_x
      - .offset:         3156
        .size:           4
        .value_kind:     hidden_block_count_y
      - .offset:         3160
        .size:           4
        .value_kind:     hidden_block_count_z
      - .offset:         3164
        .size:           2
        .value_kind:     hidden_group_size_x
      - .offset:         3166
        .size:           2
        .value_kind:     hidden_group_size_y
      - .offset:         3168
        .size:           2
        .value_kind:     hidden_group_size_z
      - .offset:         3170
        .size:           2
        .value_kind:     hidden_remainder_x
      - .offset:         3172
        .size:           2
        .value_kind:     hidden_remainder_y
      - .offset:         3174
        .size:           2
        .value_kind:     hidden_remainder_z
      - .offset:         3192
        .size:           8
        .value_kind:     hidden_global_offset_x
      - .offset:         3200
        .size:           8
        .value_kind:     hidden_global_offset_y
      - .offset:         3208
        .size:           8
        .value_kind:     hidden_global_offset_z
      - .offset:         3216
        .size:           2
        .value_kind:     hidden_grid_dims
    .group_segment_fixed_size: 0
    .kernarg_segment_align: 8
    .kernarg_segment_size: 3408
    .language:       OpenCL C
    .language_version:
      - 2
      - 0
    .max_flat_workgroup_size: 512
    .name:           _ZN2at6native12_GLOBAL__N_125multi_tensor_apply_kernelINS1_18TensorListMetadataILi3EEENS1_24PointwiseOpScalarFunctorIsLi3ELi3ELi0EEEJSt10multipliesIsEsEEEvT_T0_DpT1_
    .private_segment_fixed_size: 0
    .sgpr_count:     25
    .sgpr_spill_count: 0
    .symbol:         _ZN2at6native12_GLOBAL__N_125multi_tensor_apply_kernelINS1_18TensorListMetadataILi3EEENS1_24PointwiseOpScalarFunctorIsLi3ELi3ELi0EEEJSt10multipliesIsEsEEEvT_T0_DpT1_.kd
    .uniform_work_group_size: 1
    .uses_dynamic_stack: false
    .vgpr_count:     52
    .vgpr_spill_count: 0
    .wavefront_size: 32
  - .args:
      - .offset:         0
        .size:           3144
        .value_kind:     by_value
      - .offset:         3144
        .size:           1
        .value_kind:     by_value
      - .offset:         3145
        .size:           1
        .value_kind:     by_value
      - .offset:         3152
        .size:           8
        .value_kind:     by_value
      - .offset:         3160
        .size:           4
        .value_kind:     hidden_block_count_x
      - .offset:         3164
        .size:           4
        .value_kind:     hidden_block_count_y
      - .offset:         3168
        .size:           4
        .value_kind:     hidden_block_count_z
      - .offset:         3172
        .size:           2
        .value_kind:     hidden_group_size_x
      - .offset:         3174
        .size:           2
        .value_kind:     hidden_group_size_y
      - .offset:         3176
        .size:           2
        .value_kind:     hidden_group_size_z
      - .offset:         3178
        .size:           2
        .value_kind:     hidden_remainder_x
      - .offset:         3180
        .size:           2
        .value_kind:     hidden_remainder_y
      - .offset:         3182
        .size:           2
        .value_kind:     hidden_remainder_z
      - .offset:         3200
        .size:           8
        .value_kind:     hidden_global_offset_x
      - .offset:         3208
        .size:           8
        .value_kind:     hidden_global_offset_y
      - .offset:         3216
        .size:           8
        .value_kind:     hidden_global_offset_z
      - .offset:         3224
        .size:           2
        .value_kind:     hidden_grid_dims
    .group_segment_fixed_size: 0
    .kernarg_segment_align: 8
    .kernarg_segment_size: 3416
    .language:       OpenCL C
    .language_version:
      - 2
      - 0
    .max_flat_workgroup_size: 512
    .name:           _ZN2at6native12_GLOBAL__N_125multi_tensor_apply_kernelINS1_18TensorListMetadataILi3EEENS1_24PointwiseOpScalarFunctorIdLi3ELi3ELi0EEEJSt10multipliesIdEdEEEvT_T0_DpT1_
    .private_segment_fixed_size: 0
    .sgpr_count:     32
    .sgpr_spill_count: 0
    .symbol:         _ZN2at6native12_GLOBAL__N_125multi_tensor_apply_kernelINS1_18TensorListMetadataILi3EEENS1_24PointwiseOpScalarFunctorIdLi3ELi3ELi0EEEJSt10multipliesIdEdEEEvT_T0_DpT1_.kd
    .uniform_work_group_size: 1
    .uses_dynamic_stack: false
    .vgpr_count:     64
    .vgpr_spill_count: 0
    .wavefront_size: 32
  - .args:
      - .offset:         0
        .size:           3144
        .value_kind:     by_value
      - .offset:         3144
        .size:           1
        .value_kind:     by_value
      - .offset:         3145
        .size:           1
        .value_kind:     by_value
      - .offset:         3148
        .size:           4
        .value_kind:     by_value
      - .offset:         3152
        .size:           4
        .value_kind:     hidden_block_count_x
      - .offset:         3156
        .size:           4
        .value_kind:     hidden_block_count_y
      - .offset:         3160
        .size:           4
        .value_kind:     hidden_block_count_z
      - .offset:         3164
        .size:           2
        .value_kind:     hidden_group_size_x
      - .offset:         3166
        .size:           2
        .value_kind:     hidden_group_size_y
      - .offset:         3168
        .size:           2
        .value_kind:     hidden_group_size_z
      - .offset:         3170
        .size:           2
        .value_kind:     hidden_remainder_x
      - .offset:         3172
        .size:           2
        .value_kind:     hidden_remainder_y
      - .offset:         3174
        .size:           2
        .value_kind:     hidden_remainder_z
      - .offset:         3192
        .size:           8
        .value_kind:     hidden_global_offset_x
      - .offset:         3200
        .size:           8
        .value_kind:     hidden_global_offset_y
      - .offset:         3208
        .size:           8
        .value_kind:     hidden_global_offset_z
      - .offset:         3216
        .size:           2
        .value_kind:     hidden_grid_dims
    .group_segment_fixed_size: 0
    .kernarg_segment_align: 8
    .kernarg_segment_size: 3408
    .language:       OpenCL C
    .language_version:
      - 2
      - 0
    .max_flat_workgroup_size: 512
    .name:           _ZN2at6native12_GLOBAL__N_125multi_tensor_apply_kernelINS1_18TensorListMetadataILi3EEENS1_24PointwiseOpScalarFunctorIfLi3ELi3ELi0EEEJSt10multipliesIfEfEEEvT_T0_DpT1_
    .private_segment_fixed_size: 0
    .sgpr_count:     26
    .sgpr_spill_count: 0
    .symbol:         _ZN2at6native12_GLOBAL__N_125multi_tensor_apply_kernelINS1_18TensorListMetadataILi3EEENS1_24PointwiseOpScalarFunctorIfLi3ELi3ELi0EEEJSt10multipliesIfEfEEEvT_T0_DpT1_.kd
    .uniform_work_group_size: 1
    .uses_dynamic_stack: false
    .vgpr_count:     52
    .vgpr_spill_count: 0
    .wavefront_size: 32
  - .args:
      - .offset:         0
        .size:           3144
        .value_kind:     by_value
      - .offset:         3144
        .size:           1
        .value_kind:     by_value
      - .offset:         3145
        .size:           1
        .value_kind:     by_value
      - .offset:         3152
        .size:           16
        .value_kind:     by_value
      - .offset:         3168
        .size:           4
        .value_kind:     hidden_block_count_x
      - .offset:         3172
        .size:           4
        .value_kind:     hidden_block_count_y
      - .offset:         3176
        .size:           4
        .value_kind:     hidden_block_count_z
      - .offset:         3180
        .size:           2
        .value_kind:     hidden_group_size_x
      - .offset:         3182
        .size:           2
        .value_kind:     hidden_group_size_y
      - .offset:         3184
        .size:           2
        .value_kind:     hidden_group_size_z
      - .offset:         3186
        .size:           2
        .value_kind:     hidden_remainder_x
      - .offset:         3188
        .size:           2
        .value_kind:     hidden_remainder_y
      - .offset:         3190
        .size:           2
        .value_kind:     hidden_remainder_z
      - .offset:         3208
        .size:           8
        .value_kind:     hidden_global_offset_x
      - .offset:         3216
        .size:           8
        .value_kind:     hidden_global_offset_y
      - .offset:         3224
        .size:           8
        .value_kind:     hidden_global_offset_z
      - .offset:         3232
        .size:           2
        .value_kind:     hidden_grid_dims
    .group_segment_fixed_size: 0
    .kernarg_segment_align: 16
    .kernarg_segment_size: 3424
    .language:       OpenCL C
    .language_version:
      - 2
      - 0
    .max_flat_workgroup_size: 512
    .name:           _ZN2at6native12_GLOBAL__N_125multi_tensor_apply_kernelINS1_18TensorListMetadataILi3EEENS1_24PointwiseOpScalarFunctorIN3c107complexIdEELi3ELi3ELi0EEEJSt10multipliesIS8_ES8_EEEvT_T0_DpT1_
    .private_segment_fixed_size: 0
    .sgpr_count:     32
    .sgpr_spill_count: 0
    .symbol:         _ZN2at6native12_GLOBAL__N_125multi_tensor_apply_kernelINS1_18TensorListMetadataILi3EEENS1_24PointwiseOpScalarFunctorIN3c107complexIdEELi3ELi3ELi0EEEJSt10multipliesIS8_ES8_EEEvT_T0_DpT1_.kd
    .uniform_work_group_size: 1
    .uses_dynamic_stack: false
    .vgpr_count:     62
    .vgpr_spill_count: 0
    .wavefront_size: 32
  - .args:
      - .offset:         0
        .size:           3144
        .value_kind:     by_value
      - .offset:         3144
        .size:           1
        .value_kind:     by_value
      - .offset:         3145
        .size:           1
        .value_kind:     by_value
      - .offset:         3152
        .size:           8
        .value_kind:     by_value
      - .offset:         3160
        .size:           4
        .value_kind:     hidden_block_count_x
      - .offset:         3164
        .size:           4
        .value_kind:     hidden_block_count_y
      - .offset:         3168
        .size:           4
        .value_kind:     hidden_block_count_z
      - .offset:         3172
        .size:           2
        .value_kind:     hidden_group_size_x
      - .offset:         3174
        .size:           2
        .value_kind:     hidden_group_size_y
      - .offset:         3176
        .size:           2
        .value_kind:     hidden_group_size_z
      - .offset:         3178
        .size:           2
        .value_kind:     hidden_remainder_x
      - .offset:         3180
        .size:           2
        .value_kind:     hidden_remainder_y
      - .offset:         3182
        .size:           2
        .value_kind:     hidden_remainder_z
      - .offset:         3200
        .size:           8
        .value_kind:     hidden_global_offset_x
      - .offset:         3208
        .size:           8
        .value_kind:     hidden_global_offset_y
      - .offset:         3216
        .size:           8
        .value_kind:     hidden_global_offset_z
      - .offset:         3224
        .size:           2
        .value_kind:     hidden_grid_dims
    .group_segment_fixed_size: 0
    .kernarg_segment_align: 8
    .kernarg_segment_size: 3416
    .language:       OpenCL C
    .language_version:
      - 2
      - 0
    .max_flat_workgroup_size: 512
    .name:           _ZN2at6native12_GLOBAL__N_125multi_tensor_apply_kernelINS1_18TensorListMetadataILi3EEENS1_24PointwiseOpScalarFunctorIN3c107complexIfEELi3ELi3ELi0EEEJSt10multipliesIS8_ES8_EEEvT_T0_DpT1_
    .private_segment_fixed_size: 0
    .sgpr_count:     33
    .sgpr_spill_count: 0
    .symbol:         _ZN2at6native12_GLOBAL__N_125multi_tensor_apply_kernelINS1_18TensorListMetadataILi3EEENS1_24PointwiseOpScalarFunctorIN3c107complexIfEELi3ELi3ELi0EEEJSt10multipliesIS8_ES8_EEEvT_T0_DpT1_.kd
    .uniform_work_group_size: 1
    .uses_dynamic_stack: false
    .vgpr_count:     68
    .vgpr_spill_count: 0
    .wavefront_size: 32
  - .args:
      - .offset:         0
        .size:           3144
        .value_kind:     by_value
      - .offset:         3144
        .size:           1
        .value_kind:     by_value
      - .offset:         3145
        .size:           1
        .value_kind:     by_value
      - .offset:         3148
        .size:           4
        .value_kind:     by_value
      - .offset:         3152
        .size:           4
        .value_kind:     hidden_block_count_x
      - .offset:         3156
        .size:           4
        .value_kind:     hidden_block_count_y
      - .offset:         3160
        .size:           4
        .value_kind:     hidden_block_count_z
      - .offset:         3164
        .size:           2
        .value_kind:     hidden_group_size_x
      - .offset:         3166
        .size:           2
        .value_kind:     hidden_group_size_y
      - .offset:         3168
        .size:           2
        .value_kind:     hidden_group_size_z
      - .offset:         3170
        .size:           2
        .value_kind:     hidden_remainder_x
      - .offset:         3172
        .size:           2
        .value_kind:     hidden_remainder_y
      - .offset:         3174
        .size:           2
        .value_kind:     hidden_remainder_z
      - .offset:         3192
        .size:           8
        .value_kind:     hidden_global_offset_x
      - .offset:         3200
        .size:           8
        .value_kind:     hidden_global_offset_y
      - .offset:         3208
        .size:           8
        .value_kind:     hidden_global_offset_z
      - .offset:         3216
        .size:           2
        .value_kind:     hidden_grid_dims
    .group_segment_fixed_size: 0
    .kernarg_segment_align: 8
    .kernarg_segment_size: 3408
    .language:       OpenCL C
    .language_version:
      - 2
      - 0
    .max_flat_workgroup_size: 512
    .name:           _ZN2at6native12_GLOBAL__N_125multi_tensor_apply_kernelINS1_18TensorListMetadataILi3EEENS1_24PointwiseOpScalarFunctorIN3c104HalfELi3ELi3ELi0EEEJSt10multipliesIfEfEEEvT_T0_DpT1_
    .private_segment_fixed_size: 0
    .sgpr_count:     26
    .sgpr_spill_count: 0
    .symbol:         _ZN2at6native12_GLOBAL__N_125multi_tensor_apply_kernelINS1_18TensorListMetadataILi3EEENS1_24PointwiseOpScalarFunctorIN3c104HalfELi3ELi3ELi0EEEJSt10multipliesIfEfEEEvT_T0_DpT1_.kd
    .uniform_work_group_size: 1
    .uses_dynamic_stack: false
    .vgpr_count:     51
    .vgpr_spill_count: 0
    .wavefront_size: 32
  - .args:
      - .offset:         0
        .size:           3144
        .value_kind:     by_value
      - .offset:         3144
        .size:           1
        .value_kind:     by_value
      - .offset:         3145
        .size:           1
        .value_kind:     by_value
      - .offset:         3148
        .size:           4
        .value_kind:     by_value
      - .offset:         3152
        .size:           4
        .value_kind:     hidden_block_count_x
      - .offset:         3156
        .size:           4
        .value_kind:     hidden_block_count_y
      - .offset:         3160
        .size:           4
        .value_kind:     hidden_block_count_z
      - .offset:         3164
        .size:           2
        .value_kind:     hidden_group_size_x
      - .offset:         3166
        .size:           2
        .value_kind:     hidden_group_size_y
      - .offset:         3168
        .size:           2
        .value_kind:     hidden_group_size_z
      - .offset:         3170
        .size:           2
        .value_kind:     hidden_remainder_x
      - .offset:         3172
        .size:           2
        .value_kind:     hidden_remainder_y
      - .offset:         3174
        .size:           2
        .value_kind:     hidden_remainder_z
      - .offset:         3192
        .size:           8
        .value_kind:     hidden_global_offset_x
      - .offset:         3200
        .size:           8
        .value_kind:     hidden_global_offset_y
      - .offset:         3208
        .size:           8
        .value_kind:     hidden_global_offset_z
      - .offset:         3216
        .size:           2
        .value_kind:     hidden_grid_dims
    .group_segment_fixed_size: 0
    .kernarg_segment_align: 8
    .kernarg_segment_size: 3408
    .language:       OpenCL C
    .language_version:
      - 2
      - 0
    .max_flat_workgroup_size: 512
    .name:           _ZN2at6native12_GLOBAL__N_125multi_tensor_apply_kernelINS1_18TensorListMetadataILi3EEENS1_24PointwiseOpScalarFunctorIN3c108BFloat16ELi3ELi3ELi0EEEJSt10multipliesIfEfEEEvT_T0_DpT1_
    .private_segment_fixed_size: 0
    .sgpr_count:     26
    .sgpr_spill_count: 0
    .symbol:         _ZN2at6native12_GLOBAL__N_125multi_tensor_apply_kernelINS1_18TensorListMetadataILi3EEENS1_24PointwiseOpScalarFunctorIN3c108BFloat16ELi3ELi3ELi0EEEJSt10multipliesIfEfEEEvT_T0_DpT1_.kd
    .uniform_work_group_size: 1
    .uses_dynamic_stack: false
    .vgpr_count:     51
    .vgpr_spill_count: 0
    .wavefront_size: 32
  - .args:
      - .offset:         0
        .size:           3144
        .value_kind:     by_value
      - .offset:         3144
        .size:           1
        .value_kind:     by_value
      - .offset:         3145
        .size:           1
        .value_kind:     by_value
      - .offset:         3146
        .size:           1
        .value_kind:     by_value
      - .offset:         3152
        .size:           4
        .value_kind:     hidden_block_count_x
      - .offset:         3156
        .size:           4
        .value_kind:     hidden_block_count_y
      - .offset:         3160
        .size:           4
        .value_kind:     hidden_block_count_z
      - .offset:         3164
        .size:           2
        .value_kind:     hidden_group_size_x
      - .offset:         3166
        .size:           2
        .value_kind:     hidden_group_size_y
      - .offset:         3168
        .size:           2
        .value_kind:     hidden_group_size_z
      - .offset:         3170
        .size:           2
        .value_kind:     hidden_remainder_x
      - .offset:         3172
        .size:           2
        .value_kind:     hidden_remainder_y
      - .offset:         3174
        .size:           2
        .value_kind:     hidden_remainder_z
      - .offset:         3192
        .size:           8
        .value_kind:     hidden_global_offset_x
      - .offset:         3200
        .size:           8
        .value_kind:     hidden_global_offset_y
      - .offset:         3208
        .size:           8
        .value_kind:     hidden_global_offset_z
      - .offset:         3216
        .size:           2
        .value_kind:     hidden_grid_dims
    .group_segment_fixed_size: 0
    .kernarg_segment_align: 8
    .kernarg_segment_size: 3408
    .language:       OpenCL C
    .language_version:
      - 2
      - 0
    .max_flat_workgroup_size: 512
    .name:           _ZN2at6native12_GLOBAL__N_125multi_tensor_apply_kernelINS1_18TensorListMetadataILi3EEENS1_32PointwiseOpScalar0dTensorFunctorIhLi3ELi2ELi0EEEJSt10multipliesIhEhEEEvT_T0_DpT1_
    .private_segment_fixed_size: 0
    .sgpr_count:     19
    .sgpr_spill_count: 0
    .symbol:         _ZN2at6native12_GLOBAL__N_125multi_tensor_apply_kernelINS1_18TensorListMetadataILi3EEENS1_32PointwiseOpScalar0dTensorFunctorIhLi3ELi2ELi0EEEJSt10multipliesIhEhEEEvT_T0_DpT1_.kd
    .uniform_work_group_size: 1
    .uses_dynamic_stack: false
    .vgpr_count:     45
    .vgpr_spill_count: 0
    .wavefront_size: 32
  - .args:
      - .offset:         0
        .size:           3144
        .value_kind:     by_value
      - .offset:         3144
        .size:           1
        .value_kind:     by_value
      - .offset:         3145
        .size:           1
        .value_kind:     by_value
      - .offset:         3146
        .size:           1
        .value_kind:     by_value
      - .offset:         3152
        .size:           4
        .value_kind:     hidden_block_count_x
      - .offset:         3156
        .size:           4
        .value_kind:     hidden_block_count_y
      - .offset:         3160
        .size:           4
        .value_kind:     hidden_block_count_z
      - .offset:         3164
        .size:           2
        .value_kind:     hidden_group_size_x
      - .offset:         3166
        .size:           2
        .value_kind:     hidden_group_size_y
      - .offset:         3168
        .size:           2
        .value_kind:     hidden_group_size_z
      - .offset:         3170
        .size:           2
        .value_kind:     hidden_remainder_x
      - .offset:         3172
        .size:           2
        .value_kind:     hidden_remainder_y
      - .offset:         3174
        .size:           2
        .value_kind:     hidden_remainder_z
      - .offset:         3192
        .size:           8
        .value_kind:     hidden_global_offset_x
      - .offset:         3200
        .size:           8
        .value_kind:     hidden_global_offset_y
      - .offset:         3208
        .size:           8
        .value_kind:     hidden_global_offset_z
      - .offset:         3216
        .size:           2
        .value_kind:     hidden_grid_dims
    .group_segment_fixed_size: 0
    .kernarg_segment_align: 8
    .kernarg_segment_size: 3408
    .language:       OpenCL C
    .language_version:
      - 2
      - 0
    .max_flat_workgroup_size: 512
    .name:           _ZN2at6native12_GLOBAL__N_125multi_tensor_apply_kernelINS1_18TensorListMetadataILi3EEENS1_32PointwiseOpScalar0dTensorFunctorIaLi3ELi2ELi0EEEJSt10multipliesIaEaEEEvT_T0_DpT1_
    .private_segment_fixed_size: 0
    .sgpr_count:     19
    .sgpr_spill_count: 0
    .symbol:         _ZN2at6native12_GLOBAL__N_125multi_tensor_apply_kernelINS1_18TensorListMetadataILi3EEENS1_32PointwiseOpScalar0dTensorFunctorIaLi3ELi2ELi0EEEJSt10multipliesIaEaEEEvT_T0_DpT1_.kd
    .uniform_work_group_size: 1
    .uses_dynamic_stack: false
    .vgpr_count:     45
    .vgpr_spill_count: 0
    .wavefront_size: 32
  - .args:
      - .offset:         0
        .size:           3144
        .value_kind:     by_value
      - .offset:         3144
        .size:           1
        .value_kind:     by_value
      - .offset:         3145
        .size:           1
        .value_kind:     by_value
      - .offset:         3148
        .size:           4
        .value_kind:     by_value
      - .offset:         3152
        .size:           4
        .value_kind:     hidden_block_count_x
      - .offset:         3156
        .size:           4
        .value_kind:     hidden_block_count_y
      - .offset:         3160
        .size:           4
        .value_kind:     hidden_block_count_z
      - .offset:         3164
        .size:           2
        .value_kind:     hidden_group_size_x
      - .offset:         3166
        .size:           2
        .value_kind:     hidden_group_size_y
      - .offset:         3168
        .size:           2
        .value_kind:     hidden_group_size_z
      - .offset:         3170
        .size:           2
        .value_kind:     hidden_remainder_x
      - .offset:         3172
        .size:           2
        .value_kind:     hidden_remainder_y
      - .offset:         3174
        .size:           2
        .value_kind:     hidden_remainder_z
      - .offset:         3192
        .size:           8
        .value_kind:     hidden_global_offset_x
      - .offset:         3200
        .size:           8
        .value_kind:     hidden_global_offset_y
      - .offset:         3208
        .size:           8
        .value_kind:     hidden_global_offset_z
      - .offset:         3216
        .size:           2
        .value_kind:     hidden_grid_dims
    .group_segment_fixed_size: 0
    .kernarg_segment_align: 8
    .kernarg_segment_size: 3408
    .language:       OpenCL C
    .language_version:
      - 2
      - 0
    .max_flat_workgroup_size: 512
    .name:           _ZN2at6native12_GLOBAL__N_125multi_tensor_apply_kernelINS1_18TensorListMetadataILi3EEENS1_32PointwiseOpScalar0dTensorFunctorIiLi3ELi2ELi0EEEJSt10multipliesIiEiEEEvT_T0_DpT1_
    .private_segment_fixed_size: 0
    .sgpr_count:     27
    .sgpr_spill_count: 0
    .symbol:         _ZN2at6native12_GLOBAL__N_125multi_tensor_apply_kernelINS1_18TensorListMetadataILi3EEENS1_32PointwiseOpScalar0dTensorFunctorIiLi3ELi2ELi0EEEJSt10multipliesIiEiEEEvT_T0_DpT1_.kd
    .uniform_work_group_size: 1
    .uses_dynamic_stack: false
    .vgpr_count:     26
    .vgpr_spill_count: 0
    .wavefront_size: 32
  - .args:
      - .offset:         0
        .size:           3144
        .value_kind:     by_value
      - .offset:         3144
        .size:           1
        .value_kind:     by_value
      - .offset:         3145
        .size:           1
        .value_kind:     by_value
      - .offset:         3152
        .size:           8
        .value_kind:     by_value
      - .offset:         3160
        .size:           4
        .value_kind:     hidden_block_count_x
      - .offset:         3164
        .size:           4
        .value_kind:     hidden_block_count_y
      - .offset:         3168
        .size:           4
        .value_kind:     hidden_block_count_z
      - .offset:         3172
        .size:           2
        .value_kind:     hidden_group_size_x
      - .offset:         3174
        .size:           2
        .value_kind:     hidden_group_size_y
      - .offset:         3176
        .size:           2
        .value_kind:     hidden_group_size_z
      - .offset:         3178
        .size:           2
        .value_kind:     hidden_remainder_x
      - .offset:         3180
        .size:           2
        .value_kind:     hidden_remainder_y
      - .offset:         3182
        .size:           2
        .value_kind:     hidden_remainder_z
      - .offset:         3200
        .size:           8
        .value_kind:     hidden_global_offset_x
      - .offset:         3208
        .size:           8
        .value_kind:     hidden_global_offset_y
      - .offset:         3216
        .size:           8
        .value_kind:     hidden_global_offset_z
      - .offset:         3224
        .size:           2
        .value_kind:     hidden_grid_dims
    .group_segment_fixed_size: 0
    .kernarg_segment_align: 8
    .kernarg_segment_size: 3416
    .language:       OpenCL C
    .language_version:
      - 2
      - 0
    .max_flat_workgroup_size: 512
    .name:           _ZN2at6native12_GLOBAL__N_125multi_tensor_apply_kernelINS1_18TensorListMetadataILi3EEENS1_32PointwiseOpScalar0dTensorFunctorIlLi3ELi2ELi0EEEJSt10multipliesIlElEEEvT_T0_DpT1_
    .private_segment_fixed_size: 0
    .sgpr_count:     27
    .sgpr_spill_count: 0
    .symbol:         _ZN2at6native12_GLOBAL__N_125multi_tensor_apply_kernelINS1_18TensorListMetadataILi3EEENS1_32PointwiseOpScalar0dTensorFunctorIlLi3ELi2ELi0EEEJSt10multipliesIlElEEEvT_T0_DpT1_.kd
    .uniform_work_group_size: 1
    .uses_dynamic_stack: false
    .vgpr_count:     34
    .vgpr_spill_count: 0
    .wavefront_size: 32
  - .args:
      - .offset:         0
        .size:           3144
        .value_kind:     by_value
      - .offset:         3144
        .size:           1
        .value_kind:     by_value
      - .offset:         3145
        .size:           1
        .value_kind:     by_value
      - .offset:         3146
        .size:           2
        .value_kind:     by_value
      - .offset:         3152
        .size:           4
        .value_kind:     hidden_block_count_x
      - .offset:         3156
        .size:           4
        .value_kind:     hidden_block_count_y
      - .offset:         3160
        .size:           4
        .value_kind:     hidden_block_count_z
      - .offset:         3164
        .size:           2
        .value_kind:     hidden_group_size_x
      - .offset:         3166
        .size:           2
        .value_kind:     hidden_group_size_y
      - .offset:         3168
        .size:           2
        .value_kind:     hidden_group_size_z
      - .offset:         3170
        .size:           2
        .value_kind:     hidden_remainder_x
      - .offset:         3172
        .size:           2
        .value_kind:     hidden_remainder_y
      - .offset:         3174
        .size:           2
        .value_kind:     hidden_remainder_z
      - .offset:         3192
        .size:           8
        .value_kind:     hidden_global_offset_x
      - .offset:         3200
        .size:           8
        .value_kind:     hidden_global_offset_y
      - .offset:         3208
        .size:           8
        .value_kind:     hidden_global_offset_z
      - .offset:         3216
        .size:           2
        .value_kind:     hidden_grid_dims
    .group_segment_fixed_size: 0
    .kernarg_segment_align: 8
    .kernarg_segment_size: 3408
    .language:       OpenCL C
    .language_version:
      - 2
      - 0
    .max_flat_workgroup_size: 512
    .name:           _ZN2at6native12_GLOBAL__N_125multi_tensor_apply_kernelINS1_18TensorListMetadataILi3EEENS1_32PointwiseOpScalar0dTensorFunctorIsLi3ELi2ELi0EEEJSt10multipliesIsEsEEEvT_T0_DpT1_
    .private_segment_fixed_size: 0
    .sgpr_count:     24
    .sgpr_spill_count: 0
    .symbol:         _ZN2at6native12_GLOBAL__N_125multi_tensor_apply_kernelINS1_18TensorListMetadataILi3EEENS1_32PointwiseOpScalar0dTensorFunctorIsLi3ELi2ELi0EEEJSt10multipliesIsEsEEEvT_T0_DpT1_.kd
    .uniform_work_group_size: 1
    .uses_dynamic_stack: false
    .vgpr_count:     25
    .vgpr_spill_count: 0
    .wavefront_size: 32
  - .args:
      - .offset:         0
        .size:           3144
        .value_kind:     by_value
      - .offset:         3144
        .size:           1
        .value_kind:     by_value
      - .offset:         3145
        .size:           1
        .value_kind:     by_value
      - .offset:         3152
        .size:           8
        .value_kind:     by_value
      - .offset:         3160
        .size:           4
        .value_kind:     hidden_block_count_x
      - .offset:         3164
        .size:           4
        .value_kind:     hidden_block_count_y
      - .offset:         3168
        .size:           4
        .value_kind:     hidden_block_count_z
      - .offset:         3172
        .size:           2
        .value_kind:     hidden_group_size_x
      - .offset:         3174
        .size:           2
        .value_kind:     hidden_group_size_y
      - .offset:         3176
        .size:           2
        .value_kind:     hidden_group_size_z
      - .offset:         3178
        .size:           2
        .value_kind:     hidden_remainder_x
      - .offset:         3180
        .size:           2
        .value_kind:     hidden_remainder_y
      - .offset:         3182
        .size:           2
        .value_kind:     hidden_remainder_z
      - .offset:         3200
        .size:           8
        .value_kind:     hidden_global_offset_x
      - .offset:         3208
        .size:           8
        .value_kind:     hidden_global_offset_y
      - .offset:         3216
        .size:           8
        .value_kind:     hidden_global_offset_z
      - .offset:         3224
        .size:           2
        .value_kind:     hidden_grid_dims
    .group_segment_fixed_size: 0
    .kernarg_segment_align: 8
    .kernarg_segment_size: 3416
    .language:       OpenCL C
    .language_version:
      - 2
      - 0
    .max_flat_workgroup_size: 512
    .name:           _ZN2at6native12_GLOBAL__N_125multi_tensor_apply_kernelINS1_18TensorListMetadataILi3EEENS1_32PointwiseOpScalar0dTensorFunctorIdLi3ELi2ELi0EEEJSt10multipliesIdEdEEEvT_T0_DpT1_
    .private_segment_fixed_size: 0
    .sgpr_count:     27
    .sgpr_spill_count: 0
    .symbol:         _ZN2at6native12_GLOBAL__N_125multi_tensor_apply_kernelINS1_18TensorListMetadataILi3EEENS1_32PointwiseOpScalar0dTensorFunctorIdLi3ELi2ELi0EEEJSt10multipliesIdEdEEEvT_T0_DpT1_.kd
    .uniform_work_group_size: 1
    .uses_dynamic_stack: false
    .vgpr_count:     34
    .vgpr_spill_count: 0
    .wavefront_size: 32
  - .args:
      - .offset:         0
        .size:           3144
        .value_kind:     by_value
      - .offset:         3144
        .size:           1
        .value_kind:     by_value
      - .offset:         3145
        .size:           1
        .value_kind:     by_value
      - .offset:         3148
        .size:           4
        .value_kind:     by_value
      - .offset:         3152
        .size:           4
        .value_kind:     hidden_block_count_x
      - .offset:         3156
        .size:           4
        .value_kind:     hidden_block_count_y
      - .offset:         3160
        .size:           4
        .value_kind:     hidden_block_count_z
      - .offset:         3164
        .size:           2
        .value_kind:     hidden_group_size_x
      - .offset:         3166
        .size:           2
        .value_kind:     hidden_group_size_y
      - .offset:         3168
        .size:           2
        .value_kind:     hidden_group_size_z
      - .offset:         3170
        .size:           2
        .value_kind:     hidden_remainder_x
      - .offset:         3172
        .size:           2
        .value_kind:     hidden_remainder_y
      - .offset:         3174
        .size:           2
        .value_kind:     hidden_remainder_z
      - .offset:         3192
        .size:           8
        .value_kind:     hidden_global_offset_x
      - .offset:         3200
        .size:           8
        .value_kind:     hidden_global_offset_y
      - .offset:         3208
        .size:           8
        .value_kind:     hidden_global_offset_z
      - .offset:         3216
        .size:           2
        .value_kind:     hidden_grid_dims
    .group_segment_fixed_size: 0
    .kernarg_segment_align: 8
    .kernarg_segment_size: 3408
    .language:       OpenCL C
    .language_version:
      - 2
      - 0
    .max_flat_workgroup_size: 512
    .name:           _ZN2at6native12_GLOBAL__N_125multi_tensor_apply_kernelINS1_18TensorListMetadataILi3EEENS1_32PointwiseOpScalar0dTensorFunctorIfLi3ELi2ELi0EEEJSt10multipliesIfEfEEEvT_T0_DpT1_
    .private_segment_fixed_size: 0
    .sgpr_count:     26
    .sgpr_spill_count: 0
    .symbol:         _ZN2at6native12_GLOBAL__N_125multi_tensor_apply_kernelINS1_18TensorListMetadataILi3EEENS1_32PointwiseOpScalar0dTensorFunctorIfLi3ELi2ELi0EEEJSt10multipliesIfEfEEEvT_T0_DpT1_.kd
    .uniform_work_group_size: 1
    .uses_dynamic_stack: false
    .vgpr_count:     28
    .vgpr_spill_count: 0
    .wavefront_size: 32
  - .args:
      - .offset:         0
        .size:           3144
        .value_kind:     by_value
      - .offset:         3144
        .size:           1
        .value_kind:     by_value
      - .offset:         3145
        .size:           1
        .value_kind:     by_value
      - .offset:         3152
        .size:           16
        .value_kind:     by_value
      - .offset:         3168
        .size:           4
        .value_kind:     hidden_block_count_x
      - .offset:         3172
        .size:           4
        .value_kind:     hidden_block_count_y
      - .offset:         3176
        .size:           4
        .value_kind:     hidden_block_count_z
      - .offset:         3180
        .size:           2
        .value_kind:     hidden_group_size_x
      - .offset:         3182
        .size:           2
        .value_kind:     hidden_group_size_y
      - .offset:         3184
        .size:           2
        .value_kind:     hidden_group_size_z
      - .offset:         3186
        .size:           2
        .value_kind:     hidden_remainder_x
      - .offset:         3188
        .size:           2
        .value_kind:     hidden_remainder_y
      - .offset:         3190
        .size:           2
        .value_kind:     hidden_remainder_z
      - .offset:         3208
        .size:           8
        .value_kind:     hidden_global_offset_x
      - .offset:         3216
        .size:           8
        .value_kind:     hidden_global_offset_y
      - .offset:         3224
        .size:           8
        .value_kind:     hidden_global_offset_z
      - .offset:         3232
        .size:           2
        .value_kind:     hidden_grid_dims
    .group_segment_fixed_size: 0
    .kernarg_segment_align: 16
    .kernarg_segment_size: 3424
    .language:       OpenCL C
    .language_version:
      - 2
      - 0
    .max_flat_workgroup_size: 512
    .name:           _ZN2at6native12_GLOBAL__N_125multi_tensor_apply_kernelINS1_18TensorListMetadataILi3EEENS1_32PointwiseOpScalar0dTensorFunctorIN3c107complexIdEELi3ELi2ELi0EEEJSt10multipliesIS8_ES8_EEEvT_T0_DpT1_
    .private_segment_fixed_size: 0
    .sgpr_count:     29
    .sgpr_spill_count: 0
    .symbol:         _ZN2at6native12_GLOBAL__N_125multi_tensor_apply_kernelINS1_18TensorListMetadataILi3EEENS1_32PointwiseOpScalar0dTensorFunctorIN3c107complexIdEELi3ELi2ELi0EEEJSt10multipliesIS8_ES8_EEEvT_T0_DpT1_.kd
    .uniform_work_group_size: 1
    .uses_dynamic_stack: false
    .vgpr_count:     50
    .vgpr_spill_count: 0
    .wavefront_size: 32
  - .args:
      - .offset:         0
        .size:           3144
        .value_kind:     by_value
      - .offset:         3144
        .size:           1
        .value_kind:     by_value
      - .offset:         3145
        .size:           1
        .value_kind:     by_value
      - .offset:         3152
        .size:           8
        .value_kind:     by_value
      - .offset:         3160
        .size:           4
        .value_kind:     hidden_block_count_x
      - .offset:         3164
        .size:           4
        .value_kind:     hidden_block_count_y
      - .offset:         3168
        .size:           4
        .value_kind:     hidden_block_count_z
      - .offset:         3172
        .size:           2
        .value_kind:     hidden_group_size_x
      - .offset:         3174
        .size:           2
        .value_kind:     hidden_group_size_y
      - .offset:         3176
        .size:           2
        .value_kind:     hidden_group_size_z
      - .offset:         3178
        .size:           2
        .value_kind:     hidden_remainder_x
      - .offset:         3180
        .size:           2
        .value_kind:     hidden_remainder_y
      - .offset:         3182
        .size:           2
        .value_kind:     hidden_remainder_z
      - .offset:         3200
        .size:           8
        .value_kind:     hidden_global_offset_x
      - .offset:         3208
        .size:           8
        .value_kind:     hidden_global_offset_y
      - .offset:         3216
        .size:           8
        .value_kind:     hidden_global_offset_z
      - .offset:         3224
        .size:           2
        .value_kind:     hidden_grid_dims
    .group_segment_fixed_size: 0
    .kernarg_segment_align: 8
    .kernarg_segment_size: 3416
    .language:       OpenCL C
    .language_version:
      - 2
      - 0
    .max_flat_workgroup_size: 512
    .name:           _ZN2at6native12_GLOBAL__N_125multi_tensor_apply_kernelINS1_18TensorListMetadataILi3EEENS1_32PointwiseOpScalar0dTensorFunctorIN3c107complexIfEELi3ELi2ELi0EEEJSt10multipliesIS8_ES8_EEEvT_T0_DpT1_
    .private_segment_fixed_size: 0
    .sgpr_count:     30
    .sgpr_spill_count: 0
    .symbol:         _ZN2at6native12_GLOBAL__N_125multi_tensor_apply_kernelINS1_18TensorListMetadataILi3EEENS1_32PointwiseOpScalar0dTensorFunctorIN3c107complexIfEELi3ELi2ELi0EEEJSt10multipliesIS8_ES8_EEEvT_T0_DpT1_.kd
    .uniform_work_group_size: 1
    .uses_dynamic_stack: false
    .vgpr_count:     60
    .vgpr_spill_count: 0
    .wavefront_size: 32
  - .args:
      - .offset:         0
        .size:           3144
        .value_kind:     by_value
      - .offset:         3144
        .size:           1
        .value_kind:     by_value
      - .offset:         3145
        .size:           1
        .value_kind:     by_value
      - .offset:         3148
        .size:           4
        .value_kind:     by_value
      - .offset:         3152
        .size:           4
        .value_kind:     hidden_block_count_x
      - .offset:         3156
        .size:           4
        .value_kind:     hidden_block_count_y
      - .offset:         3160
        .size:           4
        .value_kind:     hidden_block_count_z
      - .offset:         3164
        .size:           2
        .value_kind:     hidden_group_size_x
      - .offset:         3166
        .size:           2
        .value_kind:     hidden_group_size_y
      - .offset:         3168
        .size:           2
        .value_kind:     hidden_group_size_z
      - .offset:         3170
        .size:           2
        .value_kind:     hidden_remainder_x
      - .offset:         3172
        .size:           2
        .value_kind:     hidden_remainder_y
      - .offset:         3174
        .size:           2
        .value_kind:     hidden_remainder_z
      - .offset:         3192
        .size:           8
        .value_kind:     hidden_global_offset_x
      - .offset:         3200
        .size:           8
        .value_kind:     hidden_global_offset_y
      - .offset:         3208
        .size:           8
        .value_kind:     hidden_global_offset_z
      - .offset:         3216
        .size:           2
        .value_kind:     hidden_grid_dims
    .group_segment_fixed_size: 0
    .kernarg_segment_align: 8
    .kernarg_segment_size: 3408
    .language:       OpenCL C
    .language_version:
      - 2
      - 0
    .max_flat_workgroup_size: 512
    .name:           _ZN2at6native12_GLOBAL__N_125multi_tensor_apply_kernelINS1_18TensorListMetadataILi3EEENS1_32PointwiseOpScalar0dTensorFunctorIN3c104HalfELi3ELi2ELi0EEEJSt10multipliesIfEfEEEvT_T0_DpT1_
    .private_segment_fixed_size: 0
    .sgpr_count:     24
    .sgpr_spill_count: 0
    .symbol:         _ZN2at6native12_GLOBAL__N_125multi_tensor_apply_kernelINS1_18TensorListMetadataILi3EEENS1_32PointwiseOpScalar0dTensorFunctorIN3c104HalfELi3ELi2ELi0EEEJSt10multipliesIfEfEEEvT_T0_DpT1_.kd
    .uniform_work_group_size: 1
    .uses_dynamic_stack: false
    .vgpr_count:     32
    .vgpr_spill_count: 0
    .wavefront_size: 32
  - .args:
      - .offset:         0
        .size:           3144
        .value_kind:     by_value
      - .offset:         3144
        .size:           1
        .value_kind:     by_value
      - .offset:         3145
        .size:           1
        .value_kind:     by_value
      - .offset:         3148
        .size:           4
        .value_kind:     by_value
      - .offset:         3152
        .size:           4
        .value_kind:     hidden_block_count_x
      - .offset:         3156
        .size:           4
        .value_kind:     hidden_block_count_y
      - .offset:         3160
        .size:           4
        .value_kind:     hidden_block_count_z
      - .offset:         3164
        .size:           2
        .value_kind:     hidden_group_size_x
      - .offset:         3166
        .size:           2
        .value_kind:     hidden_group_size_y
      - .offset:         3168
        .size:           2
        .value_kind:     hidden_group_size_z
      - .offset:         3170
        .size:           2
        .value_kind:     hidden_remainder_x
      - .offset:         3172
        .size:           2
        .value_kind:     hidden_remainder_y
      - .offset:         3174
        .size:           2
        .value_kind:     hidden_remainder_z
      - .offset:         3192
        .size:           8
        .value_kind:     hidden_global_offset_x
      - .offset:         3200
        .size:           8
        .value_kind:     hidden_global_offset_y
      - .offset:         3208
        .size:           8
        .value_kind:     hidden_global_offset_z
      - .offset:         3216
        .size:           2
        .value_kind:     hidden_grid_dims
    .group_segment_fixed_size: 0
    .kernarg_segment_align: 8
    .kernarg_segment_size: 3408
    .language:       OpenCL C
    .language_version:
      - 2
      - 0
    .max_flat_workgroup_size: 512
    .name:           _ZN2at6native12_GLOBAL__N_125multi_tensor_apply_kernelINS1_18TensorListMetadataILi3EEENS1_32PointwiseOpScalar0dTensorFunctorIN3c108BFloat16ELi3ELi2ELi0EEEJSt10multipliesIfEfEEEvT_T0_DpT1_
    .private_segment_fixed_size: 0
    .sgpr_count:     25
    .sgpr_spill_count: 0
    .symbol:         _ZN2at6native12_GLOBAL__N_125multi_tensor_apply_kernelINS1_18TensorListMetadataILi3EEENS1_32PointwiseOpScalar0dTensorFunctorIN3c108BFloat16ELi3ELi2ELi0EEEJSt10multipliesIfEfEEEvT_T0_DpT1_.kd
    .uniform_work_group_size: 1
    .uses_dynamic_stack: false
    .vgpr_count:     27
    .vgpr_spill_count: 0
    .wavefront_size: 32
  - .args:
      - .offset:         0
        .size:           3048
        .value_kind:     by_value
      - .offset:         3048
        .size:           1
        .value_kind:     by_value
      - .offset:         3049
        .size:           1
        .value_kind:     by_value
      - .offset:         3050
        .size:           1
        .value_kind:     by_value
      - .offset:         3056
        .size:           4
        .value_kind:     hidden_block_count_x
      - .offset:         3060
        .size:           4
        .value_kind:     hidden_block_count_y
      - .offset:         3064
        .size:           4
        .value_kind:     hidden_block_count_z
      - .offset:         3068
        .size:           2
        .value_kind:     hidden_group_size_x
      - .offset:         3070
        .size:           2
        .value_kind:     hidden_group_size_y
      - .offset:         3072
        .size:           2
        .value_kind:     hidden_group_size_z
      - .offset:         3074
        .size:           2
        .value_kind:     hidden_remainder_x
      - .offset:         3076
        .size:           2
        .value_kind:     hidden_remainder_y
      - .offset:         3078
        .size:           2
        .value_kind:     hidden_remainder_z
      - .offset:         3096
        .size:           8
        .value_kind:     hidden_global_offset_x
      - .offset:         3104
        .size:           8
        .value_kind:     hidden_global_offset_y
      - .offset:         3112
        .size:           8
        .value_kind:     hidden_global_offset_z
      - .offset:         3120
        .size:           2
        .value_kind:     hidden_grid_dims
    .group_segment_fixed_size: 0
    .kernarg_segment_align: 8
    .kernarg_segment_size: 3312
    .language:       OpenCL C
    .language_version:
      - 2
      - 0
    .max_flat_workgroup_size: 512
    .name:           _ZN2at6native12_GLOBAL__N_125multi_tensor_apply_kernelINS1_18TensorListMetadataILi4EEENS1_24PointwiseOpScalarFunctorIhLi4ELi3ELi3EEEJSt7dividesIhEhEEEvT_T0_DpT1_
    .private_segment_fixed_size: 0
    .sgpr_count:     28
    .sgpr_spill_count: 0
    .symbol:         _ZN2at6native12_GLOBAL__N_125multi_tensor_apply_kernelINS1_18TensorListMetadataILi4EEENS1_24PointwiseOpScalarFunctorIhLi4ELi3ELi3EEEJSt7dividesIhEhEEEvT_T0_DpT1_.kd
    .uniform_work_group_size: 1
    .uses_dynamic_stack: false
    .vgpr_count:     60
    .vgpr_spill_count: 0
    .wavefront_size: 32
  - .args:
      - .offset:         0
        .size:           3048
        .value_kind:     by_value
      - .offset:         3048
        .size:           1
        .value_kind:     by_value
      - .offset:         3049
        .size:           1
        .value_kind:     by_value
      - .offset:         3050
        .size:           1
        .value_kind:     by_value
      - .offset:         3056
        .size:           4
        .value_kind:     hidden_block_count_x
      - .offset:         3060
        .size:           4
        .value_kind:     hidden_block_count_y
      - .offset:         3064
        .size:           4
        .value_kind:     hidden_block_count_z
      - .offset:         3068
        .size:           2
        .value_kind:     hidden_group_size_x
      - .offset:         3070
        .size:           2
        .value_kind:     hidden_group_size_y
      - .offset:         3072
        .size:           2
        .value_kind:     hidden_group_size_z
      - .offset:         3074
        .size:           2
        .value_kind:     hidden_remainder_x
      - .offset:         3076
        .size:           2
        .value_kind:     hidden_remainder_y
      - .offset:         3078
        .size:           2
        .value_kind:     hidden_remainder_z
      - .offset:         3096
        .size:           8
        .value_kind:     hidden_global_offset_x
      - .offset:         3104
        .size:           8
        .value_kind:     hidden_global_offset_y
      - .offset:         3112
        .size:           8
        .value_kind:     hidden_global_offset_z
      - .offset:         3120
        .size:           2
        .value_kind:     hidden_grid_dims
    .group_segment_fixed_size: 0
    .kernarg_segment_align: 8
    .kernarg_segment_size: 3312
    .language:       OpenCL C
    .language_version:
      - 2
      - 0
    .max_flat_workgroup_size: 512
    .name:           _ZN2at6native12_GLOBAL__N_125multi_tensor_apply_kernelINS1_18TensorListMetadataILi4EEENS1_24PointwiseOpScalarFunctorIaLi4ELi3ELi3EEEJSt7dividesIaEaEEEvT_T0_DpT1_
    .private_segment_fixed_size: 0
    .sgpr_count:     28
    .sgpr_spill_count: 0
    .symbol:         _ZN2at6native12_GLOBAL__N_125multi_tensor_apply_kernelINS1_18TensorListMetadataILi4EEENS1_24PointwiseOpScalarFunctorIaLi4ELi3ELi3EEEJSt7dividesIaEaEEEvT_T0_DpT1_.kd
    .uniform_work_group_size: 1
    .uses_dynamic_stack: false
    .vgpr_count:     60
    .vgpr_spill_count: 0
    .wavefront_size: 32
  - .args:
      - .offset:         0
        .size:           3048
        .value_kind:     by_value
      - .offset:         3048
        .size:           1
        .value_kind:     by_value
      - .offset:         3049
        .size:           1
        .value_kind:     by_value
      - .offset:         3052
        .size:           4
        .value_kind:     by_value
      - .offset:         3056
        .size:           4
        .value_kind:     hidden_block_count_x
      - .offset:         3060
        .size:           4
        .value_kind:     hidden_block_count_y
      - .offset:         3064
        .size:           4
        .value_kind:     hidden_block_count_z
      - .offset:         3068
        .size:           2
        .value_kind:     hidden_group_size_x
      - .offset:         3070
        .size:           2
        .value_kind:     hidden_group_size_y
      - .offset:         3072
        .size:           2
        .value_kind:     hidden_group_size_z
      - .offset:         3074
        .size:           2
        .value_kind:     hidden_remainder_x
      - .offset:         3076
        .size:           2
        .value_kind:     hidden_remainder_y
      - .offset:         3078
        .size:           2
        .value_kind:     hidden_remainder_z
      - .offset:         3096
        .size:           8
        .value_kind:     hidden_global_offset_x
      - .offset:         3104
        .size:           8
        .value_kind:     hidden_global_offset_y
      - .offset:         3112
        .size:           8
        .value_kind:     hidden_global_offset_z
      - .offset:         3120
        .size:           2
        .value_kind:     hidden_grid_dims
    .group_segment_fixed_size: 0
    .kernarg_segment_align: 8
    .kernarg_segment_size: 3312
    .language:       OpenCL C
    .language_version:
      - 2
      - 0
    .max_flat_workgroup_size: 512
    .name:           _ZN2at6native12_GLOBAL__N_125multi_tensor_apply_kernelINS1_18TensorListMetadataILi4EEENS1_24PointwiseOpScalarFunctorIiLi4ELi3ELi3EEEJSt7dividesIiEiEEEvT_T0_DpT1_
    .private_segment_fixed_size: 0
    .sgpr_count:     28
    .sgpr_spill_count: 0
    .symbol:         _ZN2at6native12_GLOBAL__N_125multi_tensor_apply_kernelINS1_18TensorListMetadataILi4EEENS1_24PointwiseOpScalarFunctorIiLi4ELi3ELi3EEEJSt7dividesIiEiEEEvT_T0_DpT1_.kd
    .uniform_work_group_size: 1
    .uses_dynamic_stack: false
    .vgpr_count:     60
    .vgpr_spill_count: 0
    .wavefront_size: 32
  - .args:
      - .offset:         0
        .size:           3048
        .value_kind:     by_value
      - .offset:         3048
        .size:           1
        .value_kind:     by_value
      - .offset:         3049
        .size:           1
        .value_kind:     by_value
      - .offset:         3056
        .size:           8
        .value_kind:     by_value
      - .offset:         3064
        .size:           4
        .value_kind:     hidden_block_count_x
      - .offset:         3068
        .size:           4
        .value_kind:     hidden_block_count_y
      - .offset:         3072
        .size:           4
        .value_kind:     hidden_block_count_z
      - .offset:         3076
        .size:           2
        .value_kind:     hidden_group_size_x
      - .offset:         3078
        .size:           2
        .value_kind:     hidden_group_size_y
      - .offset:         3080
        .size:           2
        .value_kind:     hidden_group_size_z
      - .offset:         3082
        .size:           2
        .value_kind:     hidden_remainder_x
      - .offset:         3084
        .size:           2
        .value_kind:     hidden_remainder_y
      - .offset:         3086
        .size:           2
        .value_kind:     hidden_remainder_z
      - .offset:         3104
        .size:           8
        .value_kind:     hidden_global_offset_x
      - .offset:         3112
        .size:           8
        .value_kind:     hidden_global_offset_y
      - .offset:         3120
        .size:           8
        .value_kind:     hidden_global_offset_z
      - .offset:         3128
        .size:           2
        .value_kind:     hidden_grid_dims
    .group_segment_fixed_size: 0
    .kernarg_segment_align: 8
    .kernarg_segment_size: 3320
    .language:       OpenCL C
    .language_version:
      - 2
      - 0
    .max_flat_workgroup_size: 512
    .name:           _ZN2at6native12_GLOBAL__N_125multi_tensor_apply_kernelINS1_18TensorListMetadataILi4EEENS1_24PointwiseOpScalarFunctorIlLi4ELi3ELi3EEEJSt7dividesIlElEEEvT_T0_DpT1_
    .private_segment_fixed_size: 0
    .sgpr_count:     38
    .sgpr_spill_count: 0
    .symbol:         _ZN2at6native12_GLOBAL__N_125multi_tensor_apply_kernelINS1_18TensorListMetadataILi4EEENS1_24PointwiseOpScalarFunctorIlLi4ELi3ELi3EEEJSt7dividesIlElEEEvT_T0_DpT1_.kd
    .uniform_work_group_size: 1
    .uses_dynamic_stack: false
    .vgpr_count:     88
    .vgpr_spill_count: 0
    .wavefront_size: 32
  - .args:
      - .offset:         0
        .size:           3048
        .value_kind:     by_value
      - .offset:         3048
        .size:           1
        .value_kind:     by_value
      - .offset:         3049
        .size:           1
        .value_kind:     by_value
      - .offset:         3050
        .size:           2
        .value_kind:     by_value
      - .offset:         3056
        .size:           4
        .value_kind:     hidden_block_count_x
      - .offset:         3060
        .size:           4
        .value_kind:     hidden_block_count_y
      - .offset:         3064
        .size:           4
        .value_kind:     hidden_block_count_z
      - .offset:         3068
        .size:           2
        .value_kind:     hidden_group_size_x
      - .offset:         3070
        .size:           2
        .value_kind:     hidden_group_size_y
      - .offset:         3072
        .size:           2
        .value_kind:     hidden_group_size_z
      - .offset:         3074
        .size:           2
        .value_kind:     hidden_remainder_x
      - .offset:         3076
        .size:           2
        .value_kind:     hidden_remainder_y
      - .offset:         3078
        .size:           2
        .value_kind:     hidden_remainder_z
      - .offset:         3096
        .size:           8
        .value_kind:     hidden_global_offset_x
      - .offset:         3104
        .size:           8
        .value_kind:     hidden_global_offset_y
      - .offset:         3112
        .size:           8
        .value_kind:     hidden_global_offset_z
      - .offset:         3120
        .size:           2
        .value_kind:     hidden_grid_dims
    .group_segment_fixed_size: 0
    .kernarg_segment_align: 8
    .kernarg_segment_size: 3312
    .language:       OpenCL C
    .language_version:
      - 2
      - 0
    .max_flat_workgroup_size: 512
    .name:           _ZN2at6native12_GLOBAL__N_125multi_tensor_apply_kernelINS1_18TensorListMetadataILi4EEENS1_24PointwiseOpScalarFunctorIsLi4ELi3ELi3EEEJSt7dividesIsEsEEEvT_T0_DpT1_
    .private_segment_fixed_size: 0
    .sgpr_count:     29
    .sgpr_spill_count: 0
    .symbol:         _ZN2at6native12_GLOBAL__N_125multi_tensor_apply_kernelINS1_18TensorListMetadataILi4EEENS1_24PointwiseOpScalarFunctorIsLi4ELi3ELi3EEEJSt7dividesIsEsEEEvT_T0_DpT1_.kd
    .uniform_work_group_size: 1
    .uses_dynamic_stack: false
    .vgpr_count:     60
    .vgpr_spill_count: 0
    .wavefront_size: 32
  - .args:
      - .offset:         0
        .size:           3048
        .value_kind:     by_value
      - .offset:         3048
        .size:           1
        .value_kind:     by_value
      - .offset:         3049
        .size:           1
        .value_kind:     by_value
      - .offset:         3056
        .size:           8
        .value_kind:     by_value
      - .offset:         3064
        .size:           4
        .value_kind:     hidden_block_count_x
      - .offset:         3068
        .size:           4
        .value_kind:     hidden_block_count_y
      - .offset:         3072
        .size:           4
        .value_kind:     hidden_block_count_z
      - .offset:         3076
        .size:           2
        .value_kind:     hidden_group_size_x
      - .offset:         3078
        .size:           2
        .value_kind:     hidden_group_size_y
      - .offset:         3080
        .size:           2
        .value_kind:     hidden_group_size_z
      - .offset:         3082
        .size:           2
        .value_kind:     hidden_remainder_x
      - .offset:         3084
        .size:           2
        .value_kind:     hidden_remainder_y
      - .offset:         3086
        .size:           2
        .value_kind:     hidden_remainder_z
      - .offset:         3104
        .size:           8
        .value_kind:     hidden_global_offset_x
      - .offset:         3112
        .size:           8
        .value_kind:     hidden_global_offset_y
      - .offset:         3120
        .size:           8
        .value_kind:     hidden_global_offset_z
      - .offset:         3128
        .size:           2
        .value_kind:     hidden_grid_dims
    .group_segment_fixed_size: 0
    .kernarg_segment_align: 8
    .kernarg_segment_size: 3320
    .language:       OpenCL C
    .language_version:
      - 2
      - 0
    .max_flat_workgroup_size: 512
    .name:           _ZN2at6native12_GLOBAL__N_125multi_tensor_apply_kernelINS1_18TensorListMetadataILi4EEENS1_24PointwiseOpScalarFunctorIdLi4ELi3ELi3EEEJSt7dividesIdEdEEEvT_T0_DpT1_
    .private_segment_fixed_size: 0
    .sgpr_count:     38
    .sgpr_spill_count: 0
    .symbol:         _ZN2at6native12_GLOBAL__N_125multi_tensor_apply_kernelINS1_18TensorListMetadataILi4EEENS1_24PointwiseOpScalarFunctorIdLi4ELi3ELi3EEEJSt7dividesIdEdEEEvT_T0_DpT1_.kd
    .uniform_work_group_size: 1
    .uses_dynamic_stack: false
    .vgpr_count:     76
    .vgpr_spill_count: 0
    .wavefront_size: 32
  - .args:
      - .offset:         0
        .size:           3048
        .value_kind:     by_value
      - .offset:         3048
        .size:           1
        .value_kind:     by_value
      - .offset:         3049
        .size:           1
        .value_kind:     by_value
      - .offset:         3052
        .size:           4
        .value_kind:     by_value
      - .offset:         3056
        .size:           4
        .value_kind:     hidden_block_count_x
      - .offset:         3060
        .size:           4
        .value_kind:     hidden_block_count_y
      - .offset:         3064
        .size:           4
        .value_kind:     hidden_block_count_z
      - .offset:         3068
        .size:           2
        .value_kind:     hidden_group_size_x
      - .offset:         3070
        .size:           2
        .value_kind:     hidden_group_size_y
      - .offset:         3072
        .size:           2
        .value_kind:     hidden_group_size_z
      - .offset:         3074
        .size:           2
        .value_kind:     hidden_remainder_x
      - .offset:         3076
        .size:           2
        .value_kind:     hidden_remainder_y
      - .offset:         3078
        .size:           2
        .value_kind:     hidden_remainder_z
      - .offset:         3096
        .size:           8
        .value_kind:     hidden_global_offset_x
      - .offset:         3104
        .size:           8
        .value_kind:     hidden_global_offset_y
      - .offset:         3112
        .size:           8
        .value_kind:     hidden_global_offset_z
      - .offset:         3120
        .size:           2
        .value_kind:     hidden_grid_dims
    .group_segment_fixed_size: 0
    .kernarg_segment_align: 8
    .kernarg_segment_size: 3312
    .language:       OpenCL C
    .language_version:
      - 2
      - 0
    .max_flat_workgroup_size: 512
    .name:           _ZN2at6native12_GLOBAL__N_125multi_tensor_apply_kernelINS1_18TensorListMetadataILi4EEENS1_24PointwiseOpScalarFunctorIfLi4ELi3ELi3EEEJSt7dividesIfEfEEEvT_T0_DpT1_
    .private_segment_fixed_size: 0
    .sgpr_count:     28
    .sgpr_spill_count: 0
    .symbol:         _ZN2at6native12_GLOBAL__N_125multi_tensor_apply_kernelINS1_18TensorListMetadataILi4EEENS1_24PointwiseOpScalarFunctorIfLi4ELi3ELi3EEEJSt7dividesIfEfEEEvT_T0_DpT1_.kd
    .uniform_work_group_size: 1
    .uses_dynamic_stack: false
    .vgpr_count:     61
    .vgpr_spill_count: 0
    .wavefront_size: 32
  - .args:
      - .offset:         0
        .size:           3048
        .value_kind:     by_value
      - .offset:         3048
        .size:           1
        .value_kind:     by_value
      - .offset:         3049
        .size:           1
        .value_kind:     by_value
      - .offset:         3056
        .size:           16
        .value_kind:     by_value
      - .offset:         3072
        .size:           4
        .value_kind:     hidden_block_count_x
      - .offset:         3076
        .size:           4
        .value_kind:     hidden_block_count_y
      - .offset:         3080
        .size:           4
        .value_kind:     hidden_block_count_z
      - .offset:         3084
        .size:           2
        .value_kind:     hidden_group_size_x
      - .offset:         3086
        .size:           2
        .value_kind:     hidden_group_size_y
      - .offset:         3088
        .size:           2
        .value_kind:     hidden_group_size_z
      - .offset:         3090
        .size:           2
        .value_kind:     hidden_remainder_x
      - .offset:         3092
        .size:           2
        .value_kind:     hidden_remainder_y
      - .offset:         3094
        .size:           2
        .value_kind:     hidden_remainder_z
      - .offset:         3112
        .size:           8
        .value_kind:     hidden_global_offset_x
      - .offset:         3120
        .size:           8
        .value_kind:     hidden_global_offset_y
      - .offset:         3128
        .size:           8
        .value_kind:     hidden_global_offset_z
      - .offset:         3136
        .size:           2
        .value_kind:     hidden_grid_dims
    .group_segment_fixed_size: 0
    .kernarg_segment_align: 16
    .kernarg_segment_size: 3328
    .language:       OpenCL C
    .language_version:
      - 2
      - 0
    .max_flat_workgroup_size: 512
    .name:           _ZN2at6native12_GLOBAL__N_125multi_tensor_apply_kernelINS1_18TensorListMetadataILi4EEENS1_24PointwiseOpScalarFunctorIN3c107complexIdEELi4ELi3ELi3EEEJSt7dividesIS8_ES8_EEEvT_T0_DpT1_
    .private_segment_fixed_size: 0
    .sgpr_count:     38
    .sgpr_spill_count: 0
    .symbol:         _ZN2at6native12_GLOBAL__N_125multi_tensor_apply_kernelINS1_18TensorListMetadataILi4EEENS1_24PointwiseOpScalarFunctorIN3c107complexIdEELi4ELi3ELi3EEEJSt7dividesIS8_ES8_EEEvT_T0_DpT1_.kd
    .uniform_work_group_size: 1
    .uses_dynamic_stack: false
    .vgpr_count:     82
    .vgpr_spill_count: 0
    .wavefront_size: 32
  - .args:
      - .offset:         0
        .size:           3048
        .value_kind:     by_value
      - .offset:         3048
        .size:           1
        .value_kind:     by_value
      - .offset:         3049
        .size:           1
        .value_kind:     by_value
      - .offset:         3056
        .size:           8
        .value_kind:     by_value
      - .offset:         3064
        .size:           4
        .value_kind:     hidden_block_count_x
      - .offset:         3068
        .size:           4
        .value_kind:     hidden_block_count_y
      - .offset:         3072
        .size:           4
        .value_kind:     hidden_block_count_z
      - .offset:         3076
        .size:           2
        .value_kind:     hidden_group_size_x
      - .offset:         3078
        .size:           2
        .value_kind:     hidden_group_size_y
      - .offset:         3080
        .size:           2
        .value_kind:     hidden_group_size_z
      - .offset:         3082
        .size:           2
        .value_kind:     hidden_remainder_x
      - .offset:         3084
        .size:           2
        .value_kind:     hidden_remainder_y
      - .offset:         3086
        .size:           2
        .value_kind:     hidden_remainder_z
      - .offset:         3104
        .size:           8
        .value_kind:     hidden_global_offset_x
      - .offset:         3112
        .size:           8
        .value_kind:     hidden_global_offset_y
      - .offset:         3120
        .size:           8
        .value_kind:     hidden_global_offset_z
      - .offset:         3128
        .size:           2
        .value_kind:     hidden_grid_dims
    .group_segment_fixed_size: 0
    .kernarg_segment_align: 8
    .kernarg_segment_size: 3320
    .language:       OpenCL C
    .language_version:
      - 2
      - 0
    .max_flat_workgroup_size: 512
    .name:           _ZN2at6native12_GLOBAL__N_125multi_tensor_apply_kernelINS1_18TensorListMetadataILi4EEENS1_24PointwiseOpScalarFunctorIN3c107complexIfEELi4ELi3ELi3EEEJSt7dividesIS8_ES8_EEEvT_T0_DpT1_
    .private_segment_fixed_size: 0
    .sgpr_count:     38
    .sgpr_spill_count: 0
    .symbol:         _ZN2at6native12_GLOBAL__N_125multi_tensor_apply_kernelINS1_18TensorListMetadataILi4EEENS1_24PointwiseOpScalarFunctorIN3c107complexIfEELi4ELi3ELi3EEEJSt7dividesIS8_ES8_EEEvT_T0_DpT1_.kd
    .uniform_work_group_size: 1
    .uses_dynamic_stack: false
    .vgpr_count:     50
    .vgpr_spill_count: 0
    .wavefront_size: 32
  - .args:
      - .offset:         0
        .size:           3048
        .value_kind:     by_value
      - .offset:         3048
        .size:           1
        .value_kind:     by_value
      - .offset:         3049
        .size:           1
        .value_kind:     by_value
      - .offset:         3052
        .size:           4
        .value_kind:     by_value
      - .offset:         3056
        .size:           4
        .value_kind:     hidden_block_count_x
      - .offset:         3060
        .size:           4
        .value_kind:     hidden_block_count_y
      - .offset:         3064
        .size:           4
        .value_kind:     hidden_block_count_z
      - .offset:         3068
        .size:           2
        .value_kind:     hidden_group_size_x
      - .offset:         3070
        .size:           2
        .value_kind:     hidden_group_size_y
      - .offset:         3072
        .size:           2
        .value_kind:     hidden_group_size_z
      - .offset:         3074
        .size:           2
        .value_kind:     hidden_remainder_x
      - .offset:         3076
        .size:           2
        .value_kind:     hidden_remainder_y
      - .offset:         3078
        .size:           2
        .value_kind:     hidden_remainder_z
      - .offset:         3096
        .size:           8
        .value_kind:     hidden_global_offset_x
      - .offset:         3104
        .size:           8
        .value_kind:     hidden_global_offset_y
      - .offset:         3112
        .size:           8
        .value_kind:     hidden_global_offset_z
      - .offset:         3120
        .size:           2
        .value_kind:     hidden_grid_dims
    .group_segment_fixed_size: 0
    .kernarg_segment_align: 8
    .kernarg_segment_size: 3312
    .language:       OpenCL C
    .language_version:
      - 2
      - 0
    .max_flat_workgroup_size: 512
    .name:           _ZN2at6native12_GLOBAL__N_125multi_tensor_apply_kernelINS1_18TensorListMetadataILi4EEENS1_24PointwiseOpScalarFunctorIN3c104HalfELi4ELi3ELi3EEEJSt7dividesIfEfEEEvT_T0_DpT1_
    .private_segment_fixed_size: 0
    .sgpr_count:     28
    .sgpr_spill_count: 0
    .symbol:         _ZN2at6native12_GLOBAL__N_125multi_tensor_apply_kernelINS1_18TensorListMetadataILi4EEENS1_24PointwiseOpScalarFunctorIN3c104HalfELi4ELi3ELi3EEEJSt7dividesIfEfEEEvT_T0_DpT1_.kd
    .uniform_work_group_size: 1
    .uses_dynamic_stack: false
    .vgpr_count:     61
    .vgpr_spill_count: 0
    .wavefront_size: 32
  - .args:
      - .offset:         0
        .size:           3048
        .value_kind:     by_value
      - .offset:         3048
        .size:           1
        .value_kind:     by_value
      - .offset:         3049
        .size:           1
        .value_kind:     by_value
      - .offset:         3052
        .size:           4
        .value_kind:     by_value
      - .offset:         3056
        .size:           4
        .value_kind:     hidden_block_count_x
      - .offset:         3060
        .size:           4
        .value_kind:     hidden_block_count_y
      - .offset:         3064
        .size:           4
        .value_kind:     hidden_block_count_z
      - .offset:         3068
        .size:           2
        .value_kind:     hidden_group_size_x
      - .offset:         3070
        .size:           2
        .value_kind:     hidden_group_size_y
      - .offset:         3072
        .size:           2
        .value_kind:     hidden_group_size_z
      - .offset:         3074
        .size:           2
        .value_kind:     hidden_remainder_x
      - .offset:         3076
        .size:           2
        .value_kind:     hidden_remainder_y
      - .offset:         3078
        .size:           2
        .value_kind:     hidden_remainder_z
      - .offset:         3096
        .size:           8
        .value_kind:     hidden_global_offset_x
      - .offset:         3104
        .size:           8
        .value_kind:     hidden_global_offset_y
      - .offset:         3112
        .size:           8
        .value_kind:     hidden_global_offset_z
      - .offset:         3120
        .size:           2
        .value_kind:     hidden_grid_dims
    .group_segment_fixed_size: 0
    .kernarg_segment_align: 8
    .kernarg_segment_size: 3312
    .language:       OpenCL C
    .language_version:
      - 2
      - 0
    .max_flat_workgroup_size: 512
    .name:           _ZN2at6native12_GLOBAL__N_125multi_tensor_apply_kernelINS1_18TensorListMetadataILi4EEENS1_24PointwiseOpScalarFunctorIN3c108BFloat16ELi4ELi3ELi3EEEJSt7dividesIfEfEEEvT_T0_DpT1_
    .private_segment_fixed_size: 0
    .sgpr_count:     28
    .sgpr_spill_count: 0
    .symbol:         _ZN2at6native12_GLOBAL__N_125multi_tensor_apply_kernelINS1_18TensorListMetadataILi4EEENS1_24PointwiseOpScalarFunctorIN3c108BFloat16ELi4ELi3ELi3EEEJSt7dividesIfEfEEEvT_T0_DpT1_.kd
    .uniform_work_group_size: 1
    .uses_dynamic_stack: false
    .vgpr_count:     61
    .vgpr_spill_count: 0
    .wavefront_size: 32
  - .args:
      - .offset:         0
        .size:           3048
        .value_kind:     by_value
      - .offset:         3048
        .size:           1
        .value_kind:     by_value
      - .offset:         3049
        .size:           1
        .value_kind:     by_value
      - .offset:         3050
        .size:           1
        .value_kind:     by_value
      - .offset:         3056
        .size:           4
        .value_kind:     hidden_block_count_x
      - .offset:         3060
        .size:           4
        .value_kind:     hidden_block_count_y
      - .offset:         3064
        .size:           4
        .value_kind:     hidden_block_count_z
      - .offset:         3068
        .size:           2
        .value_kind:     hidden_group_size_x
      - .offset:         3070
        .size:           2
        .value_kind:     hidden_group_size_y
      - .offset:         3072
        .size:           2
        .value_kind:     hidden_group_size_z
      - .offset:         3074
        .size:           2
        .value_kind:     hidden_remainder_x
      - .offset:         3076
        .size:           2
        .value_kind:     hidden_remainder_y
      - .offset:         3078
        .size:           2
        .value_kind:     hidden_remainder_z
      - .offset:         3096
        .size:           8
        .value_kind:     hidden_global_offset_x
      - .offset:         3104
        .size:           8
        .value_kind:     hidden_global_offset_y
      - .offset:         3112
        .size:           8
        .value_kind:     hidden_global_offset_z
      - .offset:         3120
        .size:           2
        .value_kind:     hidden_grid_dims
    .group_segment_fixed_size: 0
    .kernarg_segment_align: 8
    .kernarg_segment_size: 3312
    .language:       OpenCL C
    .language_version:
      - 2
      - 0
    .max_flat_workgroup_size: 512
    .name:           _ZN2at6native12_GLOBAL__N_125multi_tensor_apply_kernelINS1_18TensorListMetadataILi4EEENS1_32PointwiseOpScalar0dTensorFunctorIhLi4ELi2ELi3EEEJSt7dividesIhEhEEEvT_T0_DpT1_
    .private_segment_fixed_size: 0
    .sgpr_count:     22
    .sgpr_spill_count: 0
    .symbol:         _ZN2at6native12_GLOBAL__N_125multi_tensor_apply_kernelINS1_18TensorListMetadataILi4EEENS1_32PointwiseOpScalar0dTensorFunctorIhLi4ELi2ELi3EEEJSt7dividesIhEhEEEvT_T0_DpT1_.kd
    .uniform_work_group_size: 1
    .uses_dynamic_stack: false
    .vgpr_count:     53
    .vgpr_spill_count: 0
    .wavefront_size: 32
  - .args:
      - .offset:         0
        .size:           3048
        .value_kind:     by_value
      - .offset:         3048
        .size:           1
        .value_kind:     by_value
      - .offset:         3049
        .size:           1
        .value_kind:     by_value
      - .offset:         3050
        .size:           1
        .value_kind:     by_value
      - .offset:         3056
        .size:           4
        .value_kind:     hidden_block_count_x
      - .offset:         3060
        .size:           4
        .value_kind:     hidden_block_count_y
      - .offset:         3064
        .size:           4
        .value_kind:     hidden_block_count_z
      - .offset:         3068
        .size:           2
        .value_kind:     hidden_group_size_x
      - .offset:         3070
        .size:           2
        .value_kind:     hidden_group_size_y
      - .offset:         3072
        .size:           2
        .value_kind:     hidden_group_size_z
      - .offset:         3074
        .size:           2
        .value_kind:     hidden_remainder_x
      - .offset:         3076
        .size:           2
        .value_kind:     hidden_remainder_y
      - .offset:         3078
        .size:           2
        .value_kind:     hidden_remainder_z
      - .offset:         3096
        .size:           8
        .value_kind:     hidden_global_offset_x
      - .offset:         3104
        .size:           8
        .value_kind:     hidden_global_offset_y
      - .offset:         3112
        .size:           8
        .value_kind:     hidden_global_offset_z
      - .offset:         3120
        .size:           2
        .value_kind:     hidden_grid_dims
    .group_segment_fixed_size: 0
    .kernarg_segment_align: 8
    .kernarg_segment_size: 3312
    .language:       OpenCL C
    .language_version:
      - 2
      - 0
    .max_flat_workgroup_size: 512
    .name:           _ZN2at6native12_GLOBAL__N_125multi_tensor_apply_kernelINS1_18TensorListMetadataILi4EEENS1_32PointwiseOpScalar0dTensorFunctorIaLi4ELi2ELi3EEEJSt7dividesIaEaEEEvT_T0_DpT1_
    .private_segment_fixed_size: 0
    .sgpr_count:     25
    .sgpr_spill_count: 0
    .symbol:         _ZN2at6native12_GLOBAL__N_125multi_tensor_apply_kernelINS1_18TensorListMetadataILi4EEENS1_32PointwiseOpScalar0dTensorFunctorIaLi4ELi2ELi3EEEJSt7dividesIaEaEEEvT_T0_DpT1_.kd
    .uniform_work_group_size: 1
    .uses_dynamic_stack: false
    .vgpr_count:     52
    .vgpr_spill_count: 0
    .wavefront_size: 32
  - .args:
      - .offset:         0
        .size:           3048
        .value_kind:     by_value
      - .offset:         3048
        .size:           1
        .value_kind:     by_value
      - .offset:         3049
        .size:           1
        .value_kind:     by_value
      - .offset:         3052
        .size:           4
        .value_kind:     by_value
      - .offset:         3056
        .size:           4
        .value_kind:     hidden_block_count_x
      - .offset:         3060
        .size:           4
        .value_kind:     hidden_block_count_y
      - .offset:         3064
        .size:           4
        .value_kind:     hidden_block_count_z
      - .offset:         3068
        .size:           2
        .value_kind:     hidden_group_size_x
      - .offset:         3070
        .size:           2
        .value_kind:     hidden_group_size_y
      - .offset:         3072
        .size:           2
        .value_kind:     hidden_group_size_z
      - .offset:         3074
        .size:           2
        .value_kind:     hidden_remainder_x
      - .offset:         3076
        .size:           2
        .value_kind:     hidden_remainder_y
      - .offset:         3078
        .size:           2
        .value_kind:     hidden_remainder_z
      - .offset:         3096
        .size:           8
        .value_kind:     hidden_global_offset_x
      - .offset:         3104
        .size:           8
        .value_kind:     hidden_global_offset_y
      - .offset:         3112
        .size:           8
        .value_kind:     hidden_global_offset_z
      - .offset:         3120
        .size:           2
        .value_kind:     hidden_grid_dims
    .group_segment_fixed_size: 0
    .kernarg_segment_align: 8
    .kernarg_segment_size: 3312
    .language:       OpenCL C
    .language_version:
      - 2
      - 0
    .max_flat_workgroup_size: 512
    .name:           _ZN2at6native12_GLOBAL__N_125multi_tensor_apply_kernelINS1_18TensorListMetadataILi4EEENS1_32PointwiseOpScalar0dTensorFunctorIiLi4ELi2ELi3EEEJSt7dividesIiEiEEEvT_T0_DpT1_
    .private_segment_fixed_size: 0
    .sgpr_count:     32
    .sgpr_spill_count: 0
    .symbol:         _ZN2at6native12_GLOBAL__N_125multi_tensor_apply_kernelINS1_18TensorListMetadataILi4EEENS1_32PointwiseOpScalar0dTensorFunctorIiLi4ELi2ELi3EEEJSt7dividesIiEiEEEvT_T0_DpT1_.kd
    .uniform_work_group_size: 1
    .uses_dynamic_stack: false
    .vgpr_count:     36
    .vgpr_spill_count: 0
    .wavefront_size: 32
  - .args:
      - .offset:         0
        .size:           3048
        .value_kind:     by_value
      - .offset:         3048
        .size:           1
        .value_kind:     by_value
      - .offset:         3049
        .size:           1
        .value_kind:     by_value
      - .offset:         3056
        .size:           8
        .value_kind:     by_value
      - .offset:         3064
        .size:           4
        .value_kind:     hidden_block_count_x
      - .offset:         3068
        .size:           4
        .value_kind:     hidden_block_count_y
      - .offset:         3072
        .size:           4
        .value_kind:     hidden_block_count_z
      - .offset:         3076
        .size:           2
        .value_kind:     hidden_group_size_x
      - .offset:         3078
        .size:           2
        .value_kind:     hidden_group_size_y
      - .offset:         3080
        .size:           2
        .value_kind:     hidden_group_size_z
      - .offset:         3082
        .size:           2
        .value_kind:     hidden_remainder_x
      - .offset:         3084
        .size:           2
        .value_kind:     hidden_remainder_y
      - .offset:         3086
        .size:           2
        .value_kind:     hidden_remainder_z
      - .offset:         3104
        .size:           8
        .value_kind:     hidden_global_offset_x
      - .offset:         3112
        .size:           8
        .value_kind:     hidden_global_offset_y
      - .offset:         3120
        .size:           8
        .value_kind:     hidden_global_offset_z
      - .offset:         3128
        .size:           2
        .value_kind:     hidden_grid_dims
    .group_segment_fixed_size: 0
    .kernarg_segment_align: 8
    .kernarg_segment_size: 3320
    .language:       OpenCL C
    .language_version:
      - 2
      - 0
    .max_flat_workgroup_size: 512
    .name:           _ZN2at6native12_GLOBAL__N_125multi_tensor_apply_kernelINS1_18TensorListMetadataILi4EEENS1_32PointwiseOpScalar0dTensorFunctorIlLi4ELi2ELi3EEEJSt7dividesIlElEEEvT_T0_DpT1_
    .private_segment_fixed_size: 0
    .sgpr_count:     40
    .sgpr_spill_count: 0
    .symbol:         _ZN2at6native12_GLOBAL__N_125multi_tensor_apply_kernelINS1_18TensorListMetadataILi4EEENS1_32PointwiseOpScalar0dTensorFunctorIlLi4ELi2ELi3EEEJSt7dividesIlElEEEvT_T0_DpT1_.kd
    .uniform_work_group_size: 1
    .uses_dynamic_stack: false
    .vgpr_count:     50
    .vgpr_spill_count: 0
    .wavefront_size: 32
  - .args:
      - .offset:         0
        .size:           3048
        .value_kind:     by_value
      - .offset:         3048
        .size:           1
        .value_kind:     by_value
      - .offset:         3049
        .size:           1
        .value_kind:     by_value
      - .offset:         3050
        .size:           2
        .value_kind:     by_value
      - .offset:         3056
        .size:           4
        .value_kind:     hidden_block_count_x
      - .offset:         3060
        .size:           4
        .value_kind:     hidden_block_count_y
      - .offset:         3064
        .size:           4
        .value_kind:     hidden_block_count_z
      - .offset:         3068
        .size:           2
        .value_kind:     hidden_group_size_x
      - .offset:         3070
        .size:           2
        .value_kind:     hidden_group_size_y
      - .offset:         3072
        .size:           2
        .value_kind:     hidden_group_size_z
      - .offset:         3074
        .size:           2
        .value_kind:     hidden_remainder_x
      - .offset:         3076
        .size:           2
        .value_kind:     hidden_remainder_y
      - .offset:         3078
        .size:           2
        .value_kind:     hidden_remainder_z
      - .offset:         3096
        .size:           8
        .value_kind:     hidden_global_offset_x
      - .offset:         3104
        .size:           8
        .value_kind:     hidden_global_offset_y
      - .offset:         3112
        .size:           8
        .value_kind:     hidden_global_offset_z
      - .offset:         3120
        .size:           2
        .value_kind:     hidden_grid_dims
    .group_segment_fixed_size: 0
    .kernarg_segment_align: 8
    .kernarg_segment_size: 3312
    .language:       OpenCL C
    .language_version:
      - 2
      - 0
    .max_flat_workgroup_size: 512
    .name:           _ZN2at6native12_GLOBAL__N_125multi_tensor_apply_kernelINS1_18TensorListMetadataILi4EEENS1_32PointwiseOpScalar0dTensorFunctorIsLi4ELi2ELi3EEEJSt7dividesIsEsEEEvT_T0_DpT1_
    .private_segment_fixed_size: 0
    .sgpr_count:     31
    .sgpr_spill_count: 0
    .symbol:         _ZN2at6native12_GLOBAL__N_125multi_tensor_apply_kernelINS1_18TensorListMetadataILi4EEENS1_32PointwiseOpScalar0dTensorFunctorIsLi4ELi2ELi3EEEJSt7dividesIsEsEEEvT_T0_DpT1_.kd
    .uniform_work_group_size: 1
    .uses_dynamic_stack: false
    .vgpr_count:     25
    .vgpr_spill_count: 0
    .wavefront_size: 32
  - .args:
      - .offset:         0
        .size:           3048
        .value_kind:     by_value
      - .offset:         3048
        .size:           1
        .value_kind:     by_value
      - .offset:         3049
        .size:           1
        .value_kind:     by_value
      - .offset:         3056
        .size:           8
        .value_kind:     by_value
      - .offset:         3064
        .size:           4
        .value_kind:     hidden_block_count_x
      - .offset:         3068
        .size:           4
        .value_kind:     hidden_block_count_y
      - .offset:         3072
        .size:           4
        .value_kind:     hidden_block_count_z
      - .offset:         3076
        .size:           2
        .value_kind:     hidden_group_size_x
      - .offset:         3078
        .size:           2
        .value_kind:     hidden_group_size_y
      - .offset:         3080
        .size:           2
        .value_kind:     hidden_group_size_z
      - .offset:         3082
        .size:           2
        .value_kind:     hidden_remainder_x
      - .offset:         3084
        .size:           2
        .value_kind:     hidden_remainder_y
      - .offset:         3086
        .size:           2
        .value_kind:     hidden_remainder_z
      - .offset:         3104
        .size:           8
        .value_kind:     hidden_global_offset_x
      - .offset:         3112
        .size:           8
        .value_kind:     hidden_global_offset_y
      - .offset:         3120
        .size:           8
        .value_kind:     hidden_global_offset_z
      - .offset:         3128
        .size:           2
        .value_kind:     hidden_grid_dims
    .group_segment_fixed_size: 0
    .kernarg_segment_align: 8
    .kernarg_segment_size: 3320
    .language:       OpenCL C
    .language_version:
      - 2
      - 0
    .max_flat_workgroup_size: 512
    .name:           _ZN2at6native12_GLOBAL__N_125multi_tensor_apply_kernelINS1_18TensorListMetadataILi4EEENS1_32PointwiseOpScalar0dTensorFunctorIdLi4ELi2ELi3EEEJSt7dividesIdEdEEEvT_T0_DpT1_
    .private_segment_fixed_size: 0
    .sgpr_count:     29
    .sgpr_spill_count: 0
    .symbol:         _ZN2at6native12_GLOBAL__N_125multi_tensor_apply_kernelINS1_18TensorListMetadataILi4EEENS1_32PointwiseOpScalar0dTensorFunctorIdLi4ELi2ELi3EEEJSt7dividesIdEdEEEvT_T0_DpT1_.kd
    .uniform_work_group_size: 1
    .uses_dynamic_stack: false
    .vgpr_count:     38
    .vgpr_spill_count: 0
    .wavefront_size: 32
  - .args:
      - .offset:         0
        .size:           3048
        .value_kind:     by_value
      - .offset:         3048
        .size:           1
        .value_kind:     by_value
      - .offset:         3049
        .size:           1
        .value_kind:     by_value
      - .offset:         3052
        .size:           4
        .value_kind:     by_value
      - .offset:         3056
        .size:           4
        .value_kind:     hidden_block_count_x
      - .offset:         3060
        .size:           4
        .value_kind:     hidden_block_count_y
      - .offset:         3064
        .size:           4
        .value_kind:     hidden_block_count_z
      - .offset:         3068
        .size:           2
        .value_kind:     hidden_group_size_x
      - .offset:         3070
        .size:           2
        .value_kind:     hidden_group_size_y
      - .offset:         3072
        .size:           2
        .value_kind:     hidden_group_size_z
      - .offset:         3074
        .size:           2
        .value_kind:     hidden_remainder_x
      - .offset:         3076
        .size:           2
        .value_kind:     hidden_remainder_y
      - .offset:         3078
        .size:           2
        .value_kind:     hidden_remainder_z
      - .offset:         3096
        .size:           8
        .value_kind:     hidden_global_offset_x
      - .offset:         3104
        .size:           8
        .value_kind:     hidden_global_offset_y
      - .offset:         3112
        .size:           8
        .value_kind:     hidden_global_offset_z
      - .offset:         3120
        .size:           2
        .value_kind:     hidden_grid_dims
    .group_segment_fixed_size: 0
    .kernarg_segment_align: 8
    .kernarg_segment_size: 3312
    .language:       OpenCL C
    .language_version:
      - 2
      - 0
    .max_flat_workgroup_size: 512
    .name:           _ZN2at6native12_GLOBAL__N_125multi_tensor_apply_kernelINS1_18TensorListMetadataILi4EEENS1_32PointwiseOpScalar0dTensorFunctorIfLi4ELi2ELi3EEEJSt7dividesIfEfEEEvT_T0_DpT1_
    .private_segment_fixed_size: 0
    .sgpr_count:     32
    .sgpr_spill_count: 0
    .symbol:         _ZN2at6native12_GLOBAL__N_125multi_tensor_apply_kernelINS1_18TensorListMetadataILi4EEENS1_32PointwiseOpScalar0dTensorFunctorIfLi4ELi2ELi3EEEJSt7dividesIfEfEEEvT_T0_DpT1_.kd
    .uniform_work_group_size: 1
    .uses_dynamic_stack: false
    .vgpr_count:     41
    .vgpr_spill_count: 0
    .wavefront_size: 32
  - .args:
      - .offset:         0
        .size:           3048
        .value_kind:     by_value
      - .offset:         3048
        .size:           1
        .value_kind:     by_value
      - .offset:         3049
        .size:           1
        .value_kind:     by_value
      - .offset:         3056
        .size:           16
        .value_kind:     by_value
      - .offset:         3072
        .size:           4
        .value_kind:     hidden_block_count_x
      - .offset:         3076
        .size:           4
        .value_kind:     hidden_block_count_y
      - .offset:         3080
        .size:           4
        .value_kind:     hidden_block_count_z
      - .offset:         3084
        .size:           2
        .value_kind:     hidden_group_size_x
      - .offset:         3086
        .size:           2
        .value_kind:     hidden_group_size_y
      - .offset:         3088
        .size:           2
        .value_kind:     hidden_group_size_z
      - .offset:         3090
        .size:           2
        .value_kind:     hidden_remainder_x
      - .offset:         3092
        .size:           2
        .value_kind:     hidden_remainder_y
      - .offset:         3094
        .size:           2
        .value_kind:     hidden_remainder_z
      - .offset:         3112
        .size:           8
        .value_kind:     hidden_global_offset_x
      - .offset:         3120
        .size:           8
        .value_kind:     hidden_global_offset_y
      - .offset:         3128
        .size:           8
        .value_kind:     hidden_global_offset_z
      - .offset:         3136
        .size:           2
        .value_kind:     hidden_grid_dims
    .group_segment_fixed_size: 0
    .kernarg_segment_align: 16
    .kernarg_segment_size: 3328
    .language:       OpenCL C
    .language_version:
      - 2
      - 0
    .max_flat_workgroup_size: 512
    .name:           _ZN2at6native12_GLOBAL__N_125multi_tensor_apply_kernelINS1_18TensorListMetadataILi4EEENS1_32PointwiseOpScalar0dTensorFunctorIN3c107complexIdEELi4ELi2ELi3EEEJSt7dividesIS8_ES8_EEEvT_T0_DpT1_
    .private_segment_fixed_size: 0
    .sgpr_count:     38
    .sgpr_spill_count: 0
    .symbol:         _ZN2at6native12_GLOBAL__N_125multi_tensor_apply_kernelINS1_18TensorListMetadataILi4EEENS1_32PointwiseOpScalar0dTensorFunctorIN3c107complexIdEELi4ELi2ELi3EEEJSt7dividesIS8_ES8_EEEvT_T0_DpT1_.kd
    .uniform_work_group_size: 1
    .uses_dynamic_stack: false
    .vgpr_count:     66
    .vgpr_spill_count: 0
    .wavefront_size: 32
  - .args:
      - .offset:         0
        .size:           3048
        .value_kind:     by_value
      - .offset:         3048
        .size:           1
        .value_kind:     by_value
      - .offset:         3049
        .size:           1
        .value_kind:     by_value
      - .offset:         3056
        .size:           8
        .value_kind:     by_value
      - .offset:         3064
        .size:           4
        .value_kind:     hidden_block_count_x
      - .offset:         3068
        .size:           4
        .value_kind:     hidden_block_count_y
      - .offset:         3072
        .size:           4
        .value_kind:     hidden_block_count_z
      - .offset:         3076
        .size:           2
        .value_kind:     hidden_group_size_x
      - .offset:         3078
        .size:           2
        .value_kind:     hidden_group_size_y
      - .offset:         3080
        .size:           2
        .value_kind:     hidden_group_size_z
      - .offset:         3082
        .size:           2
        .value_kind:     hidden_remainder_x
      - .offset:         3084
        .size:           2
        .value_kind:     hidden_remainder_y
      - .offset:         3086
        .size:           2
        .value_kind:     hidden_remainder_z
      - .offset:         3104
        .size:           8
        .value_kind:     hidden_global_offset_x
      - .offset:         3112
        .size:           8
        .value_kind:     hidden_global_offset_y
      - .offset:         3120
        .size:           8
        .value_kind:     hidden_global_offset_z
      - .offset:         3128
        .size:           2
        .value_kind:     hidden_grid_dims
    .group_segment_fixed_size: 0
    .kernarg_segment_align: 8
    .kernarg_segment_size: 3320
    .language:       OpenCL C
    .language_version:
      - 2
      - 0
    .max_flat_workgroup_size: 512
    .name:           _ZN2at6native12_GLOBAL__N_125multi_tensor_apply_kernelINS1_18TensorListMetadataILi4EEENS1_32PointwiseOpScalar0dTensorFunctorIN3c107complexIfEELi4ELi2ELi3EEEJSt7dividesIS8_ES8_EEEvT_T0_DpT1_
    .private_segment_fixed_size: 0
    .sgpr_count:     38
    .sgpr_spill_count: 0
    .symbol:         _ZN2at6native12_GLOBAL__N_125multi_tensor_apply_kernelINS1_18TensorListMetadataILi4EEENS1_32PointwiseOpScalar0dTensorFunctorIN3c107complexIfEELi4ELi2ELi3EEEJSt7dividesIS8_ES8_EEEvT_T0_DpT1_.kd
    .uniform_work_group_size: 1
    .uses_dynamic_stack: false
    .vgpr_count:     42
    .vgpr_spill_count: 0
    .wavefront_size: 32
  - .args:
      - .offset:         0
        .size:           3048
        .value_kind:     by_value
      - .offset:         3048
        .size:           1
        .value_kind:     by_value
      - .offset:         3049
        .size:           1
        .value_kind:     by_value
      - .offset:         3052
        .size:           4
        .value_kind:     by_value
      - .offset:         3056
        .size:           4
        .value_kind:     hidden_block_count_x
      - .offset:         3060
        .size:           4
        .value_kind:     hidden_block_count_y
      - .offset:         3064
        .size:           4
        .value_kind:     hidden_block_count_z
      - .offset:         3068
        .size:           2
        .value_kind:     hidden_group_size_x
      - .offset:         3070
        .size:           2
        .value_kind:     hidden_group_size_y
      - .offset:         3072
        .size:           2
        .value_kind:     hidden_group_size_z
      - .offset:         3074
        .size:           2
        .value_kind:     hidden_remainder_x
      - .offset:         3076
        .size:           2
        .value_kind:     hidden_remainder_y
      - .offset:         3078
        .size:           2
        .value_kind:     hidden_remainder_z
      - .offset:         3096
        .size:           8
        .value_kind:     hidden_global_offset_x
      - .offset:         3104
        .size:           8
        .value_kind:     hidden_global_offset_y
      - .offset:         3112
        .size:           8
        .value_kind:     hidden_global_offset_z
      - .offset:         3120
        .size:           2
        .value_kind:     hidden_grid_dims
    .group_segment_fixed_size: 0
    .kernarg_segment_align: 8
    .kernarg_segment_size: 3312
    .language:       OpenCL C
    .language_version:
      - 2
      - 0
    .max_flat_workgroup_size: 512
    .name:           _ZN2at6native12_GLOBAL__N_125multi_tensor_apply_kernelINS1_18TensorListMetadataILi4EEENS1_32PointwiseOpScalar0dTensorFunctorIN3c104HalfELi4ELi2ELi3EEEJSt7dividesIfEfEEEvT_T0_DpT1_
    .private_segment_fixed_size: 0
    .sgpr_count:     29
    .sgpr_spill_count: 0
    .symbol:         _ZN2at6native12_GLOBAL__N_125multi_tensor_apply_kernelINS1_18TensorListMetadataILi4EEENS1_32PointwiseOpScalar0dTensorFunctorIN3c104HalfELi4ELi2ELi3EEEJSt7dividesIfEfEEEvT_T0_DpT1_.kd
    .uniform_work_group_size: 1
    .uses_dynamic_stack: false
    .vgpr_count:     40
    .vgpr_spill_count: 0
    .wavefront_size: 32
  - .args:
      - .offset:         0
        .size:           3048
        .value_kind:     by_value
      - .offset:         3048
        .size:           1
        .value_kind:     by_value
      - .offset:         3049
        .size:           1
        .value_kind:     by_value
      - .offset:         3052
        .size:           4
        .value_kind:     by_value
      - .offset:         3056
        .size:           4
        .value_kind:     hidden_block_count_x
      - .offset:         3060
        .size:           4
        .value_kind:     hidden_block_count_y
      - .offset:         3064
        .size:           4
        .value_kind:     hidden_block_count_z
      - .offset:         3068
        .size:           2
        .value_kind:     hidden_group_size_x
      - .offset:         3070
        .size:           2
        .value_kind:     hidden_group_size_y
      - .offset:         3072
        .size:           2
        .value_kind:     hidden_group_size_z
      - .offset:         3074
        .size:           2
        .value_kind:     hidden_remainder_x
      - .offset:         3076
        .size:           2
        .value_kind:     hidden_remainder_y
      - .offset:         3078
        .size:           2
        .value_kind:     hidden_remainder_z
      - .offset:         3096
        .size:           8
        .value_kind:     hidden_global_offset_x
      - .offset:         3104
        .size:           8
        .value_kind:     hidden_global_offset_y
      - .offset:         3112
        .size:           8
        .value_kind:     hidden_global_offset_z
      - .offset:         3120
        .size:           2
        .value_kind:     hidden_grid_dims
    .group_segment_fixed_size: 0
    .kernarg_segment_align: 8
    .kernarg_segment_size: 3312
    .language:       OpenCL C
    .language_version:
      - 2
      - 0
    .max_flat_workgroup_size: 512
    .name:           _ZN2at6native12_GLOBAL__N_125multi_tensor_apply_kernelINS1_18TensorListMetadataILi4EEENS1_32PointwiseOpScalar0dTensorFunctorIN3c108BFloat16ELi4ELi2ELi3EEEJSt7dividesIfEfEEEvT_T0_DpT1_
    .private_segment_fixed_size: 0
    .sgpr_count:     30
    .sgpr_spill_count: 0
    .symbol:         _ZN2at6native12_GLOBAL__N_125multi_tensor_apply_kernelINS1_18TensorListMetadataILi4EEENS1_32PointwiseOpScalar0dTensorFunctorIN3c108BFloat16ELi4ELi2ELi3EEEJSt7dividesIfEfEEEvT_T0_DpT1_.kd
    .uniform_work_group_size: 1
    .uses_dynamic_stack: false
    .vgpr_count:     39
    .vgpr_spill_count: 0
    .wavefront_size: 32
  - .args:
      - .offset:         0
        .size:           3144
        .value_kind:     by_value
      - .offset:         3144
        .size:           1
        .value_kind:     by_value
      - .offset:         3145
        .size:           1
        .value_kind:     by_value
      - .offset:         3146
        .size:           1
        .value_kind:     by_value
      - .offset:         3152
        .size:           4
        .value_kind:     hidden_block_count_x
      - .offset:         3156
        .size:           4
        .value_kind:     hidden_block_count_y
      - .offset:         3160
        .size:           4
        .value_kind:     hidden_block_count_z
      - .offset:         3164
        .size:           2
        .value_kind:     hidden_group_size_x
      - .offset:         3166
        .size:           2
        .value_kind:     hidden_group_size_y
      - .offset:         3168
        .size:           2
        .value_kind:     hidden_group_size_z
      - .offset:         3170
        .size:           2
        .value_kind:     hidden_remainder_x
      - .offset:         3172
        .size:           2
        .value_kind:     hidden_remainder_y
      - .offset:         3174
        .size:           2
        .value_kind:     hidden_remainder_z
      - .offset:         3192
        .size:           8
        .value_kind:     hidden_global_offset_x
      - .offset:         3200
        .size:           8
        .value_kind:     hidden_global_offset_y
      - .offset:         3208
        .size:           8
        .value_kind:     hidden_global_offset_z
      - .offset:         3216
        .size:           2
        .value_kind:     hidden_grid_dims
    .group_segment_fixed_size: 0
    .kernarg_segment_align: 8
    .kernarg_segment_size: 3408
    .language:       OpenCL C
    .language_version:
      - 2
      - 0
    .max_flat_workgroup_size: 512
    .name:           _ZN2at6native12_GLOBAL__N_125multi_tensor_apply_kernelINS1_18TensorListMetadataILi3EEENS1_24PointwiseOpScalarFunctorIhLi3ELi3ELi0EEEJSt7dividesIhEhEEEvT_T0_DpT1_
    .private_segment_fixed_size: 0
    .sgpr_count:     26
    .sgpr_spill_count: 0
    .symbol:         _ZN2at6native12_GLOBAL__N_125multi_tensor_apply_kernelINS1_18TensorListMetadataILi3EEENS1_24PointwiseOpScalarFunctorIhLi3ELi3ELi0EEEJSt7dividesIhEhEEEvT_T0_DpT1_.kd
    .uniform_work_group_size: 1
    .uses_dynamic_stack: false
    .vgpr_count:     60
    .vgpr_spill_count: 0
    .wavefront_size: 32
  - .args:
      - .offset:         0
        .size:           3144
        .value_kind:     by_value
      - .offset:         3144
        .size:           1
        .value_kind:     by_value
      - .offset:         3145
        .size:           1
        .value_kind:     by_value
      - .offset:         3146
        .size:           1
        .value_kind:     by_value
      - .offset:         3152
        .size:           4
        .value_kind:     hidden_block_count_x
      - .offset:         3156
        .size:           4
        .value_kind:     hidden_block_count_y
      - .offset:         3160
        .size:           4
        .value_kind:     hidden_block_count_z
      - .offset:         3164
        .size:           2
        .value_kind:     hidden_group_size_x
      - .offset:         3166
        .size:           2
        .value_kind:     hidden_group_size_y
      - .offset:         3168
        .size:           2
        .value_kind:     hidden_group_size_z
      - .offset:         3170
        .size:           2
        .value_kind:     hidden_remainder_x
      - .offset:         3172
        .size:           2
        .value_kind:     hidden_remainder_y
      - .offset:         3174
        .size:           2
        .value_kind:     hidden_remainder_z
      - .offset:         3192
        .size:           8
        .value_kind:     hidden_global_offset_x
      - .offset:         3200
        .size:           8
        .value_kind:     hidden_global_offset_y
      - .offset:         3208
        .size:           8
        .value_kind:     hidden_global_offset_z
      - .offset:         3216
        .size:           2
        .value_kind:     hidden_grid_dims
    .group_segment_fixed_size: 0
    .kernarg_segment_align: 8
    .kernarg_segment_size: 3408
    .language:       OpenCL C
    .language_version:
      - 2
      - 0
    .max_flat_workgroup_size: 512
    .name:           _ZN2at6native12_GLOBAL__N_125multi_tensor_apply_kernelINS1_18TensorListMetadataILi3EEENS1_24PointwiseOpScalarFunctorIaLi3ELi3ELi0EEEJSt7dividesIaEaEEEvT_T0_DpT1_
    .private_segment_fixed_size: 0
    .sgpr_count:     26
    .sgpr_spill_count: 0
    .symbol:         _ZN2at6native12_GLOBAL__N_125multi_tensor_apply_kernelINS1_18TensorListMetadataILi3EEENS1_24PointwiseOpScalarFunctorIaLi3ELi3ELi0EEEJSt7dividesIaEaEEEvT_T0_DpT1_.kd
    .uniform_work_group_size: 1
    .uses_dynamic_stack: false
    .vgpr_count:     52
    .vgpr_spill_count: 0
    .wavefront_size: 32
  - .args:
      - .offset:         0
        .size:           3144
        .value_kind:     by_value
      - .offset:         3144
        .size:           1
        .value_kind:     by_value
      - .offset:         3145
        .size:           1
        .value_kind:     by_value
      - .offset:         3148
        .size:           4
        .value_kind:     by_value
      - .offset:         3152
        .size:           4
        .value_kind:     hidden_block_count_x
      - .offset:         3156
        .size:           4
        .value_kind:     hidden_block_count_y
      - .offset:         3160
        .size:           4
        .value_kind:     hidden_block_count_z
      - .offset:         3164
        .size:           2
        .value_kind:     hidden_group_size_x
      - .offset:         3166
        .size:           2
        .value_kind:     hidden_group_size_y
      - .offset:         3168
        .size:           2
        .value_kind:     hidden_group_size_z
      - .offset:         3170
        .size:           2
        .value_kind:     hidden_remainder_x
      - .offset:         3172
        .size:           2
        .value_kind:     hidden_remainder_y
      - .offset:         3174
        .size:           2
        .value_kind:     hidden_remainder_z
      - .offset:         3192
        .size:           8
        .value_kind:     hidden_global_offset_x
      - .offset:         3200
        .size:           8
        .value_kind:     hidden_global_offset_y
      - .offset:         3208
        .size:           8
        .value_kind:     hidden_global_offset_z
      - .offset:         3216
        .size:           2
        .value_kind:     hidden_grid_dims
    .group_segment_fixed_size: 0
    .kernarg_segment_align: 8
    .kernarg_segment_size: 3408
    .language:       OpenCL C
    .language_version:
      - 2
      - 0
    .max_flat_workgroup_size: 512
    .name:           _ZN2at6native12_GLOBAL__N_125multi_tensor_apply_kernelINS1_18TensorListMetadataILi3EEENS1_24PointwiseOpScalarFunctorIiLi3ELi3ELi0EEEJSt7dividesIiEiEEEvT_T0_DpT1_
    .private_segment_fixed_size: 0
    .sgpr_count:     26
    .sgpr_spill_count: 0
    .symbol:         _ZN2at6native12_GLOBAL__N_125multi_tensor_apply_kernelINS1_18TensorListMetadataILi3EEENS1_24PointwiseOpScalarFunctorIiLi3ELi3ELi0EEEJSt7dividesIiEiEEEvT_T0_DpT1_.kd
    .uniform_work_group_size: 1
    .uses_dynamic_stack: false
    .vgpr_count:     59
    .vgpr_spill_count: 0
    .wavefront_size: 32
  - .args:
      - .offset:         0
        .size:           3144
        .value_kind:     by_value
      - .offset:         3144
        .size:           1
        .value_kind:     by_value
      - .offset:         3145
        .size:           1
        .value_kind:     by_value
      - .offset:         3152
        .size:           8
        .value_kind:     by_value
      - .offset:         3160
        .size:           4
        .value_kind:     hidden_block_count_x
      - .offset:         3164
        .size:           4
        .value_kind:     hidden_block_count_y
      - .offset:         3168
        .size:           4
        .value_kind:     hidden_block_count_z
      - .offset:         3172
        .size:           2
        .value_kind:     hidden_group_size_x
      - .offset:         3174
        .size:           2
        .value_kind:     hidden_group_size_y
      - .offset:         3176
        .size:           2
        .value_kind:     hidden_group_size_z
      - .offset:         3178
        .size:           2
        .value_kind:     hidden_remainder_x
      - .offset:         3180
        .size:           2
        .value_kind:     hidden_remainder_y
      - .offset:         3182
        .size:           2
        .value_kind:     hidden_remainder_z
      - .offset:         3200
        .size:           8
        .value_kind:     hidden_global_offset_x
      - .offset:         3208
        .size:           8
        .value_kind:     hidden_global_offset_y
      - .offset:         3216
        .size:           8
        .value_kind:     hidden_global_offset_z
      - .offset:         3224
        .size:           2
        .value_kind:     hidden_grid_dims
    .group_segment_fixed_size: 0
    .kernarg_segment_align: 8
    .kernarg_segment_size: 3416
    .language:       OpenCL C
    .language_version:
      - 2
      - 0
    .max_flat_workgroup_size: 512
    .name:           _ZN2at6native12_GLOBAL__N_125multi_tensor_apply_kernelINS1_18TensorListMetadataILi3EEENS1_24PointwiseOpScalarFunctorIlLi3ELi3ELi0EEEJSt7dividesIlElEEEvT_T0_DpT1_
    .private_segment_fixed_size: 0
    .sgpr_count:     32
    .sgpr_spill_count: 0
    .symbol:         _ZN2at6native12_GLOBAL__N_125multi_tensor_apply_kernelINS1_18TensorListMetadataILi3EEENS1_24PointwiseOpScalarFunctorIlLi3ELi3ELi0EEEJSt7dividesIlElEEEvT_T0_DpT1_.kd
    .uniform_work_group_size: 1
    .uses_dynamic_stack: false
    .vgpr_count:     88
    .vgpr_spill_count: 0
    .wavefront_size: 32
  - .args:
      - .offset:         0
        .size:           3144
        .value_kind:     by_value
      - .offset:         3144
        .size:           1
        .value_kind:     by_value
      - .offset:         3145
        .size:           1
        .value_kind:     by_value
      - .offset:         3146
        .size:           2
        .value_kind:     by_value
      - .offset:         3152
        .size:           4
        .value_kind:     hidden_block_count_x
      - .offset:         3156
        .size:           4
        .value_kind:     hidden_block_count_y
      - .offset:         3160
        .size:           4
        .value_kind:     hidden_block_count_z
      - .offset:         3164
        .size:           2
        .value_kind:     hidden_group_size_x
      - .offset:         3166
        .size:           2
        .value_kind:     hidden_group_size_y
      - .offset:         3168
        .size:           2
        .value_kind:     hidden_group_size_z
      - .offset:         3170
        .size:           2
        .value_kind:     hidden_remainder_x
      - .offset:         3172
        .size:           2
        .value_kind:     hidden_remainder_y
      - .offset:         3174
        .size:           2
        .value_kind:     hidden_remainder_z
      - .offset:         3192
        .size:           8
        .value_kind:     hidden_global_offset_x
      - .offset:         3200
        .size:           8
        .value_kind:     hidden_global_offset_y
      - .offset:         3208
        .size:           8
        .value_kind:     hidden_global_offset_z
      - .offset:         3216
        .size:           2
        .value_kind:     hidden_grid_dims
    .group_segment_fixed_size: 0
    .kernarg_segment_align: 8
    .kernarg_segment_size: 3408
    .language:       OpenCL C
    .language_version:
      - 2
      - 0
    .max_flat_workgroup_size: 512
    .name:           _ZN2at6native12_GLOBAL__N_125multi_tensor_apply_kernelINS1_18TensorListMetadataILi3EEENS1_24PointwiseOpScalarFunctorIsLi3ELi3ELi0EEEJSt7dividesIsEsEEEvT_T0_DpT1_
    .private_segment_fixed_size: 0
    .sgpr_count:     27
    .sgpr_spill_count: 0
    .symbol:         _ZN2at6native12_GLOBAL__N_125multi_tensor_apply_kernelINS1_18TensorListMetadataILi3EEENS1_24PointwiseOpScalarFunctorIsLi3ELi3ELi0EEEJSt7dividesIsEsEEEvT_T0_DpT1_.kd
    .uniform_work_group_size: 1
    .uses_dynamic_stack: false
    .vgpr_count:     52
    .vgpr_spill_count: 0
    .wavefront_size: 32
  - .args:
      - .offset:         0
        .size:           3144
        .value_kind:     by_value
      - .offset:         3144
        .size:           1
        .value_kind:     by_value
      - .offset:         3145
        .size:           1
        .value_kind:     by_value
      - .offset:         3152
        .size:           8
        .value_kind:     by_value
      - .offset:         3160
        .size:           4
        .value_kind:     hidden_block_count_x
      - .offset:         3164
        .size:           4
        .value_kind:     hidden_block_count_y
      - .offset:         3168
        .size:           4
        .value_kind:     hidden_block_count_z
      - .offset:         3172
        .size:           2
        .value_kind:     hidden_group_size_x
      - .offset:         3174
        .size:           2
        .value_kind:     hidden_group_size_y
      - .offset:         3176
        .size:           2
        .value_kind:     hidden_group_size_z
      - .offset:         3178
        .size:           2
        .value_kind:     hidden_remainder_x
      - .offset:         3180
        .size:           2
        .value_kind:     hidden_remainder_y
      - .offset:         3182
        .size:           2
        .value_kind:     hidden_remainder_z
      - .offset:         3200
        .size:           8
        .value_kind:     hidden_global_offset_x
      - .offset:         3208
        .size:           8
        .value_kind:     hidden_global_offset_y
      - .offset:         3216
        .size:           8
        .value_kind:     hidden_global_offset_z
      - .offset:         3224
        .size:           2
        .value_kind:     hidden_grid_dims
    .group_segment_fixed_size: 0
    .kernarg_segment_align: 8
    .kernarg_segment_size: 3416
    .language:       OpenCL C
    .language_version:
      - 2
      - 0
    .max_flat_workgroup_size: 512
    .name:           _ZN2at6native12_GLOBAL__N_125multi_tensor_apply_kernelINS1_18TensorListMetadataILi3EEENS1_24PointwiseOpScalarFunctorIdLi3ELi3ELi0EEEJSt7dividesIdEdEEEvT_T0_DpT1_
    .private_segment_fixed_size: 0
    .sgpr_count:     32
    .sgpr_spill_count: 0
    .symbol:         _ZN2at6native12_GLOBAL__N_125multi_tensor_apply_kernelINS1_18TensorListMetadataILi3EEENS1_24PointwiseOpScalarFunctorIdLi3ELi3ELi0EEEJSt7dividesIdEdEEEvT_T0_DpT1_.kd
    .uniform_work_group_size: 1
    .uses_dynamic_stack: false
    .vgpr_count:     68
    .vgpr_spill_count: 0
    .wavefront_size: 32
  - .args:
      - .offset:         0
        .size:           3144
        .value_kind:     by_value
      - .offset:         3144
        .size:           1
        .value_kind:     by_value
      - .offset:         3145
        .size:           1
        .value_kind:     by_value
      - .offset:         3148
        .size:           4
        .value_kind:     by_value
      - .offset:         3152
        .size:           4
        .value_kind:     hidden_block_count_x
      - .offset:         3156
        .size:           4
        .value_kind:     hidden_block_count_y
      - .offset:         3160
        .size:           4
        .value_kind:     hidden_block_count_z
      - .offset:         3164
        .size:           2
        .value_kind:     hidden_group_size_x
      - .offset:         3166
        .size:           2
        .value_kind:     hidden_group_size_y
      - .offset:         3168
        .size:           2
        .value_kind:     hidden_group_size_z
      - .offset:         3170
        .size:           2
        .value_kind:     hidden_remainder_x
      - .offset:         3172
        .size:           2
        .value_kind:     hidden_remainder_y
      - .offset:         3174
        .size:           2
        .value_kind:     hidden_remainder_z
      - .offset:         3192
        .size:           8
        .value_kind:     hidden_global_offset_x
      - .offset:         3200
        .size:           8
        .value_kind:     hidden_global_offset_y
      - .offset:         3208
        .size:           8
        .value_kind:     hidden_global_offset_z
      - .offset:         3216
        .size:           2
        .value_kind:     hidden_grid_dims
    .group_segment_fixed_size: 0
    .kernarg_segment_align: 8
    .kernarg_segment_size: 3408
    .language:       OpenCL C
    .language_version:
      - 2
      - 0
    .max_flat_workgroup_size: 512
    .name:           _ZN2at6native12_GLOBAL__N_125multi_tensor_apply_kernelINS1_18TensorListMetadataILi3EEENS1_24PointwiseOpScalarFunctorIfLi3ELi3ELi0EEEJSt7dividesIfEfEEEvT_T0_DpT1_
    .private_segment_fixed_size: 0
    .sgpr_count:     26
    .sgpr_spill_count: 0
    .symbol:         _ZN2at6native12_GLOBAL__N_125multi_tensor_apply_kernelINS1_18TensorListMetadataILi3EEENS1_24PointwiseOpScalarFunctorIfLi3ELi3ELi0EEEJSt7dividesIfEfEEEvT_T0_DpT1_.kd
    .uniform_work_group_size: 1
    .uses_dynamic_stack: false
    .vgpr_count:     53
    .vgpr_spill_count: 0
    .wavefront_size: 32
  - .args:
      - .offset:         0
        .size:           3144
        .value_kind:     by_value
      - .offset:         3144
        .size:           1
        .value_kind:     by_value
      - .offset:         3145
        .size:           1
        .value_kind:     by_value
      - .offset:         3152
        .size:           16
        .value_kind:     by_value
      - .offset:         3168
        .size:           4
        .value_kind:     hidden_block_count_x
      - .offset:         3172
        .size:           4
        .value_kind:     hidden_block_count_y
      - .offset:         3176
        .size:           4
        .value_kind:     hidden_block_count_z
      - .offset:         3180
        .size:           2
        .value_kind:     hidden_group_size_x
      - .offset:         3182
        .size:           2
        .value_kind:     hidden_group_size_y
      - .offset:         3184
        .size:           2
        .value_kind:     hidden_group_size_z
      - .offset:         3186
        .size:           2
        .value_kind:     hidden_remainder_x
      - .offset:         3188
        .size:           2
        .value_kind:     hidden_remainder_y
      - .offset:         3190
        .size:           2
        .value_kind:     hidden_remainder_z
      - .offset:         3208
        .size:           8
        .value_kind:     hidden_global_offset_x
      - .offset:         3216
        .size:           8
        .value_kind:     hidden_global_offset_y
      - .offset:         3224
        .size:           8
        .value_kind:     hidden_global_offset_z
      - .offset:         3232
        .size:           2
        .value_kind:     hidden_grid_dims
    .group_segment_fixed_size: 0
    .kernarg_segment_align: 16
    .kernarg_segment_size: 3424
    .language:       OpenCL C
    .language_version:
      - 2
      - 0
    .max_flat_workgroup_size: 512
    .name:           _ZN2at6native12_GLOBAL__N_125multi_tensor_apply_kernelINS1_18TensorListMetadataILi3EEENS1_24PointwiseOpScalarFunctorIN3c107complexIdEELi3ELi3ELi0EEEJSt7dividesIS8_ES8_EEEvT_T0_DpT1_
    .private_segment_fixed_size: 0
    .sgpr_count:     36
    .sgpr_spill_count: 0
    .symbol:         _ZN2at6native12_GLOBAL__N_125multi_tensor_apply_kernelINS1_18TensorListMetadataILi3EEENS1_24PointwiseOpScalarFunctorIN3c107complexIdEELi3ELi3ELi0EEEJSt7dividesIS8_ES8_EEEvT_T0_DpT1_.kd
    .uniform_work_group_size: 1
    .uses_dynamic_stack: false
    .vgpr_count:     82
    .vgpr_spill_count: 0
    .wavefront_size: 32
  - .args:
      - .offset:         0
        .size:           3144
        .value_kind:     by_value
      - .offset:         3144
        .size:           1
        .value_kind:     by_value
      - .offset:         3145
        .size:           1
        .value_kind:     by_value
      - .offset:         3152
        .size:           8
        .value_kind:     by_value
      - .offset:         3160
        .size:           4
        .value_kind:     hidden_block_count_x
      - .offset:         3164
        .size:           4
        .value_kind:     hidden_block_count_y
      - .offset:         3168
        .size:           4
        .value_kind:     hidden_block_count_z
      - .offset:         3172
        .size:           2
        .value_kind:     hidden_group_size_x
      - .offset:         3174
        .size:           2
        .value_kind:     hidden_group_size_y
      - .offset:         3176
        .size:           2
        .value_kind:     hidden_group_size_z
      - .offset:         3178
        .size:           2
        .value_kind:     hidden_remainder_x
      - .offset:         3180
        .size:           2
        .value_kind:     hidden_remainder_y
      - .offset:         3182
        .size:           2
        .value_kind:     hidden_remainder_z
      - .offset:         3200
        .size:           8
        .value_kind:     hidden_global_offset_x
      - .offset:         3208
        .size:           8
        .value_kind:     hidden_global_offset_y
      - .offset:         3216
        .size:           8
        .value_kind:     hidden_global_offset_z
      - .offset:         3224
        .size:           2
        .value_kind:     hidden_grid_dims
    .group_segment_fixed_size: 0
    .kernarg_segment_align: 8
    .kernarg_segment_size: 3416
    .language:       OpenCL C
    .language_version:
      - 2
      - 0
    .max_flat_workgroup_size: 512
    .name:           _ZN2at6native12_GLOBAL__N_125multi_tensor_apply_kernelINS1_18TensorListMetadataILi3EEENS1_24PointwiseOpScalarFunctorIN3c107complexIfEELi3ELi3ELi0EEEJSt7dividesIS8_ES8_EEEvT_T0_DpT1_
    .private_segment_fixed_size: 0
    .sgpr_count:     33
    .sgpr_spill_count: 0
    .symbol:         _ZN2at6native12_GLOBAL__N_125multi_tensor_apply_kernelINS1_18TensorListMetadataILi3EEENS1_24PointwiseOpScalarFunctorIN3c107complexIfEELi3ELi3ELi0EEEJSt7dividesIS8_ES8_EEEvT_T0_DpT1_.kd
    .uniform_work_group_size: 1
    .uses_dynamic_stack: false
    .vgpr_count:     72
    .vgpr_spill_count: 0
    .wavefront_size: 32
  - .args:
      - .offset:         0
        .size:           3144
        .value_kind:     by_value
      - .offset:         3144
        .size:           1
        .value_kind:     by_value
      - .offset:         3145
        .size:           1
        .value_kind:     by_value
      - .offset:         3148
        .size:           4
        .value_kind:     by_value
      - .offset:         3152
        .size:           4
        .value_kind:     hidden_block_count_x
      - .offset:         3156
        .size:           4
        .value_kind:     hidden_block_count_y
      - .offset:         3160
        .size:           4
        .value_kind:     hidden_block_count_z
      - .offset:         3164
        .size:           2
        .value_kind:     hidden_group_size_x
      - .offset:         3166
        .size:           2
        .value_kind:     hidden_group_size_y
      - .offset:         3168
        .size:           2
        .value_kind:     hidden_group_size_z
      - .offset:         3170
        .size:           2
        .value_kind:     hidden_remainder_x
      - .offset:         3172
        .size:           2
        .value_kind:     hidden_remainder_y
      - .offset:         3174
        .size:           2
        .value_kind:     hidden_remainder_z
      - .offset:         3192
        .size:           8
        .value_kind:     hidden_global_offset_x
      - .offset:         3200
        .size:           8
        .value_kind:     hidden_global_offset_y
      - .offset:         3208
        .size:           8
        .value_kind:     hidden_global_offset_z
      - .offset:         3216
        .size:           2
        .value_kind:     hidden_grid_dims
    .group_segment_fixed_size: 0
    .kernarg_segment_align: 8
    .kernarg_segment_size: 3408
    .language:       OpenCL C
    .language_version:
      - 2
      - 0
    .max_flat_workgroup_size: 512
    .name:           _ZN2at6native12_GLOBAL__N_125multi_tensor_apply_kernelINS1_18TensorListMetadataILi3EEENS1_24PointwiseOpScalarFunctorIN3c104HalfELi3ELi3ELi0EEEJSt7dividesIfEfEEEvT_T0_DpT1_
    .private_segment_fixed_size: 0
    .sgpr_count:     26
    .sgpr_spill_count: 0
    .symbol:         _ZN2at6native12_GLOBAL__N_125multi_tensor_apply_kernelINS1_18TensorListMetadataILi3EEENS1_24PointwiseOpScalarFunctorIN3c104HalfELi3ELi3ELi0EEEJSt7dividesIfEfEEEvT_T0_DpT1_.kd
    .uniform_work_group_size: 1
    .uses_dynamic_stack: false
    .vgpr_count:     53
    .vgpr_spill_count: 0
    .wavefront_size: 32
  - .args:
      - .offset:         0
        .size:           3144
        .value_kind:     by_value
      - .offset:         3144
        .size:           1
        .value_kind:     by_value
      - .offset:         3145
        .size:           1
        .value_kind:     by_value
      - .offset:         3148
        .size:           4
        .value_kind:     by_value
      - .offset:         3152
        .size:           4
        .value_kind:     hidden_block_count_x
      - .offset:         3156
        .size:           4
        .value_kind:     hidden_block_count_y
      - .offset:         3160
        .size:           4
        .value_kind:     hidden_block_count_z
      - .offset:         3164
        .size:           2
        .value_kind:     hidden_group_size_x
      - .offset:         3166
        .size:           2
        .value_kind:     hidden_group_size_y
      - .offset:         3168
        .size:           2
        .value_kind:     hidden_group_size_z
      - .offset:         3170
        .size:           2
        .value_kind:     hidden_remainder_x
      - .offset:         3172
        .size:           2
        .value_kind:     hidden_remainder_y
      - .offset:         3174
        .size:           2
        .value_kind:     hidden_remainder_z
      - .offset:         3192
        .size:           8
        .value_kind:     hidden_global_offset_x
      - .offset:         3200
        .size:           8
        .value_kind:     hidden_global_offset_y
      - .offset:         3208
        .size:           8
        .value_kind:     hidden_global_offset_z
      - .offset:         3216
        .size:           2
        .value_kind:     hidden_grid_dims
    .group_segment_fixed_size: 0
    .kernarg_segment_align: 8
    .kernarg_segment_size: 3408
    .language:       OpenCL C
    .language_version:
      - 2
      - 0
    .max_flat_workgroup_size: 512
    .name:           _ZN2at6native12_GLOBAL__N_125multi_tensor_apply_kernelINS1_18TensorListMetadataILi3EEENS1_24PointwiseOpScalarFunctorIN3c108BFloat16ELi3ELi3ELi0EEEJSt7dividesIfEfEEEvT_T0_DpT1_
    .private_segment_fixed_size: 0
    .sgpr_count:     26
    .sgpr_spill_count: 0
    .symbol:         _ZN2at6native12_GLOBAL__N_125multi_tensor_apply_kernelINS1_18TensorListMetadataILi3EEENS1_24PointwiseOpScalarFunctorIN3c108BFloat16ELi3ELi3ELi0EEEJSt7dividesIfEfEEEvT_T0_DpT1_.kd
    .uniform_work_group_size: 1
    .uses_dynamic_stack: false
    .vgpr_count:     53
    .vgpr_spill_count: 0
    .wavefront_size: 32
  - .args:
      - .offset:         0
        .size:           3144
        .value_kind:     by_value
      - .offset:         3144
        .size:           1
        .value_kind:     by_value
      - .offset:         3145
        .size:           1
        .value_kind:     by_value
      - .offset:         3146
        .size:           1
        .value_kind:     by_value
      - .offset:         3152
        .size:           4
        .value_kind:     hidden_block_count_x
      - .offset:         3156
        .size:           4
        .value_kind:     hidden_block_count_y
      - .offset:         3160
        .size:           4
        .value_kind:     hidden_block_count_z
      - .offset:         3164
        .size:           2
        .value_kind:     hidden_group_size_x
      - .offset:         3166
        .size:           2
        .value_kind:     hidden_group_size_y
      - .offset:         3168
        .size:           2
        .value_kind:     hidden_group_size_z
      - .offset:         3170
        .size:           2
        .value_kind:     hidden_remainder_x
      - .offset:         3172
        .size:           2
        .value_kind:     hidden_remainder_y
      - .offset:         3174
        .size:           2
        .value_kind:     hidden_remainder_z
      - .offset:         3192
        .size:           8
        .value_kind:     hidden_global_offset_x
      - .offset:         3200
        .size:           8
        .value_kind:     hidden_global_offset_y
      - .offset:         3208
        .size:           8
        .value_kind:     hidden_global_offset_z
      - .offset:         3216
        .size:           2
        .value_kind:     hidden_grid_dims
    .group_segment_fixed_size: 0
    .kernarg_segment_align: 8
    .kernarg_segment_size: 3408
    .language:       OpenCL C
    .language_version:
      - 2
      - 0
    .max_flat_workgroup_size: 512
    .name:           _ZN2at6native12_GLOBAL__N_125multi_tensor_apply_kernelINS1_18TensorListMetadataILi3EEENS1_32PointwiseOpScalar0dTensorFunctorIhLi3ELi2ELi0EEEJSt7dividesIhEhEEEvT_T0_DpT1_
    .private_segment_fixed_size: 0
    .sgpr_count:     20
    .sgpr_spill_count: 0
    .symbol:         _ZN2at6native12_GLOBAL__N_125multi_tensor_apply_kernelINS1_18TensorListMetadataILi3EEENS1_32PointwiseOpScalar0dTensorFunctorIhLi3ELi2ELi0EEEJSt7dividesIhEhEEEvT_T0_DpT1_.kd
    .uniform_work_group_size: 1
    .uses_dynamic_stack: false
    .vgpr_count:     45
    .vgpr_spill_count: 0
    .wavefront_size: 32
  - .args:
      - .offset:         0
        .size:           3144
        .value_kind:     by_value
      - .offset:         3144
        .size:           1
        .value_kind:     by_value
      - .offset:         3145
        .size:           1
        .value_kind:     by_value
      - .offset:         3146
        .size:           1
        .value_kind:     by_value
      - .offset:         3152
        .size:           4
        .value_kind:     hidden_block_count_x
      - .offset:         3156
        .size:           4
        .value_kind:     hidden_block_count_y
      - .offset:         3160
        .size:           4
        .value_kind:     hidden_block_count_z
      - .offset:         3164
        .size:           2
        .value_kind:     hidden_group_size_x
      - .offset:         3166
        .size:           2
        .value_kind:     hidden_group_size_y
      - .offset:         3168
        .size:           2
        .value_kind:     hidden_group_size_z
      - .offset:         3170
        .size:           2
        .value_kind:     hidden_remainder_x
      - .offset:         3172
        .size:           2
        .value_kind:     hidden_remainder_y
      - .offset:         3174
        .size:           2
        .value_kind:     hidden_remainder_z
      - .offset:         3192
        .size:           8
        .value_kind:     hidden_global_offset_x
      - .offset:         3200
        .size:           8
        .value_kind:     hidden_global_offset_y
      - .offset:         3208
        .size:           8
        .value_kind:     hidden_global_offset_z
      - .offset:         3216
        .size:           2
        .value_kind:     hidden_grid_dims
    .group_segment_fixed_size: 0
    .kernarg_segment_align: 8
    .kernarg_segment_size: 3408
    .language:       OpenCL C
    .language_version:
      - 2
      - 0
    .max_flat_workgroup_size: 512
    .name:           _ZN2at6native12_GLOBAL__N_125multi_tensor_apply_kernelINS1_18TensorListMetadataILi3EEENS1_32PointwiseOpScalar0dTensorFunctorIaLi3ELi2ELi0EEEJSt7dividesIaEaEEEvT_T0_DpT1_
    .private_segment_fixed_size: 0
    .sgpr_count:     23
    .sgpr_spill_count: 0
    .symbol:         _ZN2at6native12_GLOBAL__N_125multi_tensor_apply_kernelINS1_18TensorListMetadataILi3EEENS1_32PointwiseOpScalar0dTensorFunctorIaLi3ELi2ELi0EEEJSt7dividesIaEaEEEvT_T0_DpT1_.kd
    .uniform_work_group_size: 1
    .uses_dynamic_stack: false
    .vgpr_count:     44
    .vgpr_spill_count: 0
    .wavefront_size: 32
  - .args:
      - .offset:         0
        .size:           3144
        .value_kind:     by_value
      - .offset:         3144
        .size:           1
        .value_kind:     by_value
      - .offset:         3145
        .size:           1
        .value_kind:     by_value
      - .offset:         3148
        .size:           4
        .value_kind:     by_value
      - .offset:         3152
        .size:           4
        .value_kind:     hidden_block_count_x
      - .offset:         3156
        .size:           4
        .value_kind:     hidden_block_count_y
      - .offset:         3160
        .size:           4
        .value_kind:     hidden_block_count_z
      - .offset:         3164
        .size:           2
        .value_kind:     hidden_group_size_x
      - .offset:         3166
        .size:           2
        .value_kind:     hidden_group_size_y
      - .offset:         3168
        .size:           2
        .value_kind:     hidden_group_size_z
      - .offset:         3170
        .size:           2
        .value_kind:     hidden_remainder_x
      - .offset:         3172
        .size:           2
        .value_kind:     hidden_remainder_y
      - .offset:         3174
        .size:           2
        .value_kind:     hidden_remainder_z
      - .offset:         3192
        .size:           8
        .value_kind:     hidden_global_offset_x
      - .offset:         3200
        .size:           8
        .value_kind:     hidden_global_offset_y
      - .offset:         3208
        .size:           8
        .value_kind:     hidden_global_offset_z
      - .offset:         3216
        .size:           2
        .value_kind:     hidden_grid_dims
    .group_segment_fixed_size: 0
    .kernarg_segment_align: 8
    .kernarg_segment_size: 3408
    .language:       OpenCL C
    .language_version:
      - 2
      - 0
    .max_flat_workgroup_size: 512
    .name:           _ZN2at6native12_GLOBAL__N_125multi_tensor_apply_kernelINS1_18TensorListMetadataILi3EEENS1_32PointwiseOpScalar0dTensorFunctorIiLi3ELi2ELi0EEEJSt7dividesIiEiEEEvT_T0_DpT1_
    .private_segment_fixed_size: 0
    .sgpr_count:     28
    .sgpr_spill_count: 0
    .symbol:         _ZN2at6native12_GLOBAL__N_125multi_tensor_apply_kernelINS1_18TensorListMetadataILi3EEENS1_32PointwiseOpScalar0dTensorFunctorIiLi3ELi2ELi0EEEJSt7dividesIiEiEEEvT_T0_DpT1_.kd
    .uniform_work_group_size: 1
    .uses_dynamic_stack: false
    .vgpr_count:     36
    .vgpr_spill_count: 0
    .wavefront_size: 32
  - .args:
      - .offset:         0
        .size:           3144
        .value_kind:     by_value
      - .offset:         3144
        .size:           1
        .value_kind:     by_value
      - .offset:         3145
        .size:           1
        .value_kind:     by_value
      - .offset:         3152
        .size:           8
        .value_kind:     by_value
      - .offset:         3160
        .size:           4
        .value_kind:     hidden_block_count_x
      - .offset:         3164
        .size:           4
        .value_kind:     hidden_block_count_y
      - .offset:         3168
        .size:           4
        .value_kind:     hidden_block_count_z
      - .offset:         3172
        .size:           2
        .value_kind:     hidden_group_size_x
      - .offset:         3174
        .size:           2
        .value_kind:     hidden_group_size_y
      - .offset:         3176
        .size:           2
        .value_kind:     hidden_group_size_z
      - .offset:         3178
        .size:           2
        .value_kind:     hidden_remainder_x
      - .offset:         3180
        .size:           2
        .value_kind:     hidden_remainder_y
      - .offset:         3182
        .size:           2
        .value_kind:     hidden_remainder_z
      - .offset:         3200
        .size:           8
        .value_kind:     hidden_global_offset_x
      - .offset:         3208
        .size:           8
        .value_kind:     hidden_global_offset_y
      - .offset:         3216
        .size:           8
        .value_kind:     hidden_global_offset_z
      - .offset:         3224
        .size:           2
        .value_kind:     hidden_grid_dims
    .group_segment_fixed_size: 0
    .kernarg_segment_align: 8
    .kernarg_segment_size: 3416
    .language:       OpenCL C
    .language_version:
      - 2
      - 0
    .max_flat_workgroup_size: 512
    .name:           _ZN2at6native12_GLOBAL__N_125multi_tensor_apply_kernelINS1_18TensorListMetadataILi3EEENS1_32PointwiseOpScalar0dTensorFunctorIlLi3ELi2ELi0EEEJSt7dividesIlElEEEvT_T0_DpT1_
    .private_segment_fixed_size: 0
    .sgpr_count:     38
    .sgpr_spill_count: 0
    .symbol:         _ZN2at6native12_GLOBAL__N_125multi_tensor_apply_kernelINS1_18TensorListMetadataILi3EEENS1_32PointwiseOpScalar0dTensorFunctorIlLi3ELi2ELi0EEEJSt7dividesIlElEEEvT_T0_DpT1_.kd
    .uniform_work_group_size: 1
    .uses_dynamic_stack: false
    .vgpr_count:     56
    .vgpr_spill_count: 0
    .wavefront_size: 32
  - .args:
      - .offset:         0
        .size:           3144
        .value_kind:     by_value
      - .offset:         3144
        .size:           1
        .value_kind:     by_value
      - .offset:         3145
        .size:           1
        .value_kind:     by_value
      - .offset:         3146
        .size:           2
        .value_kind:     by_value
      - .offset:         3152
        .size:           4
        .value_kind:     hidden_block_count_x
      - .offset:         3156
        .size:           4
        .value_kind:     hidden_block_count_y
      - .offset:         3160
        .size:           4
        .value_kind:     hidden_block_count_z
      - .offset:         3164
        .size:           2
        .value_kind:     hidden_group_size_x
      - .offset:         3166
        .size:           2
        .value_kind:     hidden_group_size_y
      - .offset:         3168
        .size:           2
        .value_kind:     hidden_group_size_z
      - .offset:         3170
        .size:           2
        .value_kind:     hidden_remainder_x
      - .offset:         3172
        .size:           2
        .value_kind:     hidden_remainder_y
      - .offset:         3174
        .size:           2
        .value_kind:     hidden_remainder_z
      - .offset:         3192
        .size:           8
        .value_kind:     hidden_global_offset_x
      - .offset:         3200
        .size:           8
        .value_kind:     hidden_global_offset_y
      - .offset:         3208
        .size:           8
        .value_kind:     hidden_global_offset_z
      - .offset:         3216
        .size:           2
        .value_kind:     hidden_grid_dims
    .group_segment_fixed_size: 0
    .kernarg_segment_align: 8
    .kernarg_segment_size: 3408
    .language:       OpenCL C
    .language_version:
      - 2
      - 0
    .max_flat_workgroup_size: 512
    .name:           _ZN2at6native12_GLOBAL__N_125multi_tensor_apply_kernelINS1_18TensorListMetadataILi3EEENS1_32PointwiseOpScalar0dTensorFunctorIsLi3ELi2ELi0EEEJSt7dividesIsEsEEEvT_T0_DpT1_
    .private_segment_fixed_size: 0
    .sgpr_count:     27
    .sgpr_spill_count: 0
    .symbol:         _ZN2at6native12_GLOBAL__N_125multi_tensor_apply_kernelINS1_18TensorListMetadataILi3EEENS1_32PointwiseOpScalar0dTensorFunctorIsLi3ELi2ELi0EEEJSt7dividesIsEsEEEvT_T0_DpT1_.kd
    .uniform_work_group_size: 1
    .uses_dynamic_stack: false
    .vgpr_count:     27
    .vgpr_spill_count: 0
    .wavefront_size: 32
  - .args:
      - .offset:         0
        .size:           3144
        .value_kind:     by_value
      - .offset:         3144
        .size:           1
        .value_kind:     by_value
      - .offset:         3145
        .size:           1
        .value_kind:     by_value
      - .offset:         3152
        .size:           8
        .value_kind:     by_value
      - .offset:         3160
        .size:           4
        .value_kind:     hidden_block_count_x
      - .offset:         3164
        .size:           4
        .value_kind:     hidden_block_count_y
      - .offset:         3168
        .size:           4
        .value_kind:     hidden_block_count_z
      - .offset:         3172
        .size:           2
        .value_kind:     hidden_group_size_x
      - .offset:         3174
        .size:           2
        .value_kind:     hidden_group_size_y
      - .offset:         3176
        .size:           2
        .value_kind:     hidden_group_size_z
      - .offset:         3178
        .size:           2
        .value_kind:     hidden_remainder_x
      - .offset:         3180
        .size:           2
        .value_kind:     hidden_remainder_y
      - .offset:         3182
        .size:           2
        .value_kind:     hidden_remainder_z
      - .offset:         3200
        .size:           8
        .value_kind:     hidden_global_offset_x
      - .offset:         3208
        .size:           8
        .value_kind:     hidden_global_offset_y
      - .offset:         3216
        .size:           8
        .value_kind:     hidden_global_offset_z
      - .offset:         3224
        .size:           2
        .value_kind:     hidden_grid_dims
    .group_segment_fixed_size: 0
    .kernarg_segment_align: 8
    .kernarg_segment_size: 3416
    .language:       OpenCL C
    .language_version:
      - 2
      - 0
    .max_flat_workgroup_size: 512
    .name:           _ZN2at6native12_GLOBAL__N_125multi_tensor_apply_kernelINS1_18TensorListMetadataILi3EEENS1_32PointwiseOpScalar0dTensorFunctorIdLi3ELi2ELi0EEEJSt7dividesIdEdEEEvT_T0_DpT1_
    .private_segment_fixed_size: 0
    .sgpr_count:     27
    .sgpr_spill_count: 0
    .symbol:         _ZN2at6native12_GLOBAL__N_125multi_tensor_apply_kernelINS1_18TensorListMetadataILi3EEENS1_32PointwiseOpScalar0dTensorFunctorIdLi3ELi2ELi0EEEJSt7dividesIdEdEEEvT_T0_DpT1_.kd
    .uniform_work_group_size: 1
    .uses_dynamic_stack: false
    .vgpr_count:     38
    .vgpr_spill_count: 0
    .wavefront_size: 32
  - .args:
      - .offset:         0
        .size:           3144
        .value_kind:     by_value
      - .offset:         3144
        .size:           1
        .value_kind:     by_value
      - .offset:         3145
        .size:           1
        .value_kind:     by_value
      - .offset:         3148
        .size:           4
        .value_kind:     by_value
      - .offset:         3152
        .size:           4
        .value_kind:     hidden_block_count_x
      - .offset:         3156
        .size:           4
        .value_kind:     hidden_block_count_y
      - .offset:         3160
        .size:           4
        .value_kind:     hidden_block_count_z
      - .offset:         3164
        .size:           2
        .value_kind:     hidden_group_size_x
      - .offset:         3166
        .size:           2
        .value_kind:     hidden_group_size_y
      - .offset:         3168
        .size:           2
        .value_kind:     hidden_group_size_z
      - .offset:         3170
        .size:           2
        .value_kind:     hidden_remainder_x
      - .offset:         3172
        .size:           2
        .value_kind:     hidden_remainder_y
      - .offset:         3174
        .size:           2
        .value_kind:     hidden_remainder_z
      - .offset:         3192
        .size:           8
        .value_kind:     hidden_global_offset_x
      - .offset:         3200
        .size:           8
        .value_kind:     hidden_global_offset_y
      - .offset:         3208
        .size:           8
        .value_kind:     hidden_global_offset_z
      - .offset:         3216
        .size:           2
        .value_kind:     hidden_grid_dims
    .group_segment_fixed_size: 0
    .kernarg_segment_align: 8
    .kernarg_segment_size: 3408
    .language:       OpenCL C
    .language_version:
      - 2
      - 0
    .max_flat_workgroup_size: 512
    .name:           _ZN2at6native12_GLOBAL__N_125multi_tensor_apply_kernelINS1_18TensorListMetadataILi3EEENS1_32PointwiseOpScalar0dTensorFunctorIfLi3ELi2ELi0EEEJSt7dividesIfEfEEEvT_T0_DpT1_
    .private_segment_fixed_size: 0
    .sgpr_count:     28
    .sgpr_spill_count: 0
    .symbol:         _ZN2at6native12_GLOBAL__N_125multi_tensor_apply_kernelINS1_18TensorListMetadataILi3EEENS1_32PointwiseOpScalar0dTensorFunctorIfLi3ELi2ELi0EEEJSt7dividesIfEfEEEvT_T0_DpT1_.kd
    .uniform_work_group_size: 1
    .uses_dynamic_stack: false
    .vgpr_count:     41
    .vgpr_spill_count: 0
    .wavefront_size: 32
  - .args:
      - .offset:         0
        .size:           3144
        .value_kind:     by_value
      - .offset:         3144
        .size:           1
        .value_kind:     by_value
      - .offset:         3145
        .size:           1
        .value_kind:     by_value
      - .offset:         3152
        .size:           16
        .value_kind:     by_value
      - .offset:         3168
        .size:           4
        .value_kind:     hidden_block_count_x
      - .offset:         3172
        .size:           4
        .value_kind:     hidden_block_count_y
      - .offset:         3176
        .size:           4
        .value_kind:     hidden_block_count_z
      - .offset:         3180
        .size:           2
        .value_kind:     hidden_group_size_x
      - .offset:         3182
        .size:           2
        .value_kind:     hidden_group_size_y
      - .offset:         3184
        .size:           2
        .value_kind:     hidden_group_size_z
      - .offset:         3186
        .size:           2
        .value_kind:     hidden_remainder_x
      - .offset:         3188
        .size:           2
        .value_kind:     hidden_remainder_y
      - .offset:         3190
        .size:           2
        .value_kind:     hidden_remainder_z
      - .offset:         3208
        .size:           8
        .value_kind:     hidden_global_offset_x
      - .offset:         3216
        .size:           8
        .value_kind:     hidden_global_offset_y
      - .offset:         3224
        .size:           8
        .value_kind:     hidden_global_offset_z
      - .offset:         3232
        .size:           2
        .value_kind:     hidden_grid_dims
    .group_segment_fixed_size: 0
    .kernarg_segment_align: 16
    .kernarg_segment_size: 3424
    .language:       OpenCL C
    .language_version:
      - 2
      - 0
    .max_flat_workgroup_size: 512
    .name:           _ZN2at6native12_GLOBAL__N_125multi_tensor_apply_kernelINS1_18TensorListMetadataILi3EEENS1_32PointwiseOpScalar0dTensorFunctorIN3c107complexIdEELi3ELi2ELi0EEEJSt7dividesIS8_ES8_EEEvT_T0_DpT1_
    .private_segment_fixed_size: 0
    .sgpr_count:     33
    .sgpr_spill_count: 0
    .symbol:         _ZN2at6native12_GLOBAL__N_125multi_tensor_apply_kernelINS1_18TensorListMetadataILi3EEENS1_32PointwiseOpScalar0dTensorFunctorIN3c107complexIdEELi3ELi2ELi0EEEJSt7dividesIS8_ES8_EEEvT_T0_DpT1_.kd
    .uniform_work_group_size: 1
    .uses_dynamic_stack: false
    .vgpr_count:     66
    .vgpr_spill_count: 0
    .wavefront_size: 32
  - .args:
      - .offset:         0
        .size:           3144
        .value_kind:     by_value
      - .offset:         3144
        .size:           1
        .value_kind:     by_value
      - .offset:         3145
        .size:           1
        .value_kind:     by_value
      - .offset:         3152
        .size:           8
        .value_kind:     by_value
      - .offset:         3160
        .size:           4
        .value_kind:     hidden_block_count_x
      - .offset:         3164
        .size:           4
        .value_kind:     hidden_block_count_y
      - .offset:         3168
        .size:           4
        .value_kind:     hidden_block_count_z
      - .offset:         3172
        .size:           2
        .value_kind:     hidden_group_size_x
      - .offset:         3174
        .size:           2
        .value_kind:     hidden_group_size_y
      - .offset:         3176
        .size:           2
        .value_kind:     hidden_group_size_z
      - .offset:         3178
        .size:           2
        .value_kind:     hidden_remainder_x
      - .offset:         3180
        .size:           2
        .value_kind:     hidden_remainder_y
      - .offset:         3182
        .size:           2
        .value_kind:     hidden_remainder_z
      - .offset:         3200
        .size:           8
        .value_kind:     hidden_global_offset_x
      - .offset:         3208
        .size:           8
        .value_kind:     hidden_global_offset_y
      - .offset:         3216
        .size:           8
        .value_kind:     hidden_global_offset_z
      - .offset:         3224
        .size:           2
        .value_kind:     hidden_grid_dims
    .group_segment_fixed_size: 0
    .kernarg_segment_align: 8
    .kernarg_segment_size: 3416
    .language:       OpenCL C
    .language_version:
      - 2
      - 0
    .max_flat_workgroup_size: 512
    .name:           _ZN2at6native12_GLOBAL__N_125multi_tensor_apply_kernelINS1_18TensorListMetadataILi3EEENS1_32PointwiseOpScalar0dTensorFunctorIN3c107complexIfEELi3ELi2ELi0EEEJSt7dividesIS8_ES8_EEEvT_T0_DpT1_
    .private_segment_fixed_size: 0
    .sgpr_count:     33
    .sgpr_spill_count: 0
    .symbol:         _ZN2at6native12_GLOBAL__N_125multi_tensor_apply_kernelINS1_18TensorListMetadataILi3EEENS1_32PointwiseOpScalar0dTensorFunctorIN3c107complexIfEELi3ELi2ELi0EEEJSt7dividesIS8_ES8_EEEvT_T0_DpT1_.kd
    .uniform_work_group_size: 1
    .uses_dynamic_stack: false
    .vgpr_count:     42
    .vgpr_spill_count: 0
    .wavefront_size: 32
  - .args:
      - .offset:         0
        .size:           3144
        .value_kind:     by_value
      - .offset:         3144
        .size:           1
        .value_kind:     by_value
      - .offset:         3145
        .size:           1
        .value_kind:     by_value
      - .offset:         3148
        .size:           4
        .value_kind:     by_value
      - .offset:         3152
        .size:           4
        .value_kind:     hidden_block_count_x
      - .offset:         3156
        .size:           4
        .value_kind:     hidden_block_count_y
      - .offset:         3160
        .size:           4
        .value_kind:     hidden_block_count_z
      - .offset:         3164
        .size:           2
        .value_kind:     hidden_group_size_x
      - .offset:         3166
        .size:           2
        .value_kind:     hidden_group_size_y
      - .offset:         3168
        .size:           2
        .value_kind:     hidden_group_size_z
      - .offset:         3170
        .size:           2
        .value_kind:     hidden_remainder_x
      - .offset:         3172
        .size:           2
        .value_kind:     hidden_remainder_y
      - .offset:         3174
        .size:           2
        .value_kind:     hidden_remainder_z
      - .offset:         3192
        .size:           8
        .value_kind:     hidden_global_offset_x
      - .offset:         3200
        .size:           8
        .value_kind:     hidden_global_offset_y
      - .offset:         3208
        .size:           8
        .value_kind:     hidden_global_offset_z
      - .offset:         3216
        .size:           2
        .value_kind:     hidden_grid_dims
    .group_segment_fixed_size: 0
    .kernarg_segment_align: 8
    .kernarg_segment_size: 3408
    .language:       OpenCL C
    .language_version:
      - 2
      - 0
    .max_flat_workgroup_size: 512
    .name:           _ZN2at6native12_GLOBAL__N_125multi_tensor_apply_kernelINS1_18TensorListMetadataILi3EEENS1_32PointwiseOpScalar0dTensorFunctorIN3c104HalfELi3ELi2ELi0EEEJSt7dividesIfEfEEEvT_T0_DpT1_
    .private_segment_fixed_size: 0
    .sgpr_count:     25
    .sgpr_spill_count: 0
    .symbol:         _ZN2at6native12_GLOBAL__N_125multi_tensor_apply_kernelINS1_18TensorListMetadataILi3EEENS1_32PointwiseOpScalar0dTensorFunctorIN3c104HalfELi3ELi2ELi0EEEJSt7dividesIfEfEEEvT_T0_DpT1_.kd
    .uniform_work_group_size: 1
    .uses_dynamic_stack: false
    .vgpr_count:     42
    .vgpr_spill_count: 0
    .wavefront_size: 32
  - .args:
      - .offset:         0
        .size:           3144
        .value_kind:     by_value
      - .offset:         3144
        .size:           1
        .value_kind:     by_value
      - .offset:         3145
        .size:           1
        .value_kind:     by_value
      - .offset:         3148
        .size:           4
        .value_kind:     by_value
      - .offset:         3152
        .size:           4
        .value_kind:     hidden_block_count_x
      - .offset:         3156
        .size:           4
        .value_kind:     hidden_block_count_y
      - .offset:         3160
        .size:           4
        .value_kind:     hidden_block_count_z
      - .offset:         3164
        .size:           2
        .value_kind:     hidden_group_size_x
      - .offset:         3166
        .size:           2
        .value_kind:     hidden_group_size_y
      - .offset:         3168
        .size:           2
        .value_kind:     hidden_group_size_z
      - .offset:         3170
        .size:           2
        .value_kind:     hidden_remainder_x
      - .offset:         3172
        .size:           2
        .value_kind:     hidden_remainder_y
      - .offset:         3174
        .size:           2
        .value_kind:     hidden_remainder_z
      - .offset:         3192
        .size:           8
        .value_kind:     hidden_global_offset_x
      - .offset:         3200
        .size:           8
        .value_kind:     hidden_global_offset_y
      - .offset:         3208
        .size:           8
        .value_kind:     hidden_global_offset_z
      - .offset:         3216
        .size:           2
        .value_kind:     hidden_grid_dims
    .group_segment_fixed_size: 0
    .kernarg_segment_align: 8
    .kernarg_segment_size: 3408
    .language:       OpenCL C
    .language_version:
      - 2
      - 0
    .max_flat_workgroup_size: 512
    .name:           _ZN2at6native12_GLOBAL__N_125multi_tensor_apply_kernelINS1_18TensorListMetadataILi3EEENS1_32PointwiseOpScalar0dTensorFunctorIN3c108BFloat16ELi3ELi2ELi0EEEJSt7dividesIfEfEEEvT_T0_DpT1_
    .private_segment_fixed_size: 0
    .sgpr_count:     26
    .sgpr_spill_count: 0
    .symbol:         _ZN2at6native12_GLOBAL__N_125multi_tensor_apply_kernelINS1_18TensorListMetadataILi3EEENS1_32PointwiseOpScalar0dTensorFunctorIN3c108BFloat16ELi3ELi2ELi0EEEJSt7dividesIfEfEEEvT_T0_DpT1_.kd
    .uniform_work_group_size: 1
    .uses_dynamic_stack: false
    .vgpr_count:     41
    .vgpr_spill_count: 0
    .wavefront_size: 32
  - .args:
      - .offset:         0
        .size:           3080
        .value_kind:     by_value
      - .offset:         3080
        .size:           1
        .value_kind:     by_value
      - .offset:         3081
        .size:           1
        .value_kind:     by_value
      - .offset:         3088
        .size:           4
        .value_kind:     hidden_block_count_x
      - .offset:         3092
        .size:           4
        .value_kind:     hidden_block_count_y
      - .offset:         3096
        .size:           4
        .value_kind:     hidden_block_count_z
      - .offset:         3100
        .size:           2
        .value_kind:     hidden_group_size_x
      - .offset:         3102
        .size:           2
        .value_kind:     hidden_group_size_y
      - .offset:         3104
        .size:           2
        .value_kind:     hidden_group_size_z
      - .offset:         3106
        .size:           2
        .value_kind:     hidden_remainder_x
      - .offset:         3108
        .size:           2
        .value_kind:     hidden_remainder_y
      - .offset:         3110
        .size:           2
        .value_kind:     hidden_remainder_z
      - .offset:         3128
        .size:           8
        .value_kind:     hidden_global_offset_x
      - .offset:         3136
        .size:           8
        .value_kind:     hidden_global_offset_y
      - .offset:         3144
        .size:           8
        .value_kind:     hidden_global_offset_z
      - .offset:         3152
        .size:           2
        .value_kind:     hidden_grid_dims
    .group_segment_fixed_size: 0
    .kernarg_segment_align: 8
    .kernarg_segment_size: 3344
    .language:       OpenCL C
    .language_version:
      - 2
      - 0
    .max_flat_workgroup_size: 512
    .name:           _ZN2at6native12_GLOBAL__N_125multi_tensor_apply_kernelINS1_28TensorListScalarListMetadataIhLi4EEENS1_28PointwiseOpScalarListFunctorIhLi4ELi3ELi3EEEJSt10multipliesIhEEEEvT_T0_DpT1_
    .private_segment_fixed_size: 0
    .sgpr_count:     24
    .sgpr_spill_count: 0
    .symbol:         _ZN2at6native12_GLOBAL__N_125multi_tensor_apply_kernelINS1_28TensorListScalarListMetadataIhLi4EEENS1_28PointwiseOpScalarListFunctorIhLi4ELi3ELi3EEEJSt10multipliesIhEEEEvT_T0_DpT1_.kd
    .uniform_work_group_size: 1
    .uses_dynamic_stack: false
    .vgpr_count:     60
    .vgpr_spill_count: 0
    .wavefront_size: 32
  - .args:
      - .offset:         0
        .size:           3080
        .value_kind:     by_value
      - .offset:         3080
        .size:           1
        .value_kind:     by_value
      - .offset:         3081
        .size:           1
        .value_kind:     by_value
      - .offset:         3088
        .size:           4
        .value_kind:     hidden_block_count_x
      - .offset:         3092
        .size:           4
        .value_kind:     hidden_block_count_y
      - .offset:         3096
        .size:           4
        .value_kind:     hidden_block_count_z
      - .offset:         3100
        .size:           2
        .value_kind:     hidden_group_size_x
      - .offset:         3102
        .size:           2
        .value_kind:     hidden_group_size_y
      - .offset:         3104
        .size:           2
        .value_kind:     hidden_group_size_z
      - .offset:         3106
        .size:           2
        .value_kind:     hidden_remainder_x
      - .offset:         3108
        .size:           2
        .value_kind:     hidden_remainder_y
      - .offset:         3110
        .size:           2
        .value_kind:     hidden_remainder_z
      - .offset:         3128
        .size:           8
        .value_kind:     hidden_global_offset_x
      - .offset:         3136
        .size:           8
        .value_kind:     hidden_global_offset_y
      - .offset:         3144
        .size:           8
        .value_kind:     hidden_global_offset_z
      - .offset:         3152
        .size:           2
        .value_kind:     hidden_grid_dims
    .group_segment_fixed_size: 0
    .kernarg_segment_align: 8
    .kernarg_segment_size: 3344
    .language:       OpenCL C
    .language_version:
      - 2
      - 0
    .max_flat_workgroup_size: 512
    .name:           _ZN2at6native12_GLOBAL__N_125multi_tensor_apply_kernelINS1_28TensorListScalarListMetadataIaLi4EEENS1_28PointwiseOpScalarListFunctorIaLi4ELi3ELi3EEEJSt10multipliesIaEEEEvT_T0_DpT1_
    .private_segment_fixed_size: 0
    .sgpr_count:     24
    .sgpr_spill_count: 0
    .symbol:         _ZN2at6native12_GLOBAL__N_125multi_tensor_apply_kernelINS1_28TensorListScalarListMetadataIaLi4EEENS1_28PointwiseOpScalarListFunctorIaLi4ELi3ELi3EEEJSt10multipliesIaEEEEvT_T0_DpT1_.kd
    .uniform_work_group_size: 1
    .uses_dynamic_stack: false
    .vgpr_count:     60
    .vgpr_spill_count: 0
    .wavefront_size: 32
  - .args:
      - .offset:         0
        .size:           3184
        .value_kind:     by_value
      - .offset:         3184
        .size:           1
        .value_kind:     by_value
      - .offset:         3185
        .size:           1
        .value_kind:     by_value
      - .offset:         3192
        .size:           4
        .value_kind:     hidden_block_count_x
      - .offset:         3196
        .size:           4
        .value_kind:     hidden_block_count_y
      - .offset:         3200
        .size:           4
        .value_kind:     hidden_block_count_z
      - .offset:         3204
        .size:           2
        .value_kind:     hidden_group_size_x
      - .offset:         3206
        .size:           2
        .value_kind:     hidden_group_size_y
      - .offset:         3208
        .size:           2
        .value_kind:     hidden_group_size_z
      - .offset:         3210
        .size:           2
        .value_kind:     hidden_remainder_x
      - .offset:         3212
        .size:           2
        .value_kind:     hidden_remainder_y
      - .offset:         3214
        .size:           2
        .value_kind:     hidden_remainder_z
      - .offset:         3232
        .size:           8
        .value_kind:     hidden_global_offset_x
      - .offset:         3240
        .size:           8
        .value_kind:     hidden_global_offset_y
      - .offset:         3248
        .size:           8
        .value_kind:     hidden_global_offset_z
      - .offset:         3256
        .size:           2
        .value_kind:     hidden_grid_dims
    .group_segment_fixed_size: 0
    .kernarg_segment_align: 8
    .kernarg_segment_size: 3448
    .language:       OpenCL C
    .language_version:
      - 2
      - 0
    .max_flat_workgroup_size: 512
    .name:           _ZN2at6native12_GLOBAL__N_125multi_tensor_apply_kernelINS1_28TensorListScalarListMetadataIiLi4EEENS1_28PointwiseOpScalarListFunctorIiLi4ELi3ELi3EEEJSt10multipliesIiEEEEvT_T0_DpT1_
    .private_segment_fixed_size: 0
    .sgpr_count:     29
    .sgpr_spill_count: 0
    .symbol:         _ZN2at6native12_GLOBAL__N_125multi_tensor_apply_kernelINS1_28TensorListScalarListMetadataIiLi4EEENS1_28PointwiseOpScalarListFunctorIiLi4ELi3ELi3EEEJSt10multipliesIiEEEEvT_T0_DpT1_.kd
    .uniform_work_group_size: 1
    .uses_dynamic_stack: false
    .vgpr_count:     60
    .vgpr_spill_count: 0
    .wavefront_size: 32
  - .args:
      - .offset:         0
        .size:           3328
        .value_kind:     by_value
      - .offset:         3328
        .size:           1
        .value_kind:     by_value
      - .offset:         3329
        .size:           1
        .value_kind:     by_value
      - .offset:         3336
        .size:           4
        .value_kind:     hidden_block_count_x
      - .offset:         3340
        .size:           4
        .value_kind:     hidden_block_count_y
      - .offset:         3344
        .size:           4
        .value_kind:     hidden_block_count_z
      - .offset:         3348
        .size:           2
        .value_kind:     hidden_group_size_x
      - .offset:         3350
        .size:           2
        .value_kind:     hidden_group_size_y
      - .offset:         3352
        .size:           2
        .value_kind:     hidden_group_size_z
      - .offset:         3354
        .size:           2
        .value_kind:     hidden_remainder_x
      - .offset:         3356
        .size:           2
        .value_kind:     hidden_remainder_y
      - .offset:         3358
        .size:           2
        .value_kind:     hidden_remainder_z
      - .offset:         3376
        .size:           8
        .value_kind:     hidden_global_offset_x
      - .offset:         3384
        .size:           8
        .value_kind:     hidden_global_offset_y
      - .offset:         3392
        .size:           8
        .value_kind:     hidden_global_offset_z
      - .offset:         3400
        .size:           2
        .value_kind:     hidden_grid_dims
    .group_segment_fixed_size: 0
    .kernarg_segment_align: 8
    .kernarg_segment_size: 3592
    .language:       OpenCL C
    .language_version:
      - 2
      - 0
    .max_flat_workgroup_size: 512
    .name:           _ZN2at6native12_GLOBAL__N_125multi_tensor_apply_kernelINS1_28TensorListScalarListMetadataIlLi4EEENS1_28PointwiseOpScalarListFunctorIlLi4ELi3ELi3EEEJSt10multipliesIlEEEEvT_T0_DpT1_
    .private_segment_fixed_size: 0
    .sgpr_count:     34
    .sgpr_spill_count: 0
    .symbol:         _ZN2at6native12_GLOBAL__N_125multi_tensor_apply_kernelINS1_28TensorListScalarListMetadataIlLi4EEENS1_28PointwiseOpScalarListFunctorIlLi4ELi3ELi3EEEJSt10multipliesIlEEEEvT_T0_DpT1_.kd
    .uniform_work_group_size: 1
    .uses_dynamic_stack: false
    .vgpr_count:     72
    .vgpr_spill_count: 0
    .wavefront_size: 32
  - .args:
      - .offset:         0
        .size:           3112
        .value_kind:     by_value
      - .offset:         3112
        .size:           1
        .value_kind:     by_value
      - .offset:         3113
        .size:           1
        .value_kind:     by_value
      - .offset:         3120
        .size:           4
        .value_kind:     hidden_block_count_x
      - .offset:         3124
        .size:           4
        .value_kind:     hidden_block_count_y
      - .offset:         3128
        .size:           4
        .value_kind:     hidden_block_count_z
      - .offset:         3132
        .size:           2
        .value_kind:     hidden_group_size_x
      - .offset:         3134
        .size:           2
        .value_kind:     hidden_group_size_y
      - .offset:         3136
        .size:           2
        .value_kind:     hidden_group_size_z
      - .offset:         3138
        .size:           2
        .value_kind:     hidden_remainder_x
      - .offset:         3140
        .size:           2
        .value_kind:     hidden_remainder_y
      - .offset:         3142
        .size:           2
        .value_kind:     hidden_remainder_z
      - .offset:         3160
        .size:           8
        .value_kind:     hidden_global_offset_x
      - .offset:         3168
        .size:           8
        .value_kind:     hidden_global_offset_y
      - .offset:         3176
        .size:           8
        .value_kind:     hidden_global_offset_z
      - .offset:         3184
        .size:           2
        .value_kind:     hidden_grid_dims
    .group_segment_fixed_size: 0
    .kernarg_segment_align: 8
    .kernarg_segment_size: 3376
    .language:       OpenCL C
    .language_version:
      - 2
      - 0
    .max_flat_workgroup_size: 512
    .name:           _ZN2at6native12_GLOBAL__N_125multi_tensor_apply_kernelINS1_28TensorListScalarListMetadataIsLi4EEENS1_28PointwiseOpScalarListFunctorIsLi4ELi3ELi3EEEJSt10multipliesIsEEEEvT_T0_DpT1_
    .private_segment_fixed_size: 0
    .sgpr_count:     26
    .sgpr_spill_count: 0
    .symbol:         _ZN2at6native12_GLOBAL__N_125multi_tensor_apply_kernelINS1_28TensorListScalarListMetadataIsLi4EEENS1_28PointwiseOpScalarListFunctorIsLi4ELi3ELi3EEEJSt10multipliesIsEEEEvT_T0_DpT1_.kd
    .uniform_work_group_size: 1
    .uses_dynamic_stack: false
    .vgpr_count:     60
    .vgpr_spill_count: 0
    .wavefront_size: 32
  - .args:
      - .offset:         0
        .size:           3328
        .value_kind:     by_value
      - .offset:         3328
        .size:           1
        .value_kind:     by_value
      - .offset:         3329
        .size:           1
        .value_kind:     by_value
      - .offset:         3336
        .size:           4
        .value_kind:     hidden_block_count_x
      - .offset:         3340
        .size:           4
        .value_kind:     hidden_block_count_y
      - .offset:         3344
        .size:           4
        .value_kind:     hidden_block_count_z
      - .offset:         3348
        .size:           2
        .value_kind:     hidden_group_size_x
      - .offset:         3350
        .size:           2
        .value_kind:     hidden_group_size_y
      - .offset:         3352
        .size:           2
        .value_kind:     hidden_group_size_z
      - .offset:         3354
        .size:           2
        .value_kind:     hidden_remainder_x
      - .offset:         3356
        .size:           2
        .value_kind:     hidden_remainder_y
      - .offset:         3358
        .size:           2
        .value_kind:     hidden_remainder_z
      - .offset:         3376
        .size:           8
        .value_kind:     hidden_global_offset_x
      - .offset:         3384
        .size:           8
        .value_kind:     hidden_global_offset_y
      - .offset:         3392
        .size:           8
        .value_kind:     hidden_global_offset_z
      - .offset:         3400
        .size:           2
        .value_kind:     hidden_grid_dims
    .group_segment_fixed_size: 0
    .kernarg_segment_align: 8
    .kernarg_segment_size: 3592
    .language:       OpenCL C
    .language_version:
      - 2
      - 0
    .max_flat_workgroup_size: 512
    .name:           _ZN2at6native12_GLOBAL__N_125multi_tensor_apply_kernelINS1_28TensorListScalarListMetadataIdLi4EEENS1_28PointwiseOpScalarListFunctorIdLi4ELi3ELi3EEEJSt10multipliesIdEEEEvT_T0_DpT1_
    .private_segment_fixed_size: 0
    .sgpr_count:     38
    .sgpr_spill_count: 0
    .symbol:         _ZN2at6native12_GLOBAL__N_125multi_tensor_apply_kernelINS1_28TensorListScalarListMetadataIdLi4EEENS1_28PointwiseOpScalarListFunctorIdLi4ELi3ELi3EEEJSt10multipliesIdEEEEvT_T0_DpT1_.kd
    .uniform_work_group_size: 1
    .uses_dynamic_stack: false
    .vgpr_count:     72
    .vgpr_spill_count: 0
    .wavefront_size: 32
  - .args:
      - .offset:         0
        .size:           3184
        .value_kind:     by_value
      - .offset:         3184
        .size:           1
        .value_kind:     by_value
      - .offset:         3185
        .size:           1
        .value_kind:     by_value
      - .offset:         3192
        .size:           4
        .value_kind:     hidden_block_count_x
      - .offset:         3196
        .size:           4
        .value_kind:     hidden_block_count_y
      - .offset:         3200
        .size:           4
        .value_kind:     hidden_block_count_z
      - .offset:         3204
        .size:           2
        .value_kind:     hidden_group_size_x
      - .offset:         3206
        .size:           2
        .value_kind:     hidden_group_size_y
      - .offset:         3208
        .size:           2
        .value_kind:     hidden_group_size_z
      - .offset:         3210
        .size:           2
        .value_kind:     hidden_remainder_x
      - .offset:         3212
        .size:           2
        .value_kind:     hidden_remainder_y
      - .offset:         3214
        .size:           2
        .value_kind:     hidden_remainder_z
      - .offset:         3232
        .size:           8
        .value_kind:     hidden_global_offset_x
      - .offset:         3240
        .size:           8
        .value_kind:     hidden_global_offset_y
      - .offset:         3248
        .size:           8
        .value_kind:     hidden_global_offset_z
      - .offset:         3256
        .size:           2
        .value_kind:     hidden_grid_dims
    .group_segment_fixed_size: 0
    .kernarg_segment_align: 8
    .kernarg_segment_size: 3448
    .language:       OpenCL C
    .language_version:
      - 2
      - 0
    .max_flat_workgroup_size: 512
    .name:           _ZN2at6native12_GLOBAL__N_125multi_tensor_apply_kernelINS1_28TensorListScalarListMetadataIfLi4EEENS1_28PointwiseOpScalarListFunctorIfLi4ELi3ELi3EEEJSt10multipliesIfEEEEvT_T0_DpT1_
    .private_segment_fixed_size: 0
    .sgpr_count:     29
    .sgpr_spill_count: 0
    .symbol:         _ZN2at6native12_GLOBAL__N_125multi_tensor_apply_kernelINS1_28TensorListScalarListMetadataIfLi4EEENS1_28PointwiseOpScalarListFunctorIfLi4ELi3ELi3EEEJSt10multipliesIfEEEEvT_T0_DpT1_.kd
    .uniform_work_group_size: 1
    .uses_dynamic_stack: false
    .vgpr_count:     60
    .vgpr_spill_count: 0
    .wavefront_size: 32
  - .args:
      - .offset:         0
        .size:           3616
        .value_kind:     by_value
      - .offset:         3616
        .size:           1
        .value_kind:     by_value
      - .offset:         3617
        .size:           1
        .value_kind:     by_value
      - .offset:         3624
        .size:           4
        .value_kind:     hidden_block_count_x
      - .offset:         3628
        .size:           4
        .value_kind:     hidden_block_count_y
      - .offset:         3632
        .size:           4
        .value_kind:     hidden_block_count_z
      - .offset:         3636
        .size:           2
        .value_kind:     hidden_group_size_x
      - .offset:         3638
        .size:           2
        .value_kind:     hidden_group_size_y
      - .offset:         3640
        .size:           2
        .value_kind:     hidden_group_size_z
      - .offset:         3642
        .size:           2
        .value_kind:     hidden_remainder_x
      - .offset:         3644
        .size:           2
        .value_kind:     hidden_remainder_y
      - .offset:         3646
        .size:           2
        .value_kind:     hidden_remainder_z
      - .offset:         3664
        .size:           8
        .value_kind:     hidden_global_offset_x
      - .offset:         3672
        .size:           8
        .value_kind:     hidden_global_offset_y
      - .offset:         3680
        .size:           8
        .value_kind:     hidden_global_offset_z
      - .offset:         3688
        .size:           2
        .value_kind:     hidden_grid_dims
    .group_segment_fixed_size: 0
    .kernarg_segment_align: 16
    .kernarg_segment_size: 3880
    .language:       OpenCL C
    .language_version:
      - 2
      - 0
    .max_flat_workgroup_size: 512
    .name:           _ZN2at6native12_GLOBAL__N_125multi_tensor_apply_kernelINS1_28TensorListScalarListMetadataIN3c107complexIdEELi4EEENS1_28PointwiseOpScalarListFunctorIS6_Li4ELi3ELi3EEEJSt10multipliesIS6_EEEEvT_T0_DpT1_
    .private_segment_fixed_size: 0
    .sgpr_count:     34
    .sgpr_spill_count: 0
    .symbol:         _ZN2at6native12_GLOBAL__N_125multi_tensor_apply_kernelINS1_28TensorListScalarListMetadataIN3c107complexIdEELi4EEENS1_28PointwiseOpScalarListFunctorIS6_Li4ELi3ELi3EEEJSt10multipliesIS6_EEEEvT_T0_DpT1_.kd
    .uniform_work_group_size: 1
    .uses_dynamic_stack: false
    .vgpr_count:     62
    .vgpr_spill_count: 0
    .wavefront_size: 32
  - .args:
      - .offset:         0
        .size:           3328
        .value_kind:     by_value
      - .offset:         3328
        .size:           1
        .value_kind:     by_value
      - .offset:         3329
        .size:           1
        .value_kind:     by_value
      - .offset:         3336
        .size:           4
        .value_kind:     hidden_block_count_x
      - .offset:         3340
        .size:           4
        .value_kind:     hidden_block_count_y
      - .offset:         3344
        .size:           4
        .value_kind:     hidden_block_count_z
      - .offset:         3348
        .size:           2
        .value_kind:     hidden_group_size_x
      - .offset:         3350
        .size:           2
        .value_kind:     hidden_group_size_y
      - .offset:         3352
        .size:           2
        .value_kind:     hidden_group_size_z
      - .offset:         3354
        .size:           2
        .value_kind:     hidden_remainder_x
      - .offset:         3356
        .size:           2
        .value_kind:     hidden_remainder_y
      - .offset:         3358
        .size:           2
        .value_kind:     hidden_remainder_z
      - .offset:         3376
        .size:           8
        .value_kind:     hidden_global_offset_x
      - .offset:         3384
        .size:           8
        .value_kind:     hidden_global_offset_y
      - .offset:         3392
        .size:           8
        .value_kind:     hidden_global_offset_z
      - .offset:         3400
        .size:           2
        .value_kind:     hidden_grid_dims
    .group_segment_fixed_size: 0
    .kernarg_segment_align: 8
    .kernarg_segment_size: 3592
    .language:       OpenCL C
    .language_version:
      - 2
      - 0
    .max_flat_workgroup_size: 512
    .name:           _ZN2at6native12_GLOBAL__N_125multi_tensor_apply_kernelINS1_28TensorListScalarListMetadataIN3c107complexIfEELi4EEENS1_28PointwiseOpScalarListFunctorIS6_Li4ELi3ELi3EEEJSt10multipliesIS6_EEEEvT_T0_DpT1_
    .private_segment_fixed_size: 0
    .sgpr_count:     38
    .sgpr_spill_count: 0
    .symbol:         _ZN2at6native12_GLOBAL__N_125multi_tensor_apply_kernelINS1_28TensorListScalarListMetadataIN3c107complexIfEELi4EEENS1_28PointwiseOpScalarListFunctorIS6_Li4ELi3ELi3EEEJSt10multipliesIS6_EEEEvT_T0_DpT1_.kd
    .uniform_work_group_size: 1
    .uses_dynamic_stack: false
    .vgpr_count:     76
    .vgpr_spill_count: 0
    .wavefront_size: 32
  - .args:
      - .offset:         0
        .size:           3184
        .value_kind:     by_value
      - .offset:         3184
        .size:           1
        .value_kind:     by_value
      - .offset:         3185
        .size:           1
        .value_kind:     by_value
      - .offset:         3192
        .size:           4
        .value_kind:     hidden_block_count_x
      - .offset:         3196
        .size:           4
        .value_kind:     hidden_block_count_y
      - .offset:         3200
        .size:           4
        .value_kind:     hidden_block_count_z
      - .offset:         3204
        .size:           2
        .value_kind:     hidden_group_size_x
      - .offset:         3206
        .size:           2
        .value_kind:     hidden_group_size_y
      - .offset:         3208
        .size:           2
        .value_kind:     hidden_group_size_z
      - .offset:         3210
        .size:           2
        .value_kind:     hidden_remainder_x
      - .offset:         3212
        .size:           2
        .value_kind:     hidden_remainder_y
      - .offset:         3214
        .size:           2
        .value_kind:     hidden_remainder_z
      - .offset:         3232
        .size:           8
        .value_kind:     hidden_global_offset_x
      - .offset:         3240
        .size:           8
        .value_kind:     hidden_global_offset_y
      - .offset:         3248
        .size:           8
        .value_kind:     hidden_global_offset_z
      - .offset:         3256
        .size:           2
        .value_kind:     hidden_grid_dims
    .group_segment_fixed_size: 0
    .kernarg_segment_align: 8
    .kernarg_segment_size: 3448
    .language:       OpenCL C
    .language_version:
      - 2
      - 0
    .max_flat_workgroup_size: 512
    .name:           _ZN2at6native12_GLOBAL__N_125multi_tensor_apply_kernelINS1_28TensorListScalarListMetadataIfLi4EEENS1_28PointwiseOpScalarListFunctorIN3c104HalfELi4ELi3ELi3EEEJSt10multipliesIfEEEEvT_T0_DpT1_
    .private_segment_fixed_size: 0
    .sgpr_count:     29
    .sgpr_spill_count: 0
    .symbol:         _ZN2at6native12_GLOBAL__N_125multi_tensor_apply_kernelINS1_28TensorListScalarListMetadataIfLi4EEENS1_28PointwiseOpScalarListFunctorIN3c104HalfELi4ELi3ELi3EEEJSt10multipliesIfEEEEvT_T0_DpT1_.kd
    .uniform_work_group_size: 1
    .uses_dynamic_stack: false
    .vgpr_count:     59
    .vgpr_spill_count: 0
    .wavefront_size: 32
  - .args:
      - .offset:         0
        .size:           3184
        .value_kind:     by_value
      - .offset:         3184
        .size:           1
        .value_kind:     by_value
      - .offset:         3185
        .size:           1
        .value_kind:     by_value
      - .offset:         3192
        .size:           4
        .value_kind:     hidden_block_count_x
      - .offset:         3196
        .size:           4
        .value_kind:     hidden_block_count_y
      - .offset:         3200
        .size:           4
        .value_kind:     hidden_block_count_z
      - .offset:         3204
        .size:           2
        .value_kind:     hidden_group_size_x
      - .offset:         3206
        .size:           2
        .value_kind:     hidden_group_size_y
      - .offset:         3208
        .size:           2
        .value_kind:     hidden_group_size_z
      - .offset:         3210
        .size:           2
        .value_kind:     hidden_remainder_x
      - .offset:         3212
        .size:           2
        .value_kind:     hidden_remainder_y
      - .offset:         3214
        .size:           2
        .value_kind:     hidden_remainder_z
      - .offset:         3232
        .size:           8
        .value_kind:     hidden_global_offset_x
      - .offset:         3240
        .size:           8
        .value_kind:     hidden_global_offset_y
      - .offset:         3248
        .size:           8
        .value_kind:     hidden_global_offset_z
      - .offset:         3256
        .size:           2
        .value_kind:     hidden_grid_dims
    .group_segment_fixed_size: 0
    .kernarg_segment_align: 8
    .kernarg_segment_size: 3448
    .language:       OpenCL C
    .language_version:
      - 2
      - 0
    .max_flat_workgroup_size: 512
    .name:           _ZN2at6native12_GLOBAL__N_125multi_tensor_apply_kernelINS1_28TensorListScalarListMetadataIfLi4EEENS1_28PointwiseOpScalarListFunctorIN3c108BFloat16ELi4ELi3ELi3EEEJSt10multipliesIfEEEEvT_T0_DpT1_
    .private_segment_fixed_size: 0
    .sgpr_count:     29
    .sgpr_spill_count: 0
    .symbol:         _ZN2at6native12_GLOBAL__N_125multi_tensor_apply_kernelINS1_28TensorListScalarListMetadataIfLi4EEENS1_28PointwiseOpScalarListFunctorIN3c108BFloat16ELi4ELi3ELi3EEEJSt10multipliesIfEEEEvT_T0_DpT1_.kd
    .uniform_work_group_size: 1
    .uses_dynamic_stack: false
    .vgpr_count:     59
    .vgpr_spill_count: 0
    .wavefront_size: 32
  - .args:
      - .offset:         0
        .size:           3184
        .value_kind:     by_value
      - .offset:         3184
        .size:           1
        .value_kind:     by_value
      - .offset:         3185
        .size:           1
        .value_kind:     by_value
      - .offset:         3192
        .size:           4
        .value_kind:     hidden_block_count_x
      - .offset:         3196
        .size:           4
        .value_kind:     hidden_block_count_y
      - .offset:         3200
        .size:           4
        .value_kind:     hidden_block_count_z
      - .offset:         3204
        .size:           2
        .value_kind:     hidden_group_size_x
      - .offset:         3206
        .size:           2
        .value_kind:     hidden_group_size_y
      - .offset:         3208
        .size:           2
        .value_kind:     hidden_group_size_z
      - .offset:         3210
        .size:           2
        .value_kind:     hidden_remainder_x
      - .offset:         3212
        .size:           2
        .value_kind:     hidden_remainder_y
      - .offset:         3214
        .size:           2
        .value_kind:     hidden_remainder_z
      - .offset:         3232
        .size:           8
        .value_kind:     hidden_global_offset_x
      - .offset:         3240
        .size:           8
        .value_kind:     hidden_global_offset_y
      - .offset:         3248
        .size:           8
        .value_kind:     hidden_global_offset_z
      - .offset:         3256
        .size:           2
        .value_kind:     hidden_grid_dims
    .group_segment_fixed_size: 0
    .kernarg_segment_align: 8
    .kernarg_segment_size: 3448
    .language:       OpenCL C
    .language_version:
      - 2
      - 0
    .max_flat_workgroup_size: 512
    .name:           _ZN2at6native12_GLOBAL__N_125multi_tensor_apply_kernelINS1_28TensorListScalarListMetadataIhLi3EEENS1_28PointwiseOpScalarListFunctorIhLi3ELi3ELi0EEEJSt10multipliesIhEEEEvT_T0_DpT1_
    .private_segment_fixed_size: 0
    .sgpr_count:     22
    .sgpr_spill_count: 0
    .symbol:         _ZN2at6native12_GLOBAL__N_125multi_tensor_apply_kernelINS1_28TensorListScalarListMetadataIhLi3EEENS1_28PointwiseOpScalarListFunctorIhLi3ELi3ELi0EEEJSt10multipliesIhEEEEvT_T0_DpT1_.kd
    .uniform_work_group_size: 1
    .uses_dynamic_stack: false
    .vgpr_count:     52
    .vgpr_spill_count: 0
    .wavefront_size: 32
  - .args:
      - .offset:         0
        .size:           3184
        .value_kind:     by_value
      - .offset:         3184
        .size:           1
        .value_kind:     by_value
      - .offset:         3185
        .size:           1
        .value_kind:     by_value
      - .offset:         3192
        .size:           4
        .value_kind:     hidden_block_count_x
      - .offset:         3196
        .size:           4
        .value_kind:     hidden_block_count_y
      - .offset:         3200
        .size:           4
        .value_kind:     hidden_block_count_z
      - .offset:         3204
        .size:           2
        .value_kind:     hidden_group_size_x
      - .offset:         3206
        .size:           2
        .value_kind:     hidden_group_size_y
      - .offset:         3208
        .size:           2
        .value_kind:     hidden_group_size_z
      - .offset:         3210
        .size:           2
        .value_kind:     hidden_remainder_x
      - .offset:         3212
        .size:           2
        .value_kind:     hidden_remainder_y
      - .offset:         3214
        .size:           2
        .value_kind:     hidden_remainder_z
      - .offset:         3232
        .size:           8
        .value_kind:     hidden_global_offset_x
      - .offset:         3240
        .size:           8
        .value_kind:     hidden_global_offset_y
      - .offset:         3248
        .size:           8
        .value_kind:     hidden_global_offset_z
      - .offset:         3256
        .size:           2
        .value_kind:     hidden_grid_dims
    .group_segment_fixed_size: 0
    .kernarg_segment_align: 8
    .kernarg_segment_size: 3448
    .language:       OpenCL C
    .language_version:
      - 2
      - 0
    .max_flat_workgroup_size: 512
    .name:           _ZN2at6native12_GLOBAL__N_125multi_tensor_apply_kernelINS1_28TensorListScalarListMetadataIaLi3EEENS1_28PointwiseOpScalarListFunctorIaLi3ELi3ELi0EEEJSt10multipliesIaEEEEvT_T0_DpT1_
    .private_segment_fixed_size: 0
    .sgpr_count:     22
    .sgpr_spill_count: 0
    .symbol:         _ZN2at6native12_GLOBAL__N_125multi_tensor_apply_kernelINS1_28TensorListScalarListMetadataIaLi3EEENS1_28PointwiseOpScalarListFunctorIaLi3ELi3ELi0EEEJSt10multipliesIaEEEEvT_T0_DpT1_.kd
    .uniform_work_group_size: 1
    .uses_dynamic_stack: false
    .vgpr_count:     52
    .vgpr_spill_count: 0
    .wavefront_size: 32
  - .args:
      - .offset:         0
        .size:           3328
        .value_kind:     by_value
      - .offset:         3328
        .size:           1
        .value_kind:     by_value
      - .offset:         3329
        .size:           1
        .value_kind:     by_value
      - .offset:         3336
        .size:           4
        .value_kind:     hidden_block_count_x
      - .offset:         3340
        .size:           4
        .value_kind:     hidden_block_count_y
      - .offset:         3344
        .size:           4
        .value_kind:     hidden_block_count_z
      - .offset:         3348
        .size:           2
        .value_kind:     hidden_group_size_x
      - .offset:         3350
        .size:           2
        .value_kind:     hidden_group_size_y
      - .offset:         3352
        .size:           2
        .value_kind:     hidden_group_size_z
      - .offset:         3354
        .size:           2
        .value_kind:     hidden_remainder_x
      - .offset:         3356
        .size:           2
        .value_kind:     hidden_remainder_y
      - .offset:         3358
        .size:           2
        .value_kind:     hidden_remainder_z
      - .offset:         3376
        .size:           8
        .value_kind:     hidden_global_offset_x
      - .offset:         3384
        .size:           8
        .value_kind:     hidden_global_offset_y
      - .offset:         3392
        .size:           8
        .value_kind:     hidden_global_offset_z
      - .offset:         3400
        .size:           2
        .value_kind:     hidden_grid_dims
    .group_segment_fixed_size: 0
    .kernarg_segment_align: 8
    .kernarg_segment_size: 3592
    .language:       OpenCL C
    .language_version:
      - 2
      - 0
    .max_flat_workgroup_size: 512
    .name:           _ZN2at6native12_GLOBAL__N_125multi_tensor_apply_kernelINS1_28TensorListScalarListMetadataIiLi3EEENS1_28PointwiseOpScalarListFunctorIiLi3ELi3ELi0EEEJSt10multipliesIiEEEEvT_T0_DpT1_
    .private_segment_fixed_size: 0
    .sgpr_count:     26
    .sgpr_spill_count: 0
    .symbol:         _ZN2at6native12_GLOBAL__N_125multi_tensor_apply_kernelINS1_28TensorListScalarListMetadataIiLi3EEENS1_28PointwiseOpScalarListFunctorIiLi3ELi3ELi0EEEJSt10multipliesIiEEEEvT_T0_DpT1_.kd
    .uniform_work_group_size: 1
    .uses_dynamic_stack: false
    .vgpr_count:     52
    .vgpr_spill_count: 0
    .wavefront_size: 32
  - .args:
      - .offset:         0
        .size:           3520
        .value_kind:     by_value
      - .offset:         3520
        .size:           1
        .value_kind:     by_value
      - .offset:         3521
        .size:           1
        .value_kind:     by_value
      - .offset:         3528
        .size:           4
        .value_kind:     hidden_block_count_x
      - .offset:         3532
        .size:           4
        .value_kind:     hidden_block_count_y
      - .offset:         3536
        .size:           4
        .value_kind:     hidden_block_count_z
      - .offset:         3540
        .size:           2
        .value_kind:     hidden_group_size_x
      - .offset:         3542
        .size:           2
        .value_kind:     hidden_group_size_y
      - .offset:         3544
        .size:           2
        .value_kind:     hidden_group_size_z
      - .offset:         3546
        .size:           2
        .value_kind:     hidden_remainder_x
      - .offset:         3548
        .size:           2
        .value_kind:     hidden_remainder_y
      - .offset:         3550
        .size:           2
        .value_kind:     hidden_remainder_z
      - .offset:         3568
        .size:           8
        .value_kind:     hidden_global_offset_x
      - .offset:         3576
        .size:           8
        .value_kind:     hidden_global_offset_y
      - .offset:         3584
        .size:           8
        .value_kind:     hidden_global_offset_z
      - .offset:         3592
        .size:           2
        .value_kind:     hidden_grid_dims
    .group_segment_fixed_size: 0
    .kernarg_segment_align: 8
    .kernarg_segment_size: 3784
    .language:       OpenCL C
    .language_version:
      - 2
      - 0
    .max_flat_workgroup_size: 512
    .name:           _ZN2at6native12_GLOBAL__N_125multi_tensor_apply_kernelINS1_28TensorListScalarListMetadataIlLi3EEENS1_28PointwiseOpScalarListFunctorIlLi3ELi3ELi0EEEJSt10multipliesIlEEEEvT_T0_DpT1_
    .private_segment_fixed_size: 0
    .sgpr_count:     30
    .sgpr_spill_count: 0
    .symbol:         _ZN2at6native12_GLOBAL__N_125multi_tensor_apply_kernelINS1_28TensorListScalarListMetadataIlLi3EEENS1_28PointwiseOpScalarListFunctorIlLi3ELi3ELi0EEEJSt10multipliesIlEEEEvT_T0_DpT1_.kd
    .uniform_work_group_size: 1
    .uses_dynamic_stack: false
    .vgpr_count:     64
    .vgpr_spill_count: 0
    .wavefront_size: 32
  - .args:
      - .offset:         0
        .size:           3232
        .value_kind:     by_value
      - .offset:         3232
        .size:           1
        .value_kind:     by_value
      - .offset:         3233
        .size:           1
        .value_kind:     by_value
      - .offset:         3240
        .size:           4
        .value_kind:     hidden_block_count_x
      - .offset:         3244
        .size:           4
        .value_kind:     hidden_block_count_y
      - .offset:         3248
        .size:           4
        .value_kind:     hidden_block_count_z
      - .offset:         3252
        .size:           2
        .value_kind:     hidden_group_size_x
      - .offset:         3254
        .size:           2
        .value_kind:     hidden_group_size_y
      - .offset:         3256
        .size:           2
        .value_kind:     hidden_group_size_z
      - .offset:         3258
        .size:           2
        .value_kind:     hidden_remainder_x
      - .offset:         3260
        .size:           2
        .value_kind:     hidden_remainder_y
      - .offset:         3262
        .size:           2
        .value_kind:     hidden_remainder_z
      - .offset:         3280
        .size:           8
        .value_kind:     hidden_global_offset_x
      - .offset:         3288
        .size:           8
        .value_kind:     hidden_global_offset_y
      - .offset:         3296
        .size:           8
        .value_kind:     hidden_global_offset_z
      - .offset:         3304
        .size:           2
        .value_kind:     hidden_grid_dims
    .group_segment_fixed_size: 0
    .kernarg_segment_align: 8
    .kernarg_segment_size: 3496
    .language:       OpenCL C
    .language_version:
      - 2
      - 0
    .max_flat_workgroup_size: 512
    .name:           _ZN2at6native12_GLOBAL__N_125multi_tensor_apply_kernelINS1_28TensorListScalarListMetadataIsLi3EEENS1_28PointwiseOpScalarListFunctorIsLi3ELi3ELi0EEEJSt10multipliesIsEEEEvT_T0_DpT1_
    .private_segment_fixed_size: 0
    .sgpr_count:     24
    .sgpr_spill_count: 0
    .symbol:         _ZN2at6native12_GLOBAL__N_125multi_tensor_apply_kernelINS1_28TensorListScalarListMetadataIsLi3EEENS1_28PointwiseOpScalarListFunctorIsLi3ELi3ELi0EEEJSt10multipliesIsEEEEvT_T0_DpT1_.kd
    .uniform_work_group_size: 1
    .uses_dynamic_stack: false
    .vgpr_count:     52
    .vgpr_spill_count: 0
    .wavefront_size: 32
  - .args:
      - .offset:         0
        .size:           3520
        .value_kind:     by_value
      - .offset:         3520
        .size:           1
        .value_kind:     by_value
      - .offset:         3521
        .size:           1
        .value_kind:     by_value
      - .offset:         3528
        .size:           4
        .value_kind:     hidden_block_count_x
      - .offset:         3532
        .size:           4
        .value_kind:     hidden_block_count_y
      - .offset:         3536
        .size:           4
        .value_kind:     hidden_block_count_z
      - .offset:         3540
        .size:           2
        .value_kind:     hidden_group_size_x
      - .offset:         3542
        .size:           2
        .value_kind:     hidden_group_size_y
      - .offset:         3544
        .size:           2
        .value_kind:     hidden_group_size_z
      - .offset:         3546
        .size:           2
        .value_kind:     hidden_remainder_x
      - .offset:         3548
        .size:           2
        .value_kind:     hidden_remainder_y
      - .offset:         3550
        .size:           2
        .value_kind:     hidden_remainder_z
      - .offset:         3568
        .size:           8
        .value_kind:     hidden_global_offset_x
      - .offset:         3576
        .size:           8
        .value_kind:     hidden_global_offset_y
      - .offset:         3584
        .size:           8
        .value_kind:     hidden_global_offset_z
      - .offset:         3592
        .size:           2
        .value_kind:     hidden_grid_dims
    .group_segment_fixed_size: 0
    .kernarg_segment_align: 8
    .kernarg_segment_size: 3784
    .language:       OpenCL C
    .language_version:
      - 2
      - 0
    .max_flat_workgroup_size: 512
    .name:           _ZN2at6native12_GLOBAL__N_125multi_tensor_apply_kernelINS1_28TensorListScalarListMetadataIdLi3EEENS1_28PointwiseOpScalarListFunctorIdLi3ELi3ELi0EEEJSt10multipliesIdEEEEvT_T0_DpT1_
    .private_segment_fixed_size: 0
    .sgpr_count:     32
    .sgpr_spill_count: 0
    .symbol:         _ZN2at6native12_GLOBAL__N_125multi_tensor_apply_kernelINS1_28TensorListScalarListMetadataIdLi3EEENS1_28PointwiseOpScalarListFunctorIdLi3ELi3ELi0EEEJSt10multipliesIdEEEEvT_T0_DpT1_.kd
    .uniform_work_group_size: 1
    .uses_dynamic_stack: false
    .vgpr_count:     64
    .vgpr_spill_count: 0
    .wavefront_size: 32
  - .args:
      - .offset:         0
        .size:           3328
        .value_kind:     by_value
      - .offset:         3328
        .size:           1
        .value_kind:     by_value
      - .offset:         3329
        .size:           1
        .value_kind:     by_value
      - .offset:         3336
        .size:           4
        .value_kind:     hidden_block_count_x
      - .offset:         3340
        .size:           4
        .value_kind:     hidden_block_count_y
      - .offset:         3344
        .size:           4
        .value_kind:     hidden_block_count_z
      - .offset:         3348
        .size:           2
        .value_kind:     hidden_group_size_x
      - .offset:         3350
        .size:           2
        .value_kind:     hidden_group_size_y
      - .offset:         3352
        .size:           2
        .value_kind:     hidden_group_size_z
      - .offset:         3354
        .size:           2
        .value_kind:     hidden_remainder_x
      - .offset:         3356
        .size:           2
        .value_kind:     hidden_remainder_y
      - .offset:         3358
        .size:           2
        .value_kind:     hidden_remainder_z
      - .offset:         3376
        .size:           8
        .value_kind:     hidden_global_offset_x
      - .offset:         3384
        .size:           8
        .value_kind:     hidden_global_offset_y
      - .offset:         3392
        .size:           8
        .value_kind:     hidden_global_offset_z
      - .offset:         3400
        .size:           2
        .value_kind:     hidden_grid_dims
    .group_segment_fixed_size: 0
    .kernarg_segment_align: 8
    .kernarg_segment_size: 3592
    .language:       OpenCL C
    .language_version:
      - 2
      - 0
    .max_flat_workgroup_size: 512
    .name:           _ZN2at6native12_GLOBAL__N_125multi_tensor_apply_kernelINS1_28TensorListScalarListMetadataIfLi3EEENS1_28PointwiseOpScalarListFunctorIfLi3ELi3ELi0EEEJSt10multipliesIfEEEEvT_T0_DpT1_
    .private_segment_fixed_size: 0
    .sgpr_count:     26
    .sgpr_spill_count: 0
    .symbol:         _ZN2at6native12_GLOBAL__N_125multi_tensor_apply_kernelINS1_28TensorListScalarListMetadataIfLi3EEENS1_28PointwiseOpScalarListFunctorIfLi3ELi3ELi0EEEJSt10multipliesIfEEEEvT_T0_DpT1_.kd
    .uniform_work_group_size: 1
    .uses_dynamic_stack: false
    .vgpr_count:     52
    .vgpr_spill_count: 0
    .wavefront_size: 32
  - .args:
      - .offset:         0
        .size:           3904
        .value_kind:     by_value
      - .offset:         3904
        .size:           1
        .value_kind:     by_value
      - .offset:         3905
        .size:           1
        .value_kind:     by_value
      - .offset:         3912
        .size:           4
        .value_kind:     hidden_block_count_x
      - .offset:         3916
        .size:           4
        .value_kind:     hidden_block_count_y
      - .offset:         3920
        .size:           4
        .value_kind:     hidden_block_count_z
      - .offset:         3924
        .size:           2
        .value_kind:     hidden_group_size_x
      - .offset:         3926
        .size:           2
        .value_kind:     hidden_group_size_y
      - .offset:         3928
        .size:           2
        .value_kind:     hidden_group_size_z
      - .offset:         3930
        .size:           2
        .value_kind:     hidden_remainder_x
      - .offset:         3932
        .size:           2
        .value_kind:     hidden_remainder_y
      - .offset:         3934
        .size:           2
        .value_kind:     hidden_remainder_z
      - .offset:         3952
        .size:           8
        .value_kind:     hidden_global_offset_x
      - .offset:         3960
        .size:           8
        .value_kind:     hidden_global_offset_y
      - .offset:         3968
        .size:           8
        .value_kind:     hidden_global_offset_z
      - .offset:         3976
        .size:           2
        .value_kind:     hidden_grid_dims
    .group_segment_fixed_size: 0
    .kernarg_segment_align: 16
    .kernarg_segment_size: 4168
    .language:       OpenCL C
    .language_version:
      - 2
      - 0
    .max_flat_workgroup_size: 512
    .name:           _ZN2at6native12_GLOBAL__N_125multi_tensor_apply_kernelINS1_28TensorListScalarListMetadataIN3c107complexIdEELi3EEENS1_28PointwiseOpScalarListFunctorIS6_Li3ELi3ELi0EEEJSt10multipliesIS6_EEEEvT_T0_DpT1_
    .private_segment_fixed_size: 0
    .sgpr_count:     32
    .sgpr_spill_count: 0
    .symbol:         _ZN2at6native12_GLOBAL__N_125multi_tensor_apply_kernelINS1_28TensorListScalarListMetadataIN3c107complexIdEELi3EEENS1_28PointwiseOpScalarListFunctorIS6_Li3ELi3ELi0EEEJSt10multipliesIS6_EEEEvT_T0_DpT1_.kd
    .uniform_work_group_size: 1
    .uses_dynamic_stack: false
    .vgpr_count:     62
    .vgpr_spill_count: 0
    .wavefront_size: 32
  - .args:
      - .offset:         0
        .size:           3520
        .value_kind:     by_value
      - .offset:         3520
        .size:           1
        .value_kind:     by_value
      - .offset:         3521
        .size:           1
        .value_kind:     by_value
      - .offset:         3528
        .size:           4
        .value_kind:     hidden_block_count_x
      - .offset:         3532
        .size:           4
        .value_kind:     hidden_block_count_y
      - .offset:         3536
        .size:           4
        .value_kind:     hidden_block_count_z
      - .offset:         3540
        .size:           2
        .value_kind:     hidden_group_size_x
      - .offset:         3542
        .size:           2
        .value_kind:     hidden_group_size_y
      - .offset:         3544
        .size:           2
        .value_kind:     hidden_group_size_z
      - .offset:         3546
        .size:           2
        .value_kind:     hidden_remainder_x
      - .offset:         3548
        .size:           2
        .value_kind:     hidden_remainder_y
      - .offset:         3550
        .size:           2
        .value_kind:     hidden_remainder_z
      - .offset:         3568
        .size:           8
        .value_kind:     hidden_global_offset_x
      - .offset:         3576
        .size:           8
        .value_kind:     hidden_global_offset_y
      - .offset:         3584
        .size:           8
        .value_kind:     hidden_global_offset_z
      - .offset:         3592
        .size:           2
        .value_kind:     hidden_grid_dims
    .group_segment_fixed_size: 0
    .kernarg_segment_align: 8
    .kernarg_segment_size: 3784
    .language:       OpenCL C
    .language_version:
      - 2
      - 0
    .max_flat_workgroup_size: 512
    .name:           _ZN2at6native12_GLOBAL__N_125multi_tensor_apply_kernelINS1_28TensorListScalarListMetadataIN3c107complexIfEELi3EEENS1_28PointwiseOpScalarListFunctorIS6_Li3ELi3ELi0EEEJSt10multipliesIS6_EEEEvT_T0_DpT1_
    .private_segment_fixed_size: 0
    .sgpr_count:     33
    .sgpr_spill_count: 0
    .symbol:         _ZN2at6native12_GLOBAL__N_125multi_tensor_apply_kernelINS1_28TensorListScalarListMetadataIN3c107complexIfEELi3EEENS1_28PointwiseOpScalarListFunctorIS6_Li3ELi3ELi0EEEJSt10multipliesIS6_EEEEvT_T0_DpT1_.kd
    .uniform_work_group_size: 1
    .uses_dynamic_stack: false
    .vgpr_count:     68
    .vgpr_spill_count: 0
    .wavefront_size: 32
  - .args:
      - .offset:         0
        .size:           3328
        .value_kind:     by_value
      - .offset:         3328
        .size:           1
        .value_kind:     by_value
      - .offset:         3329
        .size:           1
        .value_kind:     by_value
      - .offset:         3336
        .size:           4
        .value_kind:     hidden_block_count_x
      - .offset:         3340
        .size:           4
        .value_kind:     hidden_block_count_y
      - .offset:         3344
        .size:           4
        .value_kind:     hidden_block_count_z
      - .offset:         3348
        .size:           2
        .value_kind:     hidden_group_size_x
      - .offset:         3350
        .size:           2
        .value_kind:     hidden_group_size_y
      - .offset:         3352
        .size:           2
        .value_kind:     hidden_group_size_z
      - .offset:         3354
        .size:           2
        .value_kind:     hidden_remainder_x
      - .offset:         3356
        .size:           2
        .value_kind:     hidden_remainder_y
      - .offset:         3358
        .size:           2
        .value_kind:     hidden_remainder_z
      - .offset:         3376
        .size:           8
        .value_kind:     hidden_global_offset_x
      - .offset:         3384
        .size:           8
        .value_kind:     hidden_global_offset_y
      - .offset:         3392
        .size:           8
        .value_kind:     hidden_global_offset_z
      - .offset:         3400
        .size:           2
        .value_kind:     hidden_grid_dims
    .group_segment_fixed_size: 0
    .kernarg_segment_align: 8
    .kernarg_segment_size: 3592
    .language:       OpenCL C
    .language_version:
      - 2
      - 0
    .max_flat_workgroup_size: 512
    .name:           _ZN2at6native12_GLOBAL__N_125multi_tensor_apply_kernelINS1_28TensorListScalarListMetadataIfLi3EEENS1_28PointwiseOpScalarListFunctorIN3c104HalfELi3ELi3ELi0EEEJSt10multipliesIfEEEEvT_T0_DpT1_
    .private_segment_fixed_size: 0
    .sgpr_count:     26
    .sgpr_spill_count: 0
    .symbol:         _ZN2at6native12_GLOBAL__N_125multi_tensor_apply_kernelINS1_28TensorListScalarListMetadataIfLi3EEENS1_28PointwiseOpScalarListFunctorIN3c104HalfELi3ELi3ELi0EEEJSt10multipliesIfEEEEvT_T0_DpT1_.kd
    .uniform_work_group_size: 1
    .uses_dynamic_stack: false
    .vgpr_count:     51
    .vgpr_spill_count: 0
    .wavefront_size: 32
  - .args:
      - .offset:         0
        .size:           3328
        .value_kind:     by_value
      - .offset:         3328
        .size:           1
        .value_kind:     by_value
      - .offset:         3329
        .size:           1
        .value_kind:     by_value
      - .offset:         3336
        .size:           4
        .value_kind:     hidden_block_count_x
      - .offset:         3340
        .size:           4
        .value_kind:     hidden_block_count_y
      - .offset:         3344
        .size:           4
        .value_kind:     hidden_block_count_z
      - .offset:         3348
        .size:           2
        .value_kind:     hidden_group_size_x
      - .offset:         3350
        .size:           2
        .value_kind:     hidden_group_size_y
      - .offset:         3352
        .size:           2
        .value_kind:     hidden_group_size_z
      - .offset:         3354
        .size:           2
        .value_kind:     hidden_remainder_x
      - .offset:         3356
        .size:           2
        .value_kind:     hidden_remainder_y
      - .offset:         3358
        .size:           2
        .value_kind:     hidden_remainder_z
      - .offset:         3376
        .size:           8
        .value_kind:     hidden_global_offset_x
      - .offset:         3384
        .size:           8
        .value_kind:     hidden_global_offset_y
      - .offset:         3392
        .size:           8
        .value_kind:     hidden_global_offset_z
      - .offset:         3400
        .size:           2
        .value_kind:     hidden_grid_dims
    .group_segment_fixed_size: 0
    .kernarg_segment_align: 8
    .kernarg_segment_size: 3592
    .language:       OpenCL C
    .language_version:
      - 2
      - 0
    .max_flat_workgroup_size: 512
    .name:           _ZN2at6native12_GLOBAL__N_125multi_tensor_apply_kernelINS1_28TensorListScalarListMetadataIfLi3EEENS1_28PointwiseOpScalarListFunctorIN3c108BFloat16ELi3ELi3ELi0EEEJSt10multipliesIfEEEEvT_T0_DpT1_
    .private_segment_fixed_size: 0
    .sgpr_count:     26
    .sgpr_spill_count: 0
    .symbol:         _ZN2at6native12_GLOBAL__N_125multi_tensor_apply_kernelINS1_28TensorListScalarListMetadataIfLi3EEENS1_28PointwiseOpScalarListFunctorIN3c108BFloat16ELi3ELi3ELi0EEEJSt10multipliesIfEEEEvT_T0_DpT1_.kd
    .uniform_work_group_size: 1
    .uses_dynamic_stack: false
    .vgpr_count:     51
    .vgpr_spill_count: 0
    .wavefront_size: 32
  - .args:
      - .offset:         0
        .size:           3080
        .value_kind:     by_value
      - .offset:         3080
        .size:           1
        .value_kind:     by_value
      - .offset:         3081
        .size:           1
        .value_kind:     by_value
      - .offset:         3088
        .size:           4
        .value_kind:     hidden_block_count_x
      - .offset:         3092
        .size:           4
        .value_kind:     hidden_block_count_y
      - .offset:         3096
        .size:           4
        .value_kind:     hidden_block_count_z
      - .offset:         3100
        .size:           2
        .value_kind:     hidden_group_size_x
      - .offset:         3102
        .size:           2
        .value_kind:     hidden_group_size_y
      - .offset:         3104
        .size:           2
        .value_kind:     hidden_group_size_z
      - .offset:         3106
        .size:           2
        .value_kind:     hidden_remainder_x
      - .offset:         3108
        .size:           2
        .value_kind:     hidden_remainder_y
      - .offset:         3110
        .size:           2
        .value_kind:     hidden_remainder_z
      - .offset:         3128
        .size:           8
        .value_kind:     hidden_global_offset_x
      - .offset:         3136
        .size:           8
        .value_kind:     hidden_global_offset_y
      - .offset:         3144
        .size:           8
        .value_kind:     hidden_global_offset_z
      - .offset:         3152
        .size:           2
        .value_kind:     hidden_grid_dims
    .group_segment_fixed_size: 0
    .kernarg_segment_align: 8
    .kernarg_segment_size: 3344
    .language:       OpenCL C
    .language_version:
      - 2
      - 0
    .max_flat_workgroup_size: 512
    .name:           _ZN2at6native12_GLOBAL__N_125multi_tensor_apply_kernelINS1_28TensorListScalarListMetadataIhLi4EEENS1_28PointwiseOpScalarListFunctorIhLi4ELi3ELi3EEEJSt7dividesIhEEEEvT_T0_DpT1_
    .private_segment_fixed_size: 0
    .sgpr_count:     26
    .sgpr_spill_count: 0
    .symbol:         _ZN2at6native12_GLOBAL__N_125multi_tensor_apply_kernelINS1_28TensorListScalarListMetadataIhLi4EEENS1_28PointwiseOpScalarListFunctorIhLi4ELi3ELi3EEEJSt7dividesIhEEEEvT_T0_DpT1_.kd
    .uniform_work_group_size: 1
    .uses_dynamic_stack: false
    .vgpr_count:     60
    .vgpr_spill_count: 0
    .wavefront_size: 32
  - .args:
      - .offset:         0
        .size:           3080
        .value_kind:     by_value
      - .offset:         3080
        .size:           1
        .value_kind:     by_value
      - .offset:         3081
        .size:           1
        .value_kind:     by_value
      - .offset:         3088
        .size:           4
        .value_kind:     hidden_block_count_x
      - .offset:         3092
        .size:           4
        .value_kind:     hidden_block_count_y
      - .offset:         3096
        .size:           4
        .value_kind:     hidden_block_count_z
      - .offset:         3100
        .size:           2
        .value_kind:     hidden_group_size_x
      - .offset:         3102
        .size:           2
        .value_kind:     hidden_group_size_y
      - .offset:         3104
        .size:           2
        .value_kind:     hidden_group_size_z
      - .offset:         3106
        .size:           2
        .value_kind:     hidden_remainder_x
      - .offset:         3108
        .size:           2
        .value_kind:     hidden_remainder_y
      - .offset:         3110
        .size:           2
        .value_kind:     hidden_remainder_z
      - .offset:         3128
        .size:           8
        .value_kind:     hidden_global_offset_x
      - .offset:         3136
        .size:           8
        .value_kind:     hidden_global_offset_y
      - .offset:         3144
        .size:           8
        .value_kind:     hidden_global_offset_z
      - .offset:         3152
        .size:           2
        .value_kind:     hidden_grid_dims
    .group_segment_fixed_size: 0
    .kernarg_segment_align: 8
    .kernarg_segment_size: 3344
    .language:       OpenCL C
    .language_version:
      - 2
      - 0
    .max_flat_workgroup_size: 512
    .name:           _ZN2at6native12_GLOBAL__N_125multi_tensor_apply_kernelINS1_28TensorListScalarListMetadataIaLi4EEENS1_28PointwiseOpScalarListFunctorIaLi4ELi3ELi3EEEJSt7dividesIaEEEEvT_T0_DpT1_
    .private_segment_fixed_size: 0
    .sgpr_count:     26
    .sgpr_spill_count: 0
    .symbol:         _ZN2at6native12_GLOBAL__N_125multi_tensor_apply_kernelINS1_28TensorListScalarListMetadataIaLi4EEENS1_28PointwiseOpScalarListFunctorIaLi4ELi3ELi3EEEJSt7dividesIaEEEEvT_T0_DpT1_.kd
    .uniform_work_group_size: 1
    .uses_dynamic_stack: false
    .vgpr_count:     62
    .vgpr_spill_count: 0
    .wavefront_size: 32
  - .args:
      - .offset:         0
        .size:           3184
        .value_kind:     by_value
      - .offset:         3184
        .size:           1
        .value_kind:     by_value
      - .offset:         3185
        .size:           1
        .value_kind:     by_value
      - .offset:         3192
        .size:           4
        .value_kind:     hidden_block_count_x
      - .offset:         3196
        .size:           4
        .value_kind:     hidden_block_count_y
      - .offset:         3200
        .size:           4
        .value_kind:     hidden_block_count_z
      - .offset:         3204
        .size:           2
        .value_kind:     hidden_group_size_x
      - .offset:         3206
        .size:           2
        .value_kind:     hidden_group_size_y
      - .offset:         3208
        .size:           2
        .value_kind:     hidden_group_size_z
      - .offset:         3210
        .size:           2
        .value_kind:     hidden_remainder_x
      - .offset:         3212
        .size:           2
        .value_kind:     hidden_remainder_y
      - .offset:         3214
        .size:           2
        .value_kind:     hidden_remainder_z
      - .offset:         3232
        .size:           8
        .value_kind:     hidden_global_offset_x
      - .offset:         3240
        .size:           8
        .value_kind:     hidden_global_offset_y
      - .offset:         3248
        .size:           8
        .value_kind:     hidden_global_offset_z
      - .offset:         3256
        .size:           2
        .value_kind:     hidden_grid_dims
    .group_segment_fixed_size: 0
    .kernarg_segment_align: 8
    .kernarg_segment_size: 3448
    .language:       OpenCL C
    .language_version:
      - 2
      - 0
    .max_flat_workgroup_size: 512
    .name:           _ZN2at6native12_GLOBAL__N_125multi_tensor_apply_kernelINS1_28TensorListScalarListMetadataIiLi4EEENS1_28PointwiseOpScalarListFunctorIiLi4ELi3ELi3EEEJSt7dividesIiEEEEvT_T0_DpT1_
    .private_segment_fixed_size: 0
    .sgpr_count:     29
    .sgpr_spill_count: 0
    .symbol:         _ZN2at6native12_GLOBAL__N_125multi_tensor_apply_kernelINS1_28TensorListScalarListMetadataIiLi4EEENS1_28PointwiseOpScalarListFunctorIiLi4ELi3ELi3EEEJSt7dividesIiEEEEvT_T0_DpT1_.kd
    .uniform_work_group_size: 1
    .uses_dynamic_stack: false
    .vgpr_count:     60
    .vgpr_spill_count: 0
    .wavefront_size: 32
  - .args:
      - .offset:         0
        .size:           3328
        .value_kind:     by_value
      - .offset:         3328
        .size:           1
        .value_kind:     by_value
      - .offset:         3329
        .size:           1
        .value_kind:     by_value
      - .offset:         3336
        .size:           4
        .value_kind:     hidden_block_count_x
      - .offset:         3340
        .size:           4
        .value_kind:     hidden_block_count_y
      - .offset:         3344
        .size:           4
        .value_kind:     hidden_block_count_z
      - .offset:         3348
        .size:           2
        .value_kind:     hidden_group_size_x
      - .offset:         3350
        .size:           2
        .value_kind:     hidden_group_size_y
      - .offset:         3352
        .size:           2
        .value_kind:     hidden_group_size_z
      - .offset:         3354
        .size:           2
        .value_kind:     hidden_remainder_x
      - .offset:         3356
        .size:           2
        .value_kind:     hidden_remainder_y
      - .offset:         3358
        .size:           2
        .value_kind:     hidden_remainder_z
      - .offset:         3376
        .size:           8
        .value_kind:     hidden_global_offset_x
      - .offset:         3384
        .size:           8
        .value_kind:     hidden_global_offset_y
      - .offset:         3392
        .size:           8
        .value_kind:     hidden_global_offset_z
      - .offset:         3400
        .size:           2
        .value_kind:     hidden_grid_dims
    .group_segment_fixed_size: 0
    .kernarg_segment_align: 8
    .kernarg_segment_size: 3592
    .language:       OpenCL C
    .language_version:
      - 2
      - 0
    .max_flat_workgroup_size: 512
    .name:           _ZN2at6native12_GLOBAL__N_125multi_tensor_apply_kernelINS1_28TensorListScalarListMetadataIlLi4EEENS1_28PointwiseOpScalarListFunctorIlLi4ELi3ELi3EEEJSt7dividesIlEEEEvT_T0_DpT1_
    .private_segment_fixed_size: 0
    .sgpr_count:     38
    .sgpr_spill_count: 0
    .symbol:         _ZN2at6native12_GLOBAL__N_125multi_tensor_apply_kernelINS1_28TensorListScalarListMetadataIlLi4EEENS1_28PointwiseOpScalarListFunctorIlLi4ELi3ELi3EEEJSt7dividesIlEEEEvT_T0_DpT1_.kd
    .uniform_work_group_size: 1
    .uses_dynamic_stack: false
    .vgpr_count:     88
    .vgpr_spill_count: 0
    .wavefront_size: 32
  - .args:
      - .offset:         0
        .size:           3112
        .value_kind:     by_value
      - .offset:         3112
        .size:           1
        .value_kind:     by_value
      - .offset:         3113
        .size:           1
        .value_kind:     by_value
      - .offset:         3120
        .size:           4
        .value_kind:     hidden_block_count_x
      - .offset:         3124
        .size:           4
        .value_kind:     hidden_block_count_y
      - .offset:         3128
        .size:           4
        .value_kind:     hidden_block_count_z
      - .offset:         3132
        .size:           2
        .value_kind:     hidden_group_size_x
      - .offset:         3134
        .size:           2
        .value_kind:     hidden_group_size_y
      - .offset:         3136
        .size:           2
        .value_kind:     hidden_group_size_z
      - .offset:         3138
        .size:           2
        .value_kind:     hidden_remainder_x
      - .offset:         3140
        .size:           2
        .value_kind:     hidden_remainder_y
      - .offset:         3142
        .size:           2
        .value_kind:     hidden_remainder_z
      - .offset:         3160
        .size:           8
        .value_kind:     hidden_global_offset_x
      - .offset:         3168
        .size:           8
        .value_kind:     hidden_global_offset_y
      - .offset:         3176
        .size:           8
        .value_kind:     hidden_global_offset_z
      - .offset:         3184
        .size:           2
        .value_kind:     hidden_grid_dims
    .group_segment_fixed_size: 0
    .kernarg_segment_align: 8
    .kernarg_segment_size: 3376
    .language:       OpenCL C
    .language_version:
      - 2
      - 0
    .max_flat_workgroup_size: 512
    .name:           _ZN2at6native12_GLOBAL__N_125multi_tensor_apply_kernelINS1_28TensorListScalarListMetadataIsLi4EEENS1_28PointwiseOpScalarListFunctorIsLi4ELi3ELi3EEEJSt7dividesIsEEEEvT_T0_DpT1_
    .private_segment_fixed_size: 0
    .sgpr_count:     28
    .sgpr_spill_count: 0
    .symbol:         _ZN2at6native12_GLOBAL__N_125multi_tensor_apply_kernelINS1_28TensorListScalarListMetadataIsLi4EEENS1_28PointwiseOpScalarListFunctorIsLi4ELi3ELi3EEEJSt7dividesIsEEEEvT_T0_DpT1_.kd
    .uniform_work_group_size: 1
    .uses_dynamic_stack: false
    .vgpr_count:     62
    .vgpr_spill_count: 0
    .wavefront_size: 32
  - .args:
      - .offset:         0
        .size:           3328
        .value_kind:     by_value
      - .offset:         3328
        .size:           1
        .value_kind:     by_value
      - .offset:         3329
        .size:           1
        .value_kind:     by_value
      - .offset:         3336
        .size:           4
        .value_kind:     hidden_block_count_x
      - .offset:         3340
        .size:           4
        .value_kind:     hidden_block_count_y
      - .offset:         3344
        .size:           4
        .value_kind:     hidden_block_count_z
      - .offset:         3348
        .size:           2
        .value_kind:     hidden_group_size_x
      - .offset:         3350
        .size:           2
        .value_kind:     hidden_group_size_y
      - .offset:         3352
        .size:           2
        .value_kind:     hidden_group_size_z
      - .offset:         3354
        .size:           2
        .value_kind:     hidden_remainder_x
      - .offset:         3356
        .size:           2
        .value_kind:     hidden_remainder_y
      - .offset:         3358
        .size:           2
        .value_kind:     hidden_remainder_z
      - .offset:         3376
        .size:           8
        .value_kind:     hidden_global_offset_x
      - .offset:         3384
        .size:           8
        .value_kind:     hidden_global_offset_y
      - .offset:         3392
        .size:           8
        .value_kind:     hidden_global_offset_z
      - .offset:         3400
        .size:           2
        .value_kind:     hidden_grid_dims
    .group_segment_fixed_size: 0
    .kernarg_segment_align: 8
    .kernarg_segment_size: 3592
    .language:       OpenCL C
    .language_version:
      - 2
      - 0
    .max_flat_workgroup_size: 512
    .name:           _ZN2at6native12_GLOBAL__N_125multi_tensor_apply_kernelINS1_28TensorListScalarListMetadataIdLi4EEENS1_28PointwiseOpScalarListFunctorIdLi4ELi3ELi3EEEJSt7dividesIdEEEEvT_T0_DpT1_
    .private_segment_fixed_size: 0
    .sgpr_count:     38
    .sgpr_spill_count: 0
    .symbol:         _ZN2at6native12_GLOBAL__N_125multi_tensor_apply_kernelINS1_28TensorListScalarListMetadataIdLi4EEENS1_28PointwiseOpScalarListFunctorIdLi4ELi3ELi3EEEJSt7dividesIdEEEEvT_T0_DpT1_.kd
    .uniform_work_group_size: 1
    .uses_dynamic_stack: false
    .vgpr_count:     76
    .vgpr_spill_count: 0
    .wavefront_size: 32
  - .args:
      - .offset:         0
        .size:           3184
        .value_kind:     by_value
      - .offset:         3184
        .size:           1
        .value_kind:     by_value
      - .offset:         3185
        .size:           1
        .value_kind:     by_value
      - .offset:         3192
        .size:           4
        .value_kind:     hidden_block_count_x
      - .offset:         3196
        .size:           4
        .value_kind:     hidden_block_count_y
      - .offset:         3200
        .size:           4
        .value_kind:     hidden_block_count_z
      - .offset:         3204
        .size:           2
        .value_kind:     hidden_group_size_x
      - .offset:         3206
        .size:           2
        .value_kind:     hidden_group_size_y
      - .offset:         3208
        .size:           2
        .value_kind:     hidden_group_size_z
      - .offset:         3210
        .size:           2
        .value_kind:     hidden_remainder_x
      - .offset:         3212
        .size:           2
        .value_kind:     hidden_remainder_y
      - .offset:         3214
        .size:           2
        .value_kind:     hidden_remainder_z
      - .offset:         3232
        .size:           8
        .value_kind:     hidden_global_offset_x
      - .offset:         3240
        .size:           8
        .value_kind:     hidden_global_offset_y
      - .offset:         3248
        .size:           8
        .value_kind:     hidden_global_offset_z
      - .offset:         3256
        .size:           2
        .value_kind:     hidden_grid_dims
    .group_segment_fixed_size: 0
    .kernarg_segment_align: 8
    .kernarg_segment_size: 3448
    .language:       OpenCL C
    .language_version:
      - 2
      - 0
    .max_flat_workgroup_size: 512
    .name:           _ZN2at6native12_GLOBAL__N_125multi_tensor_apply_kernelINS1_28TensorListScalarListMetadataIfLi4EEENS1_28PointwiseOpScalarListFunctorIfLi4ELi3ELi3EEEJSt7dividesIfEEEEvT_T0_DpT1_
    .private_segment_fixed_size: 0
    .sgpr_count:     29
    .sgpr_spill_count: 0
    .symbol:         _ZN2at6native12_GLOBAL__N_125multi_tensor_apply_kernelINS1_28TensorListScalarListMetadataIfLi4EEENS1_28PointwiseOpScalarListFunctorIfLi4ELi3ELi3EEEJSt7dividesIfEEEEvT_T0_DpT1_.kd
    .uniform_work_group_size: 1
    .uses_dynamic_stack: false
    .vgpr_count:     61
    .vgpr_spill_count: 0
    .wavefront_size: 32
  - .args:
      - .offset:         0
        .size:           3616
        .value_kind:     by_value
      - .offset:         3616
        .size:           1
        .value_kind:     by_value
      - .offset:         3617
        .size:           1
        .value_kind:     by_value
      - .offset:         3624
        .size:           4
        .value_kind:     hidden_block_count_x
      - .offset:         3628
        .size:           4
        .value_kind:     hidden_block_count_y
      - .offset:         3632
        .size:           4
        .value_kind:     hidden_block_count_z
      - .offset:         3636
        .size:           2
        .value_kind:     hidden_group_size_x
      - .offset:         3638
        .size:           2
        .value_kind:     hidden_group_size_y
      - .offset:         3640
        .size:           2
        .value_kind:     hidden_group_size_z
      - .offset:         3642
        .size:           2
        .value_kind:     hidden_remainder_x
      - .offset:         3644
        .size:           2
        .value_kind:     hidden_remainder_y
      - .offset:         3646
        .size:           2
        .value_kind:     hidden_remainder_z
      - .offset:         3664
        .size:           8
        .value_kind:     hidden_global_offset_x
      - .offset:         3672
        .size:           8
        .value_kind:     hidden_global_offset_y
      - .offset:         3680
        .size:           8
        .value_kind:     hidden_global_offset_z
      - .offset:         3688
        .size:           2
        .value_kind:     hidden_grid_dims
    .group_segment_fixed_size: 0
    .kernarg_segment_align: 16
    .kernarg_segment_size: 3880
    .language:       OpenCL C
    .language_version:
      - 2
      - 0
    .max_flat_workgroup_size: 512
    .name:           _ZN2at6native12_GLOBAL__N_125multi_tensor_apply_kernelINS1_28TensorListScalarListMetadataIN3c107complexIdEELi4EEENS1_28PointwiseOpScalarListFunctorIS6_Li4ELi3ELi3EEEJSt7dividesIS6_EEEEvT_T0_DpT1_
    .private_segment_fixed_size: 0
    .sgpr_count:     38
    .sgpr_spill_count: 0
    .symbol:         _ZN2at6native12_GLOBAL__N_125multi_tensor_apply_kernelINS1_28TensorListScalarListMetadataIN3c107complexIdEELi4EEENS1_28PointwiseOpScalarListFunctorIS6_Li4ELi3ELi3EEEJSt7dividesIS6_EEEEvT_T0_DpT1_.kd
    .uniform_work_group_size: 1
    .uses_dynamic_stack: false
    .vgpr_count:     82
    .vgpr_spill_count: 0
    .wavefront_size: 32
  - .args:
      - .offset:         0
        .size:           3328
        .value_kind:     by_value
      - .offset:         3328
        .size:           1
        .value_kind:     by_value
      - .offset:         3329
        .size:           1
        .value_kind:     by_value
      - .offset:         3336
        .size:           4
        .value_kind:     hidden_block_count_x
      - .offset:         3340
        .size:           4
        .value_kind:     hidden_block_count_y
      - .offset:         3344
        .size:           4
        .value_kind:     hidden_block_count_z
      - .offset:         3348
        .size:           2
        .value_kind:     hidden_group_size_x
      - .offset:         3350
        .size:           2
        .value_kind:     hidden_group_size_y
      - .offset:         3352
        .size:           2
        .value_kind:     hidden_group_size_z
      - .offset:         3354
        .size:           2
        .value_kind:     hidden_remainder_x
      - .offset:         3356
        .size:           2
        .value_kind:     hidden_remainder_y
      - .offset:         3358
        .size:           2
        .value_kind:     hidden_remainder_z
      - .offset:         3376
        .size:           8
        .value_kind:     hidden_global_offset_x
      - .offset:         3384
        .size:           8
        .value_kind:     hidden_global_offset_y
      - .offset:         3392
        .size:           8
        .value_kind:     hidden_global_offset_z
      - .offset:         3400
        .size:           2
        .value_kind:     hidden_grid_dims
    .group_segment_fixed_size: 0
    .kernarg_segment_align: 8
    .kernarg_segment_size: 3592
    .language:       OpenCL C
    .language_version:
      - 2
      - 0
    .max_flat_workgroup_size: 512
    .name:           _ZN2at6native12_GLOBAL__N_125multi_tensor_apply_kernelINS1_28TensorListScalarListMetadataIN3c107complexIfEELi4EEENS1_28PointwiseOpScalarListFunctorIS6_Li4ELi3ELi3EEEJSt7dividesIS6_EEEEvT_T0_DpT1_
    .private_segment_fixed_size: 0
    .sgpr_count:     38
    .sgpr_spill_count: 0
    .symbol:         _ZN2at6native12_GLOBAL__N_125multi_tensor_apply_kernelINS1_28TensorListScalarListMetadataIN3c107complexIfEELi4EEENS1_28PointwiseOpScalarListFunctorIS6_Li4ELi3ELi3EEEJSt7dividesIS6_EEEEvT_T0_DpT1_.kd
    .uniform_work_group_size: 1
    .uses_dynamic_stack: false
    .vgpr_count:     50
    .vgpr_spill_count: 0
    .wavefront_size: 32
  - .args:
      - .offset:         0
        .size:           3184
        .value_kind:     by_value
      - .offset:         3184
        .size:           1
        .value_kind:     by_value
      - .offset:         3185
        .size:           1
        .value_kind:     by_value
      - .offset:         3192
        .size:           4
        .value_kind:     hidden_block_count_x
      - .offset:         3196
        .size:           4
        .value_kind:     hidden_block_count_y
      - .offset:         3200
        .size:           4
        .value_kind:     hidden_block_count_z
      - .offset:         3204
        .size:           2
        .value_kind:     hidden_group_size_x
      - .offset:         3206
        .size:           2
        .value_kind:     hidden_group_size_y
      - .offset:         3208
        .size:           2
        .value_kind:     hidden_group_size_z
      - .offset:         3210
        .size:           2
        .value_kind:     hidden_remainder_x
      - .offset:         3212
        .size:           2
        .value_kind:     hidden_remainder_y
      - .offset:         3214
        .size:           2
        .value_kind:     hidden_remainder_z
      - .offset:         3232
        .size:           8
        .value_kind:     hidden_global_offset_x
      - .offset:         3240
        .size:           8
        .value_kind:     hidden_global_offset_y
      - .offset:         3248
        .size:           8
        .value_kind:     hidden_global_offset_z
      - .offset:         3256
        .size:           2
        .value_kind:     hidden_grid_dims
    .group_segment_fixed_size: 0
    .kernarg_segment_align: 8
    .kernarg_segment_size: 3448
    .language:       OpenCL C
    .language_version:
      - 2
      - 0
    .max_flat_workgroup_size: 512
    .name:           _ZN2at6native12_GLOBAL__N_125multi_tensor_apply_kernelINS1_28TensorListScalarListMetadataIfLi4EEENS1_28PointwiseOpScalarListFunctorIN3c104HalfELi4ELi3ELi3EEEJSt7dividesIfEEEEvT_T0_DpT1_
    .private_segment_fixed_size: 0
    .sgpr_count:     29
    .sgpr_spill_count: 0
    .symbol:         _ZN2at6native12_GLOBAL__N_125multi_tensor_apply_kernelINS1_28TensorListScalarListMetadataIfLi4EEENS1_28PointwiseOpScalarListFunctorIN3c104HalfELi4ELi3ELi3EEEJSt7dividesIfEEEEvT_T0_DpT1_.kd
    .uniform_work_group_size: 1
    .uses_dynamic_stack: false
    .vgpr_count:     61
    .vgpr_spill_count: 0
    .wavefront_size: 32
  - .args:
      - .offset:         0
        .size:           3184
        .value_kind:     by_value
      - .offset:         3184
        .size:           1
        .value_kind:     by_value
      - .offset:         3185
        .size:           1
        .value_kind:     by_value
      - .offset:         3192
        .size:           4
        .value_kind:     hidden_block_count_x
      - .offset:         3196
        .size:           4
        .value_kind:     hidden_block_count_y
      - .offset:         3200
        .size:           4
        .value_kind:     hidden_block_count_z
      - .offset:         3204
        .size:           2
        .value_kind:     hidden_group_size_x
      - .offset:         3206
        .size:           2
        .value_kind:     hidden_group_size_y
      - .offset:         3208
        .size:           2
        .value_kind:     hidden_group_size_z
      - .offset:         3210
        .size:           2
        .value_kind:     hidden_remainder_x
      - .offset:         3212
        .size:           2
        .value_kind:     hidden_remainder_y
      - .offset:         3214
        .size:           2
        .value_kind:     hidden_remainder_z
      - .offset:         3232
        .size:           8
        .value_kind:     hidden_global_offset_x
      - .offset:         3240
        .size:           8
        .value_kind:     hidden_global_offset_y
      - .offset:         3248
        .size:           8
        .value_kind:     hidden_global_offset_z
      - .offset:         3256
        .size:           2
        .value_kind:     hidden_grid_dims
    .group_segment_fixed_size: 0
    .kernarg_segment_align: 8
    .kernarg_segment_size: 3448
    .language:       OpenCL C
    .language_version:
      - 2
      - 0
    .max_flat_workgroup_size: 512
    .name:           _ZN2at6native12_GLOBAL__N_125multi_tensor_apply_kernelINS1_28TensorListScalarListMetadataIfLi4EEENS1_28PointwiseOpScalarListFunctorIN3c108BFloat16ELi4ELi3ELi3EEEJSt7dividesIfEEEEvT_T0_DpT1_
    .private_segment_fixed_size: 0
    .sgpr_count:     29
    .sgpr_spill_count: 0
    .symbol:         _ZN2at6native12_GLOBAL__N_125multi_tensor_apply_kernelINS1_28TensorListScalarListMetadataIfLi4EEENS1_28PointwiseOpScalarListFunctorIN3c108BFloat16ELi4ELi3ELi3EEEJSt7dividesIfEEEEvT_T0_DpT1_.kd
    .uniform_work_group_size: 1
    .uses_dynamic_stack: false
    .vgpr_count:     61
    .vgpr_spill_count: 0
    .wavefront_size: 32
  - .args:
      - .offset:         0
        .size:           3184
        .value_kind:     by_value
      - .offset:         3184
        .size:           1
        .value_kind:     by_value
      - .offset:         3185
        .size:           1
        .value_kind:     by_value
      - .offset:         3192
        .size:           4
        .value_kind:     hidden_block_count_x
      - .offset:         3196
        .size:           4
        .value_kind:     hidden_block_count_y
      - .offset:         3200
        .size:           4
        .value_kind:     hidden_block_count_z
      - .offset:         3204
        .size:           2
        .value_kind:     hidden_group_size_x
      - .offset:         3206
        .size:           2
        .value_kind:     hidden_group_size_y
      - .offset:         3208
        .size:           2
        .value_kind:     hidden_group_size_z
      - .offset:         3210
        .size:           2
        .value_kind:     hidden_remainder_x
      - .offset:         3212
        .size:           2
        .value_kind:     hidden_remainder_y
      - .offset:         3214
        .size:           2
        .value_kind:     hidden_remainder_z
      - .offset:         3232
        .size:           8
        .value_kind:     hidden_global_offset_x
      - .offset:         3240
        .size:           8
        .value_kind:     hidden_global_offset_y
      - .offset:         3248
        .size:           8
        .value_kind:     hidden_global_offset_z
      - .offset:         3256
        .size:           2
        .value_kind:     hidden_grid_dims
    .group_segment_fixed_size: 0
    .kernarg_segment_align: 8
    .kernarg_segment_size: 3448
    .language:       OpenCL C
    .language_version:
      - 2
      - 0
    .max_flat_workgroup_size: 512
    .name:           _ZN2at6native12_GLOBAL__N_125multi_tensor_apply_kernelINS1_28TensorListScalarListMetadataIhLi3EEENS1_28PointwiseOpScalarListFunctorIhLi3ELi3ELi0EEEJSt7dividesIhEEEEvT_T0_DpT1_
    .private_segment_fixed_size: 0
    .sgpr_count:     24
    .sgpr_spill_count: 0
    .symbol:         _ZN2at6native12_GLOBAL__N_125multi_tensor_apply_kernelINS1_28TensorListScalarListMetadataIhLi3EEENS1_28PointwiseOpScalarListFunctorIhLi3ELi3ELi0EEEJSt7dividesIhEEEEvT_T0_DpT1_.kd
    .uniform_work_group_size: 1
    .uses_dynamic_stack: false
    .vgpr_count:     61
    .vgpr_spill_count: 0
    .wavefront_size: 32
  - .args:
      - .offset:         0
        .size:           3184
        .value_kind:     by_value
      - .offset:         3184
        .size:           1
        .value_kind:     by_value
      - .offset:         3185
        .size:           1
        .value_kind:     by_value
      - .offset:         3192
        .size:           4
        .value_kind:     hidden_block_count_x
      - .offset:         3196
        .size:           4
        .value_kind:     hidden_block_count_y
      - .offset:         3200
        .size:           4
        .value_kind:     hidden_block_count_z
      - .offset:         3204
        .size:           2
        .value_kind:     hidden_group_size_x
      - .offset:         3206
        .size:           2
        .value_kind:     hidden_group_size_y
      - .offset:         3208
        .size:           2
        .value_kind:     hidden_group_size_z
      - .offset:         3210
        .size:           2
        .value_kind:     hidden_remainder_x
      - .offset:         3212
        .size:           2
        .value_kind:     hidden_remainder_y
      - .offset:         3214
        .size:           2
        .value_kind:     hidden_remainder_z
      - .offset:         3232
        .size:           8
        .value_kind:     hidden_global_offset_x
      - .offset:         3240
        .size:           8
        .value_kind:     hidden_global_offset_y
      - .offset:         3248
        .size:           8
        .value_kind:     hidden_global_offset_z
      - .offset:         3256
        .size:           2
        .value_kind:     hidden_grid_dims
    .group_segment_fixed_size: 0
    .kernarg_segment_align: 8
    .kernarg_segment_size: 3448
    .language:       OpenCL C
    .language_version:
      - 2
      - 0
    .max_flat_workgroup_size: 512
    .name:           _ZN2at6native12_GLOBAL__N_125multi_tensor_apply_kernelINS1_28TensorListScalarListMetadataIaLi3EEENS1_28PointwiseOpScalarListFunctorIaLi3ELi3ELi0EEEJSt7dividesIaEEEEvT_T0_DpT1_
    .private_segment_fixed_size: 0
    .sgpr_count:     24
    .sgpr_spill_count: 0
    .symbol:         _ZN2at6native12_GLOBAL__N_125multi_tensor_apply_kernelINS1_28TensorListScalarListMetadataIaLi3EEENS1_28PointwiseOpScalarListFunctorIaLi3ELi3ELi0EEEJSt7dividesIaEEEEvT_T0_DpT1_.kd
    .uniform_work_group_size: 1
    .uses_dynamic_stack: false
    .vgpr_count:     54
    .vgpr_spill_count: 0
    .wavefront_size: 32
  - .args:
      - .offset:         0
        .size:           3328
        .value_kind:     by_value
      - .offset:         3328
        .size:           1
        .value_kind:     by_value
      - .offset:         3329
        .size:           1
        .value_kind:     by_value
      - .offset:         3336
        .size:           4
        .value_kind:     hidden_block_count_x
      - .offset:         3340
        .size:           4
        .value_kind:     hidden_block_count_y
      - .offset:         3344
        .size:           4
        .value_kind:     hidden_block_count_z
      - .offset:         3348
        .size:           2
        .value_kind:     hidden_group_size_x
      - .offset:         3350
        .size:           2
        .value_kind:     hidden_group_size_y
      - .offset:         3352
        .size:           2
        .value_kind:     hidden_group_size_z
      - .offset:         3354
        .size:           2
        .value_kind:     hidden_remainder_x
      - .offset:         3356
        .size:           2
        .value_kind:     hidden_remainder_y
      - .offset:         3358
        .size:           2
        .value_kind:     hidden_remainder_z
      - .offset:         3376
        .size:           8
        .value_kind:     hidden_global_offset_x
      - .offset:         3384
        .size:           8
        .value_kind:     hidden_global_offset_y
      - .offset:         3392
        .size:           8
        .value_kind:     hidden_global_offset_z
      - .offset:         3400
        .size:           2
        .value_kind:     hidden_grid_dims
    .group_segment_fixed_size: 0
    .kernarg_segment_align: 8
    .kernarg_segment_size: 3592
    .language:       OpenCL C
    .language_version:
      - 2
      - 0
    .max_flat_workgroup_size: 512
    .name:           _ZN2at6native12_GLOBAL__N_125multi_tensor_apply_kernelINS1_28TensorListScalarListMetadataIiLi3EEENS1_28PointwiseOpScalarListFunctorIiLi3ELi3ELi0EEEJSt7dividesIiEEEEvT_T0_DpT1_
    .private_segment_fixed_size: 0
    .sgpr_count:     26
    .sgpr_spill_count: 0
    .symbol:         _ZN2at6native12_GLOBAL__N_125multi_tensor_apply_kernelINS1_28TensorListScalarListMetadataIiLi3EEENS1_28PointwiseOpScalarListFunctorIiLi3ELi3ELi0EEEJSt7dividesIiEEEEvT_T0_DpT1_.kd
    .uniform_work_group_size: 1
    .uses_dynamic_stack: false
    .vgpr_count:     59
    .vgpr_spill_count: 0
    .wavefront_size: 32
  - .args:
      - .offset:         0
        .size:           3520
        .value_kind:     by_value
      - .offset:         3520
        .size:           1
        .value_kind:     by_value
      - .offset:         3521
        .size:           1
        .value_kind:     by_value
      - .offset:         3528
        .size:           4
        .value_kind:     hidden_block_count_x
      - .offset:         3532
        .size:           4
        .value_kind:     hidden_block_count_y
      - .offset:         3536
        .size:           4
        .value_kind:     hidden_block_count_z
      - .offset:         3540
        .size:           2
        .value_kind:     hidden_group_size_x
      - .offset:         3542
        .size:           2
        .value_kind:     hidden_group_size_y
      - .offset:         3544
        .size:           2
        .value_kind:     hidden_group_size_z
      - .offset:         3546
        .size:           2
        .value_kind:     hidden_remainder_x
      - .offset:         3548
        .size:           2
        .value_kind:     hidden_remainder_y
      - .offset:         3550
        .size:           2
        .value_kind:     hidden_remainder_z
      - .offset:         3568
        .size:           8
        .value_kind:     hidden_global_offset_x
      - .offset:         3576
        .size:           8
        .value_kind:     hidden_global_offset_y
      - .offset:         3584
        .size:           8
        .value_kind:     hidden_global_offset_z
      - .offset:         3592
        .size:           2
        .value_kind:     hidden_grid_dims
    .group_segment_fixed_size: 0
    .kernarg_segment_align: 8
    .kernarg_segment_size: 3784
    .language:       OpenCL C
    .language_version:
      - 2
      - 0
    .max_flat_workgroup_size: 512
    .name:           _ZN2at6native12_GLOBAL__N_125multi_tensor_apply_kernelINS1_28TensorListScalarListMetadataIlLi3EEENS1_28PointwiseOpScalarListFunctorIlLi3ELi3ELi0EEEJSt7dividesIlEEEEvT_T0_DpT1_
    .private_segment_fixed_size: 0
    .sgpr_count:     32
    .sgpr_spill_count: 0
    .symbol:         _ZN2at6native12_GLOBAL__N_125multi_tensor_apply_kernelINS1_28TensorListScalarListMetadataIlLi3EEENS1_28PointwiseOpScalarListFunctorIlLi3ELi3ELi0EEEJSt7dividesIlEEEEvT_T0_DpT1_.kd
    .uniform_work_group_size: 1
    .uses_dynamic_stack: false
    .vgpr_count:     88
    .vgpr_spill_count: 0
    .wavefront_size: 32
  - .args:
      - .offset:         0
        .size:           3232
        .value_kind:     by_value
      - .offset:         3232
        .size:           1
        .value_kind:     by_value
      - .offset:         3233
        .size:           1
        .value_kind:     by_value
      - .offset:         3240
        .size:           4
        .value_kind:     hidden_block_count_x
      - .offset:         3244
        .size:           4
        .value_kind:     hidden_block_count_y
      - .offset:         3248
        .size:           4
        .value_kind:     hidden_block_count_z
      - .offset:         3252
        .size:           2
        .value_kind:     hidden_group_size_x
      - .offset:         3254
        .size:           2
        .value_kind:     hidden_group_size_y
      - .offset:         3256
        .size:           2
        .value_kind:     hidden_group_size_z
      - .offset:         3258
        .size:           2
        .value_kind:     hidden_remainder_x
      - .offset:         3260
        .size:           2
        .value_kind:     hidden_remainder_y
      - .offset:         3262
        .size:           2
        .value_kind:     hidden_remainder_z
      - .offset:         3280
        .size:           8
        .value_kind:     hidden_global_offset_x
      - .offset:         3288
        .size:           8
        .value_kind:     hidden_global_offset_y
      - .offset:         3296
        .size:           8
        .value_kind:     hidden_global_offset_z
      - .offset:         3304
        .size:           2
        .value_kind:     hidden_grid_dims
    .group_segment_fixed_size: 0
    .kernarg_segment_align: 8
    .kernarg_segment_size: 3496
    .language:       OpenCL C
    .language_version:
      - 2
      - 0
    .max_flat_workgroup_size: 512
    .name:           _ZN2at6native12_GLOBAL__N_125multi_tensor_apply_kernelINS1_28TensorListScalarListMetadataIsLi3EEENS1_28PointwiseOpScalarListFunctorIsLi3ELi3ELi0EEEJSt7dividesIsEEEEvT_T0_DpT1_
    .private_segment_fixed_size: 0
    .sgpr_count:     26
    .sgpr_spill_count: 0
    .symbol:         _ZN2at6native12_GLOBAL__N_125multi_tensor_apply_kernelINS1_28TensorListScalarListMetadataIsLi3EEENS1_28PointwiseOpScalarListFunctorIsLi3ELi3ELi0EEEJSt7dividesIsEEEEvT_T0_DpT1_.kd
    .uniform_work_group_size: 1
    .uses_dynamic_stack: false
    .vgpr_count:     54
    .vgpr_spill_count: 0
    .wavefront_size: 32
  - .args:
      - .offset:         0
        .size:           3520
        .value_kind:     by_value
      - .offset:         3520
        .size:           1
        .value_kind:     by_value
      - .offset:         3521
        .size:           1
        .value_kind:     by_value
      - .offset:         3528
        .size:           4
        .value_kind:     hidden_block_count_x
      - .offset:         3532
        .size:           4
        .value_kind:     hidden_block_count_y
      - .offset:         3536
        .size:           4
        .value_kind:     hidden_block_count_z
      - .offset:         3540
        .size:           2
        .value_kind:     hidden_group_size_x
      - .offset:         3542
        .size:           2
        .value_kind:     hidden_group_size_y
      - .offset:         3544
        .size:           2
        .value_kind:     hidden_group_size_z
      - .offset:         3546
        .size:           2
        .value_kind:     hidden_remainder_x
      - .offset:         3548
        .size:           2
        .value_kind:     hidden_remainder_y
      - .offset:         3550
        .size:           2
        .value_kind:     hidden_remainder_z
      - .offset:         3568
        .size:           8
        .value_kind:     hidden_global_offset_x
      - .offset:         3576
        .size:           8
        .value_kind:     hidden_global_offset_y
      - .offset:         3584
        .size:           8
        .value_kind:     hidden_global_offset_z
      - .offset:         3592
        .size:           2
        .value_kind:     hidden_grid_dims
    .group_segment_fixed_size: 0
    .kernarg_segment_align: 8
    .kernarg_segment_size: 3784
    .language:       OpenCL C
    .language_version:
      - 2
      - 0
    .max_flat_workgroup_size: 512
    .name:           _ZN2at6native12_GLOBAL__N_125multi_tensor_apply_kernelINS1_28TensorListScalarListMetadataIdLi3EEENS1_28PointwiseOpScalarListFunctorIdLi3ELi3ELi0EEEJSt7dividesIdEEEEvT_T0_DpT1_
    .private_segment_fixed_size: 0
    .sgpr_count:     32
    .sgpr_spill_count: 0
    .symbol:         _ZN2at6native12_GLOBAL__N_125multi_tensor_apply_kernelINS1_28TensorListScalarListMetadataIdLi3EEENS1_28PointwiseOpScalarListFunctorIdLi3ELi3ELi0EEEJSt7dividesIdEEEEvT_T0_DpT1_.kd
    .uniform_work_group_size: 1
    .uses_dynamic_stack: false
    .vgpr_count:     68
    .vgpr_spill_count: 0
    .wavefront_size: 32
  - .args:
      - .offset:         0
        .size:           3328
        .value_kind:     by_value
      - .offset:         3328
        .size:           1
        .value_kind:     by_value
      - .offset:         3329
        .size:           1
        .value_kind:     by_value
      - .offset:         3336
        .size:           4
        .value_kind:     hidden_block_count_x
      - .offset:         3340
        .size:           4
        .value_kind:     hidden_block_count_y
      - .offset:         3344
        .size:           4
        .value_kind:     hidden_block_count_z
      - .offset:         3348
        .size:           2
        .value_kind:     hidden_group_size_x
      - .offset:         3350
        .size:           2
        .value_kind:     hidden_group_size_y
      - .offset:         3352
        .size:           2
        .value_kind:     hidden_group_size_z
      - .offset:         3354
        .size:           2
        .value_kind:     hidden_remainder_x
      - .offset:         3356
        .size:           2
        .value_kind:     hidden_remainder_y
      - .offset:         3358
        .size:           2
        .value_kind:     hidden_remainder_z
      - .offset:         3376
        .size:           8
        .value_kind:     hidden_global_offset_x
      - .offset:         3384
        .size:           8
        .value_kind:     hidden_global_offset_y
      - .offset:         3392
        .size:           8
        .value_kind:     hidden_global_offset_z
      - .offset:         3400
        .size:           2
        .value_kind:     hidden_grid_dims
    .group_segment_fixed_size: 0
    .kernarg_segment_align: 8
    .kernarg_segment_size: 3592
    .language:       OpenCL C
    .language_version:
      - 2
      - 0
    .max_flat_workgroup_size: 512
    .name:           _ZN2at6native12_GLOBAL__N_125multi_tensor_apply_kernelINS1_28TensorListScalarListMetadataIfLi3EEENS1_28PointwiseOpScalarListFunctorIfLi3ELi3ELi0EEEJSt7dividesIfEEEEvT_T0_DpT1_
    .private_segment_fixed_size: 0
    .sgpr_count:     26
    .sgpr_spill_count: 0
    .symbol:         _ZN2at6native12_GLOBAL__N_125multi_tensor_apply_kernelINS1_28TensorListScalarListMetadataIfLi3EEENS1_28PointwiseOpScalarListFunctorIfLi3ELi3ELi0EEEJSt7dividesIfEEEEvT_T0_DpT1_.kd
    .uniform_work_group_size: 1
    .uses_dynamic_stack: false
    .vgpr_count:     53
    .vgpr_spill_count: 0
    .wavefront_size: 32
  - .args:
      - .offset:         0
        .size:           3904
        .value_kind:     by_value
      - .offset:         3904
        .size:           1
        .value_kind:     by_value
      - .offset:         3905
        .size:           1
        .value_kind:     by_value
      - .offset:         3912
        .size:           4
        .value_kind:     hidden_block_count_x
      - .offset:         3916
        .size:           4
        .value_kind:     hidden_block_count_y
      - .offset:         3920
        .size:           4
        .value_kind:     hidden_block_count_z
      - .offset:         3924
        .size:           2
        .value_kind:     hidden_group_size_x
      - .offset:         3926
        .size:           2
        .value_kind:     hidden_group_size_y
      - .offset:         3928
        .size:           2
        .value_kind:     hidden_group_size_z
      - .offset:         3930
        .size:           2
        .value_kind:     hidden_remainder_x
      - .offset:         3932
        .size:           2
        .value_kind:     hidden_remainder_y
      - .offset:         3934
        .size:           2
        .value_kind:     hidden_remainder_z
      - .offset:         3952
        .size:           8
        .value_kind:     hidden_global_offset_x
      - .offset:         3960
        .size:           8
        .value_kind:     hidden_global_offset_y
      - .offset:         3968
        .size:           8
        .value_kind:     hidden_global_offset_z
      - .offset:         3976
        .size:           2
        .value_kind:     hidden_grid_dims
    .group_segment_fixed_size: 0
    .kernarg_segment_align: 16
    .kernarg_segment_size: 4168
    .language:       OpenCL C
    .language_version:
      - 2
      - 0
    .max_flat_workgroup_size: 512
    .name:           _ZN2at6native12_GLOBAL__N_125multi_tensor_apply_kernelINS1_28TensorListScalarListMetadataIN3c107complexIdEELi3EEENS1_28PointwiseOpScalarListFunctorIS6_Li3ELi3ELi0EEEJSt7dividesIS6_EEEEvT_T0_DpT1_
    .private_segment_fixed_size: 0
    .sgpr_count:     36
    .sgpr_spill_count: 0
    .symbol:         _ZN2at6native12_GLOBAL__N_125multi_tensor_apply_kernelINS1_28TensorListScalarListMetadataIN3c107complexIdEELi3EEENS1_28PointwiseOpScalarListFunctorIS6_Li3ELi3ELi0EEEJSt7dividesIS6_EEEEvT_T0_DpT1_.kd
    .uniform_work_group_size: 1
    .uses_dynamic_stack: false
    .vgpr_count:     82
    .vgpr_spill_count: 0
    .wavefront_size: 32
  - .args:
      - .offset:         0
        .size:           3520
        .value_kind:     by_value
      - .offset:         3520
        .size:           1
        .value_kind:     by_value
      - .offset:         3521
        .size:           1
        .value_kind:     by_value
      - .offset:         3528
        .size:           4
        .value_kind:     hidden_block_count_x
      - .offset:         3532
        .size:           4
        .value_kind:     hidden_block_count_y
      - .offset:         3536
        .size:           4
        .value_kind:     hidden_block_count_z
      - .offset:         3540
        .size:           2
        .value_kind:     hidden_group_size_x
      - .offset:         3542
        .size:           2
        .value_kind:     hidden_group_size_y
      - .offset:         3544
        .size:           2
        .value_kind:     hidden_group_size_z
      - .offset:         3546
        .size:           2
        .value_kind:     hidden_remainder_x
      - .offset:         3548
        .size:           2
        .value_kind:     hidden_remainder_y
      - .offset:         3550
        .size:           2
        .value_kind:     hidden_remainder_z
      - .offset:         3568
        .size:           8
        .value_kind:     hidden_global_offset_x
      - .offset:         3576
        .size:           8
        .value_kind:     hidden_global_offset_y
      - .offset:         3584
        .size:           8
        .value_kind:     hidden_global_offset_z
      - .offset:         3592
        .size:           2
        .value_kind:     hidden_grid_dims
    .group_segment_fixed_size: 0
    .kernarg_segment_align: 8
    .kernarg_segment_size: 3784
    .language:       OpenCL C
    .language_version:
      - 2
      - 0
    .max_flat_workgroup_size: 512
    .name:           _ZN2at6native12_GLOBAL__N_125multi_tensor_apply_kernelINS1_28TensorListScalarListMetadataIN3c107complexIfEELi3EEENS1_28PointwiseOpScalarListFunctorIS6_Li3ELi3ELi0EEEJSt7dividesIS6_EEEEvT_T0_DpT1_
    .private_segment_fixed_size: 0
    .sgpr_count:     33
    .sgpr_spill_count: 0
    .symbol:         _ZN2at6native12_GLOBAL__N_125multi_tensor_apply_kernelINS1_28TensorListScalarListMetadataIN3c107complexIfEELi3EEENS1_28PointwiseOpScalarListFunctorIS6_Li3ELi3ELi0EEEJSt7dividesIS6_EEEEvT_T0_DpT1_.kd
    .uniform_work_group_size: 1
    .uses_dynamic_stack: false
    .vgpr_count:     72
    .vgpr_spill_count: 0
    .wavefront_size: 32
  - .args:
      - .offset:         0
        .size:           3328
        .value_kind:     by_value
      - .offset:         3328
        .size:           1
        .value_kind:     by_value
      - .offset:         3329
        .size:           1
        .value_kind:     by_value
      - .offset:         3336
        .size:           4
        .value_kind:     hidden_block_count_x
      - .offset:         3340
        .size:           4
        .value_kind:     hidden_block_count_y
      - .offset:         3344
        .size:           4
        .value_kind:     hidden_block_count_z
      - .offset:         3348
        .size:           2
        .value_kind:     hidden_group_size_x
      - .offset:         3350
        .size:           2
        .value_kind:     hidden_group_size_y
      - .offset:         3352
        .size:           2
        .value_kind:     hidden_group_size_z
      - .offset:         3354
        .size:           2
        .value_kind:     hidden_remainder_x
      - .offset:         3356
        .size:           2
        .value_kind:     hidden_remainder_y
      - .offset:         3358
        .size:           2
        .value_kind:     hidden_remainder_z
      - .offset:         3376
        .size:           8
        .value_kind:     hidden_global_offset_x
      - .offset:         3384
        .size:           8
        .value_kind:     hidden_global_offset_y
      - .offset:         3392
        .size:           8
        .value_kind:     hidden_global_offset_z
      - .offset:         3400
        .size:           2
        .value_kind:     hidden_grid_dims
    .group_segment_fixed_size: 0
    .kernarg_segment_align: 8
    .kernarg_segment_size: 3592
    .language:       OpenCL C
    .language_version:
      - 2
      - 0
    .max_flat_workgroup_size: 512
    .name:           _ZN2at6native12_GLOBAL__N_125multi_tensor_apply_kernelINS1_28TensorListScalarListMetadataIfLi3EEENS1_28PointwiseOpScalarListFunctorIN3c104HalfELi3ELi3ELi0EEEJSt7dividesIfEEEEvT_T0_DpT1_
    .private_segment_fixed_size: 0
    .sgpr_count:     26
    .sgpr_spill_count: 0
    .symbol:         _ZN2at6native12_GLOBAL__N_125multi_tensor_apply_kernelINS1_28TensorListScalarListMetadataIfLi3EEENS1_28PointwiseOpScalarListFunctorIN3c104HalfELi3ELi3ELi0EEEJSt7dividesIfEEEEvT_T0_DpT1_.kd
    .uniform_work_group_size: 1
    .uses_dynamic_stack: false
    .vgpr_count:     53
    .vgpr_spill_count: 0
    .wavefront_size: 32
  - .args:
      - .offset:         0
        .size:           3328
        .value_kind:     by_value
      - .offset:         3328
        .size:           1
        .value_kind:     by_value
      - .offset:         3329
        .size:           1
        .value_kind:     by_value
      - .offset:         3336
        .size:           4
        .value_kind:     hidden_block_count_x
      - .offset:         3340
        .size:           4
        .value_kind:     hidden_block_count_y
      - .offset:         3344
        .size:           4
        .value_kind:     hidden_block_count_z
      - .offset:         3348
        .size:           2
        .value_kind:     hidden_group_size_x
      - .offset:         3350
        .size:           2
        .value_kind:     hidden_group_size_y
      - .offset:         3352
        .size:           2
        .value_kind:     hidden_group_size_z
      - .offset:         3354
        .size:           2
        .value_kind:     hidden_remainder_x
      - .offset:         3356
        .size:           2
        .value_kind:     hidden_remainder_y
      - .offset:         3358
        .size:           2
        .value_kind:     hidden_remainder_z
      - .offset:         3376
        .size:           8
        .value_kind:     hidden_global_offset_x
      - .offset:         3384
        .size:           8
        .value_kind:     hidden_global_offset_y
      - .offset:         3392
        .size:           8
        .value_kind:     hidden_global_offset_z
      - .offset:         3400
        .size:           2
        .value_kind:     hidden_grid_dims
    .group_segment_fixed_size: 0
    .kernarg_segment_align: 8
    .kernarg_segment_size: 3592
    .language:       OpenCL C
    .language_version:
      - 2
      - 0
    .max_flat_workgroup_size: 512
    .name:           _ZN2at6native12_GLOBAL__N_125multi_tensor_apply_kernelINS1_28TensorListScalarListMetadataIfLi3EEENS1_28PointwiseOpScalarListFunctorIN3c108BFloat16ELi3ELi3ELi0EEEJSt7dividesIfEEEEvT_T0_DpT1_
    .private_segment_fixed_size: 0
    .sgpr_count:     26
    .sgpr_spill_count: 0
    .symbol:         _ZN2at6native12_GLOBAL__N_125multi_tensor_apply_kernelINS1_28TensorListScalarListMetadataIfLi3EEENS1_28PointwiseOpScalarListFunctorIN3c108BFloat16ELi3ELi3ELi0EEEJSt7dividesIfEEEEvT_T0_DpT1_.kd
    .uniform_work_group_size: 1
    .uses_dynamic_stack: false
    .vgpr_count:     53
    .vgpr_spill_count: 0
    .wavefront_size: 32
amdhsa.target:   amdgcn-amd-amdhsa--gfx1250
amdhsa.version:
  - 1
  - 2
...

	.end_amdgpu_metadata
